;; amdgpu-corpus repo=ROCm/rccl kind=compiled arch=gfx906 opt=O3
	.amdgcn_target "amdgcn-amd-amdhsa--gfx906"
	.amdhsa_code_object_version 6
	.text
	.p2align	2                               ; -- Begin function __ockl_fprintf_append_string_n
	.type	__ockl_fprintf_append_string_n,@function
__ockl_fprintf_append_string_n:         ; @__ockl_fprintf_append_string_n
; %bb.0:
	s_waitcnt vmcnt(0) expcnt(0) lgkmcnt(0)
	v_or_b32_e32 v2, 2, v0
	v_cmp_eq_u32_e32 vcc, 0, v6
	s_getpc_b64 s[4:5]
	s_add_u32 s4, s4, .str.3@rel32@lo+4
	s_addc_u32 s5, s5, .str.3@rel32@hi+12
	s_mov_b32 s20, 0
	v_cndmask_b32_e32 v36, v2, v0, vcc
	s_mov_b64 s[6:7], 0
	s_cmp_lg_u64 s[4:5], 0
	v_mbcnt_lo_u32_b32 v37, -1, 0
	s_cbranch_scc0 .LBB0_112
; %bb.1:
	s_load_dwordx2 s[10:11], s[8:9], 0x50
	s_getpc_b64 s[4:5]
	s_add_u32 s4, s4, .str.3@rel32@lo+4
	s_addc_u32 s5, s5, .str.3@rel32@hi+12
	v_and_b32_e32 v0, -3, v36
	v_mov_b32_e32 v31, s5
	v_mov_b32_e32 v11, v1
	v_and_b32_e32 v38, 2, v36
	v_mov_b32_e32 v3, 0
	v_mbcnt_hi_u32_b32 v39, -1, v37
	v_mov_b32_e32 v30, s4
	s_movk_i32 s21, 0x1e0
	v_mov_b32_e32 v8, 2
	v_mov_b32_e32 v9, 1
	;; [unrolled: 1-line block ×3, first 2 shown]
	s_branch .LBB0_3
.LBB0_2:                                ;   in Loop: Header=BB0_3 Depth=1
	s_or_b64 exec, exec, s[14:15]
	v_sub_co_u32_e32 v4, vcc, v4, v32
	v_subb_co_u32_e32 v5, vcc, v5, v33, vcc
	v_cmp_eq_u64_e32 vcc, 0, v[4:5]
	s_or_b64 s[6:7], vcc, s[6:7]
	v_add_co_u32_e32 v30, vcc, v30, v32
	v_addc_co_u32_e32 v31, vcc, v31, v33, vcc
	s_andn2_b64 exec, exec, s[6:7]
	s_cbranch_execz .LBB0_85
.LBB0_3:                                ; =>This Loop Header: Depth=1
                                        ;     Child Loop BB0_6 Depth 2
                                        ;     Child Loop BB0_14 Depth 2
	;; [unrolled: 1-line block ×11, first 2 shown]
	v_cmp_gt_u64_e32 vcc, 56, v[4:5]
	v_add_co_u32_e64 v16, s[4:5], 8, v30
	v_cndmask_b32_e32 v33, 0, v5, vcc
	v_cndmask_b32_e32 v32, 56, v4, vcc
	v_cmp_gt_u64_e32 vcc, 8, v[4:5]
	v_addc_co_u32_e64 v17, s[4:5], 0, v31, s[4:5]
	s_and_saveexec_b64 s[4:5], vcc
	s_xor_b64 s[4:5], exec, s[4:5]
	s_cbranch_execz .LBB0_9
; %bb.4:                                ;   in Loop: Header=BB0_3 Depth=1
	s_waitcnt vmcnt(0)
	v_mov_b32_e32 v12, 0
	v_cmp_ne_u64_e32 vcc, 0, v[4:5]
	v_mov_b32_e32 v13, 0
	s_and_saveexec_b64 s[12:13], vcc
	s_cbranch_execz .LBB0_8
; %bb.5:                                ;   in Loop: Header=BB0_3 Depth=1
	v_lshlrev_b64 v[6:7], 3, v[32:33]
	v_mov_b32_e32 v12, 0
	v_mov_b32_e32 v14, v30
	s_mov_b64 s[14:15], 0
	v_mov_b32_e32 v13, 0
	v_mov_b32_e32 v15, v31
	s_mov_b64 s[16:17], 0
.LBB0_6:                                ;   Parent Loop BB0_3 Depth=1
                                        ; =>  This Inner Loop Header: Depth=2
	global_load_ubyte v0, v[14:15], off
	v_mov_b32_e32 v17, s20
	v_add_co_u32_e32 v14, vcc, 1, v14
	v_addc_co_u32_e32 v15, vcc, 0, v15, vcc
	s_waitcnt vmcnt(0)
	v_and_b32_e32 v16, 0xffff, v0
	v_lshlrev_b64 v[16:17], s16, v[16:17]
	s_add_u32 s16, s16, 8
	s_addc_u32 s17, s17, 0
	v_cmp_eq_u32_e32 vcc, s16, v6
	v_or_b32_e32 v13, v17, v13
	s_or_b64 s[14:15], vcc, s[14:15]
	v_or_b32_e32 v12, v16, v12
	s_andn2_b64 exec, exec, s[14:15]
	s_cbranch_execnz .LBB0_6
; %bb.7:                                ;   in Loop: Header=BB0_3 Depth=1
	s_or_b64 exec, exec, s[14:15]
.LBB0_8:                                ;   in Loop: Header=BB0_3 Depth=1
	s_or_b64 exec, exec, s[12:13]
	v_mov_b32_e32 v16, v30
	v_mov_b32_e32 v17, v31
.LBB0_9:                                ;   in Loop: Header=BB0_3 Depth=1
	s_or_saveexec_b64 s[4:5], s[4:5]
	v_mov_b32_e32 v0, 0
	s_xor_b64 exec, exec, s[4:5]
	s_cbranch_execz .LBB0_11
; %bb.10:                               ;   in Loop: Header=BB0_3 Depth=1
	global_load_dwordx2 v[12:13], v[30:31], off
	v_add_u32_e32 v0, -8, v32
.LBB0_11:                               ;   in Loop: Header=BB0_3 Depth=1
	s_or_b64 exec, exec, s[4:5]
	v_add_co_u32_e64 v6, s[4:5], 8, v16
	v_cmp_gt_u32_e32 vcc, 8, v0
	v_addc_co_u32_e64 v7, s[4:5], 0, v17, s[4:5]
                                        ; implicit-def: $vgpr14_vgpr15
	s_and_saveexec_b64 s[4:5], vcc
	s_xor_b64 s[4:5], exec, s[4:5]
	s_cbranch_execz .LBB0_17
; %bb.12:                               ;   in Loop: Header=BB0_3 Depth=1
	v_mov_b32_e32 v14, 0
	v_mov_b32_e32 v15, 0
	v_cmp_ne_u32_e32 vcc, 0, v0
	s_and_saveexec_b64 s[12:13], vcc
	s_cbranch_execz .LBB0_16
; %bb.13:                               ;   in Loop: Header=BB0_3 Depth=1
	v_mov_b32_e32 v14, 0
	s_mov_b64 s[14:15], 0
	v_mov_b32_e32 v15, 0
	s_mov_b64 s[16:17], 0
	s_mov_b64 s[18:19], 0
.LBB0_14:                               ;   Parent Loop BB0_3 Depth=1
                                        ; =>  This Inner Loop Header: Depth=2
	v_mov_b32_e32 v2, s19
	v_add_co_u32_e32 v6, vcc, s18, v16
	v_addc_co_u32_e32 v7, vcc, v17, v2, vcc
	global_load_ubyte v2, v[6:7], off
	s_add_u32 s18, s18, 1
	v_mov_b32_e32 v7, s20
	s_addc_u32 s19, s19, 0
	v_cmp_eq_u32_e32 vcc, s18, v0
	s_waitcnt vmcnt(0)
	v_and_b32_e32 v6, 0xffff, v2
	v_lshlrev_b64 v[6:7], s16, v[6:7]
	s_add_u32 s16, s16, 8
	s_addc_u32 s17, s17, 0
	v_or_b32_e32 v15, v7, v15
	s_or_b64 s[14:15], vcc, s[14:15]
	v_or_b32_e32 v14, v6, v14
	s_andn2_b64 exec, exec, s[14:15]
	s_cbranch_execnz .LBB0_14
; %bb.15:                               ;   in Loop: Header=BB0_3 Depth=1
	s_or_b64 exec, exec, s[14:15]
.LBB0_16:                               ;   in Loop: Header=BB0_3 Depth=1
	s_or_b64 exec, exec, s[12:13]
	v_mov_b32_e32 v6, v16
	v_mov_b32_e32 v7, v17
                                        ; implicit-def: $vgpr0
.LBB0_17:                               ;   in Loop: Header=BB0_3 Depth=1
	s_or_saveexec_b64 s[4:5], s[4:5]
	v_mov_b32_e32 v2, 0
	s_xor_b64 exec, exec, s[4:5]
	s_cbranch_execz .LBB0_19
; %bb.18:                               ;   in Loop: Header=BB0_3 Depth=1
	global_load_dwordx2 v[14:15], v[16:17], off
	v_add_u32_e32 v2, -8, v0
.LBB0_19:                               ;   in Loop: Header=BB0_3 Depth=1
	s_or_b64 exec, exec, s[4:5]
	v_add_co_u32_e64 v20, s[4:5], 8, v6
	v_cmp_gt_u32_e32 vcc, 8, v2
	v_addc_co_u32_e64 v21, s[4:5], 0, v7, s[4:5]
	s_and_saveexec_b64 s[4:5], vcc
	s_xor_b64 s[4:5], exec, s[4:5]
	s_cbranch_execz .LBB0_25
; %bb.20:                               ;   in Loop: Header=BB0_3 Depth=1
	v_mov_b32_e32 v16, 0
	v_mov_b32_e32 v17, 0
	v_cmp_ne_u32_e32 vcc, 0, v2
	s_and_saveexec_b64 s[12:13], vcc
	s_cbranch_execz .LBB0_24
; %bb.21:                               ;   in Loop: Header=BB0_3 Depth=1
	v_mov_b32_e32 v16, 0
	s_mov_b64 s[14:15], 0
	v_mov_b32_e32 v17, 0
	s_mov_b64 s[16:17], 0
	s_mov_b64 s[18:19], 0
.LBB0_22:                               ;   Parent Loop BB0_3 Depth=1
                                        ; =>  This Inner Loop Header: Depth=2
	v_mov_b32_e32 v0, s19
	v_add_co_u32_e32 v18, vcc, s18, v6
	v_addc_co_u32_e32 v19, vcc, v7, v0, vcc
	global_load_ubyte v0, v[18:19], off
	s_add_u32 s18, s18, 1
	v_mov_b32_e32 v19, s20
	s_addc_u32 s19, s19, 0
	v_cmp_eq_u32_e32 vcc, s18, v2
	s_waitcnt vmcnt(0)
	v_and_b32_e32 v18, 0xffff, v0
	v_lshlrev_b64 v[18:19], s16, v[18:19]
	s_add_u32 s16, s16, 8
	s_addc_u32 s17, s17, 0
	v_or_b32_e32 v17, v19, v17
	s_or_b64 s[14:15], vcc, s[14:15]
	v_or_b32_e32 v16, v18, v16
	s_andn2_b64 exec, exec, s[14:15]
	s_cbranch_execnz .LBB0_22
; %bb.23:                               ;   in Loop: Header=BB0_3 Depth=1
	s_or_b64 exec, exec, s[14:15]
.LBB0_24:                               ;   in Loop: Header=BB0_3 Depth=1
	s_or_b64 exec, exec, s[12:13]
	v_mov_b32_e32 v21, v7
	v_mov_b32_e32 v20, v6
                                        ; implicit-def: $vgpr2
.LBB0_25:                               ;   in Loop: Header=BB0_3 Depth=1
	s_or_saveexec_b64 s[4:5], s[4:5]
	v_mov_b32_e32 v0, 0
	s_xor_b64 exec, exec, s[4:5]
	s_cbranch_execz .LBB0_27
; %bb.26:                               ;   in Loop: Header=BB0_3 Depth=1
	global_load_dwordx2 v[16:17], v[6:7], off
	v_add_u32_e32 v0, -8, v2
.LBB0_27:                               ;   in Loop: Header=BB0_3 Depth=1
	s_or_b64 exec, exec, s[4:5]
	v_add_co_u32_e64 v6, s[4:5], 8, v20
	v_cmp_gt_u32_e32 vcc, 8, v0
	v_addc_co_u32_e64 v7, s[4:5], 0, v21, s[4:5]
                                        ; implicit-def: $vgpr18_vgpr19
	s_and_saveexec_b64 s[4:5], vcc
	s_xor_b64 s[4:5], exec, s[4:5]
	s_cbranch_execz .LBB0_33
; %bb.28:                               ;   in Loop: Header=BB0_3 Depth=1
	v_mov_b32_e32 v18, 0
	v_mov_b32_e32 v19, 0
	v_cmp_ne_u32_e32 vcc, 0, v0
	s_and_saveexec_b64 s[12:13], vcc
	s_cbranch_execz .LBB0_32
; %bb.29:                               ;   in Loop: Header=BB0_3 Depth=1
	v_mov_b32_e32 v18, 0
	s_mov_b64 s[14:15], 0
	v_mov_b32_e32 v19, 0
	s_mov_b64 s[16:17], 0
	s_mov_b64 s[18:19], 0
.LBB0_30:                               ;   Parent Loop BB0_3 Depth=1
                                        ; =>  This Inner Loop Header: Depth=2
	v_mov_b32_e32 v2, s19
	v_add_co_u32_e32 v6, vcc, s18, v20
	v_addc_co_u32_e32 v7, vcc, v21, v2, vcc
	global_load_ubyte v2, v[6:7], off
	s_add_u32 s18, s18, 1
	v_mov_b32_e32 v7, s20
	s_addc_u32 s19, s19, 0
	v_cmp_eq_u32_e32 vcc, s18, v0
	s_waitcnt vmcnt(0)
	v_and_b32_e32 v6, 0xffff, v2
	v_lshlrev_b64 v[6:7], s16, v[6:7]
	s_add_u32 s16, s16, 8
	s_addc_u32 s17, s17, 0
	v_or_b32_e32 v19, v7, v19
	s_or_b64 s[14:15], vcc, s[14:15]
	v_or_b32_e32 v18, v6, v18
	s_andn2_b64 exec, exec, s[14:15]
	s_cbranch_execnz .LBB0_30
; %bb.31:                               ;   in Loop: Header=BB0_3 Depth=1
	s_or_b64 exec, exec, s[14:15]
.LBB0_32:                               ;   in Loop: Header=BB0_3 Depth=1
	s_or_b64 exec, exec, s[12:13]
	v_mov_b32_e32 v6, v20
	v_mov_b32_e32 v7, v21
                                        ; implicit-def: $vgpr0
.LBB0_33:                               ;   in Loop: Header=BB0_3 Depth=1
	s_or_saveexec_b64 s[4:5], s[4:5]
	v_mov_b32_e32 v2, 0
	s_xor_b64 exec, exec, s[4:5]
	s_cbranch_execz .LBB0_35
; %bb.34:                               ;   in Loop: Header=BB0_3 Depth=1
	global_load_dwordx2 v[18:19], v[20:21], off
	v_add_u32_e32 v2, -8, v0
.LBB0_35:                               ;   in Loop: Header=BB0_3 Depth=1
	s_or_b64 exec, exec, s[4:5]
	v_add_co_u32_e64 v24, s[4:5], 8, v6
	v_cmp_gt_u32_e32 vcc, 8, v2
	v_addc_co_u32_e64 v25, s[4:5], 0, v7, s[4:5]
	s_and_saveexec_b64 s[4:5], vcc
	s_xor_b64 s[4:5], exec, s[4:5]
	s_cbranch_execz .LBB0_41
; %bb.36:                               ;   in Loop: Header=BB0_3 Depth=1
	v_mov_b32_e32 v20, 0
	v_mov_b32_e32 v21, 0
	v_cmp_ne_u32_e32 vcc, 0, v2
	s_and_saveexec_b64 s[12:13], vcc
	s_cbranch_execz .LBB0_40
; %bb.37:                               ;   in Loop: Header=BB0_3 Depth=1
	v_mov_b32_e32 v20, 0
	s_mov_b64 s[14:15], 0
	v_mov_b32_e32 v21, 0
	s_mov_b64 s[16:17], 0
	s_mov_b64 s[18:19], 0
.LBB0_38:                               ;   Parent Loop BB0_3 Depth=1
                                        ; =>  This Inner Loop Header: Depth=2
	v_mov_b32_e32 v0, s19
	v_add_co_u32_e32 v22, vcc, s18, v6
	v_addc_co_u32_e32 v23, vcc, v7, v0, vcc
	global_load_ubyte v0, v[22:23], off
	s_add_u32 s18, s18, 1
	v_mov_b32_e32 v23, s20
	s_addc_u32 s19, s19, 0
	v_cmp_eq_u32_e32 vcc, s18, v2
	s_waitcnt vmcnt(0)
	v_and_b32_e32 v22, 0xffff, v0
	v_lshlrev_b64 v[22:23], s16, v[22:23]
	s_add_u32 s16, s16, 8
	s_addc_u32 s17, s17, 0
	v_or_b32_e32 v21, v23, v21
	s_or_b64 s[14:15], vcc, s[14:15]
	v_or_b32_e32 v20, v22, v20
	s_andn2_b64 exec, exec, s[14:15]
	s_cbranch_execnz .LBB0_38
; %bb.39:                               ;   in Loop: Header=BB0_3 Depth=1
	s_or_b64 exec, exec, s[14:15]
.LBB0_40:                               ;   in Loop: Header=BB0_3 Depth=1
	s_or_b64 exec, exec, s[12:13]
	v_mov_b32_e32 v25, v7
	v_mov_b32_e32 v24, v6
                                        ; implicit-def: $vgpr2
.LBB0_41:                               ;   in Loop: Header=BB0_3 Depth=1
	s_or_saveexec_b64 s[4:5], s[4:5]
	v_mov_b32_e32 v0, 0
	s_xor_b64 exec, exec, s[4:5]
	s_cbranch_execz .LBB0_43
; %bb.42:                               ;   in Loop: Header=BB0_3 Depth=1
	global_load_dwordx2 v[20:21], v[6:7], off
	v_add_u32_e32 v0, -8, v2
.LBB0_43:                               ;   in Loop: Header=BB0_3 Depth=1
	s_or_b64 exec, exec, s[4:5]
	v_add_co_u32_e64 v6, s[4:5], 8, v24
	v_cmp_gt_u32_e32 vcc, 8, v0
	v_addc_co_u32_e64 v7, s[4:5], 0, v25, s[4:5]
                                        ; implicit-def: $vgpr22_vgpr23
	s_and_saveexec_b64 s[4:5], vcc
	s_xor_b64 s[4:5], exec, s[4:5]
	s_cbranch_execz .LBB0_49
; %bb.44:                               ;   in Loop: Header=BB0_3 Depth=1
	v_mov_b32_e32 v22, 0
	v_mov_b32_e32 v23, 0
	v_cmp_ne_u32_e32 vcc, 0, v0
	s_and_saveexec_b64 s[12:13], vcc
	s_cbranch_execz .LBB0_48
; %bb.45:                               ;   in Loop: Header=BB0_3 Depth=1
	v_mov_b32_e32 v22, 0
	s_mov_b64 s[14:15], 0
	v_mov_b32_e32 v23, 0
	s_mov_b64 s[16:17], 0
	s_mov_b64 s[18:19], 0
.LBB0_46:                               ;   Parent Loop BB0_3 Depth=1
                                        ; =>  This Inner Loop Header: Depth=2
	v_mov_b32_e32 v2, s19
	v_add_co_u32_e32 v6, vcc, s18, v24
	v_addc_co_u32_e32 v7, vcc, v25, v2, vcc
	global_load_ubyte v2, v[6:7], off
	s_add_u32 s18, s18, 1
	v_mov_b32_e32 v7, s20
	s_addc_u32 s19, s19, 0
	v_cmp_eq_u32_e32 vcc, s18, v0
	s_waitcnt vmcnt(0)
	v_and_b32_e32 v6, 0xffff, v2
	v_lshlrev_b64 v[6:7], s16, v[6:7]
	s_add_u32 s16, s16, 8
	s_addc_u32 s17, s17, 0
	v_or_b32_e32 v23, v7, v23
	s_or_b64 s[14:15], vcc, s[14:15]
	v_or_b32_e32 v22, v6, v22
	s_andn2_b64 exec, exec, s[14:15]
	s_cbranch_execnz .LBB0_46
; %bb.47:                               ;   in Loop: Header=BB0_3 Depth=1
	s_or_b64 exec, exec, s[14:15]
.LBB0_48:                               ;   in Loop: Header=BB0_3 Depth=1
	s_or_b64 exec, exec, s[12:13]
	v_mov_b32_e32 v6, v24
	v_mov_b32_e32 v7, v25
                                        ; implicit-def: $vgpr0
.LBB0_49:                               ;   in Loop: Header=BB0_3 Depth=1
	s_or_saveexec_b64 s[4:5], s[4:5]
	v_mov_b32_e32 v2, 0
	s_xor_b64 exec, exec, s[4:5]
	s_cbranch_execz .LBB0_51
; %bb.50:                               ;   in Loop: Header=BB0_3 Depth=1
	global_load_dwordx2 v[22:23], v[24:25], off
	v_add_u32_e32 v2, -8, v0
.LBB0_51:                               ;   in Loop: Header=BB0_3 Depth=1
	s_or_b64 exec, exec, s[4:5]
	v_cmp_gt_u32_e32 vcc, 8, v2
	s_and_saveexec_b64 s[4:5], vcc
	s_xor_b64 s[4:5], exec, s[4:5]
	s_cbranch_execz .LBB0_57
; %bb.52:                               ;   in Loop: Header=BB0_3 Depth=1
	v_mov_b32_e32 v24, 0
	v_mov_b32_e32 v25, 0
	v_cmp_ne_u32_e32 vcc, 0, v2
	s_and_saveexec_b64 s[12:13], vcc
	s_cbranch_execz .LBB0_56
; %bb.53:                               ;   in Loop: Header=BB0_3 Depth=1
	v_mov_b32_e32 v24, 0
	s_mov_b64 s[14:15], 0
	v_mov_b32_e32 v25, 0
	s_mov_b64 s[16:17], 0
.LBB0_54:                               ;   Parent Loop BB0_3 Depth=1
                                        ; =>  This Inner Loop Header: Depth=2
	global_load_ubyte v0, v[6:7], off
	v_mov_b32_e32 v27, s20
	v_add_co_u32_e32 v6, vcc, 1, v6
	v_add_u32_e32 v2, -1, v2
	v_addc_co_u32_e32 v7, vcc, 0, v7, vcc
	v_cmp_eq_u32_e32 vcc, 0, v2
	s_waitcnt vmcnt(0)
	v_and_b32_e32 v26, 0xffff, v0
	v_lshlrev_b64 v[26:27], s16, v[26:27]
	s_add_u32 s16, s16, 8
	s_addc_u32 s17, s17, 0
	v_or_b32_e32 v25, v27, v25
	s_or_b64 s[14:15], vcc, s[14:15]
	v_or_b32_e32 v24, v26, v24
	s_andn2_b64 exec, exec, s[14:15]
	s_cbranch_execnz .LBB0_54
; %bb.55:                               ;   in Loop: Header=BB0_3 Depth=1
	s_or_b64 exec, exec, s[14:15]
.LBB0_56:                               ;   in Loop: Header=BB0_3 Depth=1
	s_or_b64 exec, exec, s[12:13]
                                        ; implicit-def: $vgpr6_vgpr7
.LBB0_57:                               ;   in Loop: Header=BB0_3 Depth=1
	s_andn2_saveexec_b64 s[4:5], s[4:5]
	s_cbranch_execz .LBB0_59
; %bb.58:                               ;   in Loop: Header=BB0_3 Depth=1
	global_load_dwordx2 v[24:25], v[6:7], off
.LBB0_59:                               ;   in Loop: Header=BB0_3 Depth=1
	s_or_b64 exec, exec, s[4:5]
	v_readfirstlane_b32 s4, v39
	v_mov_b32_e32 v6, 0
	v_mov_b32_e32 v7, 0
	v_cmp_eq_u32_e64 s[4:5], s4, v39
	s_and_saveexec_b64 s[12:13], s[4:5]
	s_cbranch_execz .LBB0_65
; %bb.60:                               ;   in Loop: Header=BB0_3 Depth=1
	s_waitcnt lgkmcnt(0)
	global_load_dwordx2 v[28:29], v3, s[10:11] offset:24 glc
	s_waitcnt vmcnt(0)
	buffer_wbinvl1_vol
	global_load_dwordx2 v[6:7], v3, s[10:11] offset:40
	global_load_dwordx2 v[26:27], v3, s[10:11]
	s_waitcnt vmcnt(1)
	v_and_b32_e32 v0, v6, v28
	v_and_b32_e32 v2, v7, v29
	v_mul_lo_u32 v2, v2, 24
	v_mul_hi_u32 v6, v0, 24
	v_mul_lo_u32 v0, v0, 24
	v_add_u32_e32 v2, v6, v2
	s_waitcnt vmcnt(0)
	v_add_co_u32_e32 v6, vcc, v26, v0
	v_addc_co_u32_e32 v7, vcc, v27, v2, vcc
	global_load_dwordx2 v[26:27], v[6:7], off glc
	s_waitcnt vmcnt(0)
	global_atomic_cmpswap_x2 v[6:7], v3, v[26:29], s[10:11] offset:24 glc
	s_waitcnt vmcnt(0)
	buffer_wbinvl1_vol
	v_cmp_ne_u64_e32 vcc, v[6:7], v[28:29]
	s_and_saveexec_b64 s[14:15], vcc
	s_cbranch_execz .LBB0_64
; %bb.61:                               ;   in Loop: Header=BB0_3 Depth=1
	s_mov_b64 s[16:17], 0
.LBB0_62:                               ;   Parent Loop BB0_3 Depth=1
                                        ; =>  This Inner Loop Header: Depth=2
	s_sleep 1
	global_load_dwordx2 v[26:27], v3, s[10:11] offset:40
	global_load_dwordx2 v[34:35], v3, s[10:11]
	v_mov_b32_e32 v29, v7
	v_mov_b32_e32 v28, v6
	s_waitcnt vmcnt(1)
	v_and_b32_e32 v0, v26, v28
	s_waitcnt vmcnt(0)
	v_mad_u64_u32 v[6:7], s[18:19], v0, 24, v[34:35]
	v_and_b32_e32 v2, v27, v29
	v_mov_b32_e32 v0, v7
	v_mad_u64_u32 v[26:27], s[18:19], v2, 24, v[0:1]
	v_mov_b32_e32 v7, v26
	global_load_dwordx2 v[26:27], v[6:7], off glc
	s_waitcnt vmcnt(0)
	global_atomic_cmpswap_x2 v[6:7], v3, v[26:29], s[10:11] offset:24 glc
	s_waitcnt vmcnt(0)
	buffer_wbinvl1_vol
	v_cmp_eq_u64_e32 vcc, v[6:7], v[28:29]
	s_or_b64 s[16:17], vcc, s[16:17]
	s_andn2_b64 exec, exec, s[16:17]
	s_cbranch_execnz .LBB0_62
; %bb.63:                               ;   in Loop: Header=BB0_3 Depth=1
	s_or_b64 exec, exec, s[16:17]
.LBB0_64:                               ;   in Loop: Header=BB0_3 Depth=1
	s_or_b64 exec, exec, s[14:15]
.LBB0_65:                               ;   in Loop: Header=BB0_3 Depth=1
	s_or_b64 exec, exec, s[12:13]
	s_waitcnt lgkmcnt(0)
	global_load_dwordx2 v[34:35], v3, s[10:11] offset:40
	global_load_dwordx4 v[26:29], v3, s[10:11]
	v_readfirstlane_b32 s13, v7
	v_readfirstlane_b32 s12, v6
	s_mov_b64 s[14:15], exec
	s_waitcnt vmcnt(1)
	v_readfirstlane_b32 s16, v34
	v_readfirstlane_b32 s17, v35
	s_and_b64 s[16:17], s[16:17], s[12:13]
	s_mul_i32 s18, s17, 24
	s_mul_hi_u32 s19, s16, 24
	s_mul_i32 s22, s16, 24
	s_add_i32 s18, s19, s18
	v_mov_b32_e32 v0, s18
	s_waitcnt vmcnt(0)
	v_add_co_u32_e32 v34, vcc, s22, v26
	v_addc_co_u32_e32 v35, vcc, v27, v0, vcc
	s_and_saveexec_b64 s[18:19], s[4:5]
	s_cbranch_execz .LBB0_67
; %bb.66:                               ;   in Loop: Header=BB0_3 Depth=1
	v_mov_b32_e32 v6, s14
	v_mov_b32_e32 v7, s15
	global_store_dwordx4 v[34:35], v[6:9], off offset:8
.LBB0_67:                               ;   in Loop: Header=BB0_3 Depth=1
	s_or_b64 exec, exec, s[18:19]
	s_lshl_b64 s[14:15], s[16:17], 12
	v_mov_b32_e32 v2, s15
	v_add_co_u32_e32 v0, vcc, s14, v28
	v_addc_co_u32_e32 v28, vcc, v29, v2, vcc
	v_cmp_gt_u64_e32 vcc, 57, v[4:5]
	v_and_b32_e32 v7, 0xffffff1f, v10
	v_cndmask_b32_e32 v2, 0, v38, vcc
	v_lshl_add_u32 v6, v32, 2, 28
	v_or_b32_e32 v2, v7, v2
	v_and_or_b32 v10, v6, s21, v2
	v_lshlrev_b32_e32 v29, 6, v39
	v_readfirstlane_b32 s14, v0
	v_readfirstlane_b32 s15, v28
	s_nop 4
	global_store_dwordx4 v29, v[10:13], s[14:15]
	global_store_dwordx4 v29, v[14:17], s[14:15] offset:16
	global_store_dwordx4 v29, v[18:21], s[14:15] offset:32
	;; [unrolled: 1-line block ×3, first 2 shown]
	s_and_saveexec_b64 s[14:15], s[4:5]
	s_cbranch_execz .LBB0_75
; %bb.68:                               ;   in Loop: Header=BB0_3 Depth=1
	global_load_dwordx2 v[14:15], v3, s[10:11] offset:32 glc
	global_load_dwordx2 v[6:7], v3, s[10:11] offset:40
	v_mov_b32_e32 v12, s12
	v_mov_b32_e32 v13, s13
	s_waitcnt vmcnt(0)
	v_readfirstlane_b32 s16, v6
	v_readfirstlane_b32 s17, v7
	s_and_b64 s[16:17], s[16:17], s[12:13]
	s_mul_i32 s17, s17, 24
	s_mul_hi_u32 s18, s16, 24
	s_mul_i32 s16, s16, 24
	s_add_i32 s17, s18, s17
	v_mov_b32_e32 v2, s17
	v_add_co_u32_e32 v6, vcc, s16, v26
	v_addc_co_u32_e32 v7, vcc, v27, v2, vcc
	global_store_dwordx2 v[6:7], v[14:15], off
	s_waitcnt vmcnt(0)
	global_atomic_cmpswap_x2 v[12:13], v3, v[12:15], s[10:11] offset:32 glc
	s_waitcnt vmcnt(0)
	v_cmp_ne_u64_e32 vcc, v[12:13], v[14:15]
	s_and_saveexec_b64 s[16:17], vcc
	s_cbranch_execz .LBB0_71
; %bb.69:                               ;   in Loop: Header=BB0_3 Depth=1
	s_mov_b64 s[18:19], 0
.LBB0_70:                               ;   Parent Loop BB0_3 Depth=1
                                        ; =>  This Inner Loop Header: Depth=2
	s_sleep 1
	global_store_dwordx2 v[6:7], v[12:13], off
	v_mov_b32_e32 v10, s12
	v_mov_b32_e32 v11, s13
	s_waitcnt vmcnt(0)
	global_atomic_cmpswap_x2 v[10:11], v3, v[10:13], s[10:11] offset:32 glc
	s_waitcnt vmcnt(0)
	v_cmp_eq_u64_e32 vcc, v[10:11], v[12:13]
	v_mov_b32_e32 v13, v11
	s_or_b64 s[18:19], vcc, s[18:19]
	v_mov_b32_e32 v12, v10
	s_andn2_b64 exec, exec, s[18:19]
	s_cbranch_execnz .LBB0_70
.LBB0_71:                               ;   in Loop: Header=BB0_3 Depth=1
	s_or_b64 exec, exec, s[16:17]
	global_load_dwordx2 v[6:7], v3, s[10:11] offset:16
	s_mov_b64 s[18:19], exec
	v_mbcnt_lo_u32_b32 v2, s18, 0
	v_mbcnt_hi_u32_b32 v2, s19, v2
	v_cmp_eq_u32_e32 vcc, 0, v2
	s_and_saveexec_b64 s[16:17], vcc
	s_cbranch_execz .LBB0_73
; %bb.72:                               ;   in Loop: Header=BB0_3 Depth=1
	s_bcnt1_i32_b64 s18, s[18:19]
	v_mov_b32_e32 v2, s18
	s_waitcnt vmcnt(0)
	global_atomic_add_x2 v[6:7], v[2:3], off offset:8
.LBB0_73:                               ;   in Loop: Header=BB0_3 Depth=1
	s_or_b64 exec, exec, s[16:17]
	s_waitcnt vmcnt(0)
	global_load_dwordx2 v[10:11], v[6:7], off offset:16
	s_waitcnt vmcnt(0)
	v_cmp_eq_u64_e32 vcc, 0, v[10:11]
	s_cbranch_vccnz .LBB0_75
; %bb.74:                               ;   in Loop: Header=BB0_3 Depth=1
	global_load_dword v2, v[6:7], off offset:24
	s_waitcnt vmcnt(0)
	v_readfirstlane_b32 s16, v2
	s_and_b32 m0, s16, 0xffffff
	global_store_dwordx2 v[10:11], v[2:3], off
	s_sendmsg sendmsg(MSG_INTERRUPT)
.LBB0_75:                               ;   in Loop: Header=BB0_3 Depth=1
	s_or_b64 exec, exec, s[14:15]
	v_add_co_u32_e32 v6, vcc, v0, v29
	v_addc_co_u32_e32 v7, vcc, 0, v28, vcc
	s_branch .LBB0_79
.LBB0_76:                               ;   in Loop: Header=BB0_79 Depth=2
	s_or_b64 exec, exec, s[14:15]
	v_readfirstlane_b32 s14, v0
	s_cmp_eq_u32 s14, 0
	s_cbranch_scc1 .LBB0_78
; %bb.77:                               ;   in Loop: Header=BB0_79 Depth=2
	s_sleep 1
	s_cbranch_execnz .LBB0_79
	s_branch .LBB0_81
.LBB0_78:                               ;   in Loop: Header=BB0_3 Depth=1
	s_branch .LBB0_81
.LBB0_79:                               ;   Parent Loop BB0_3 Depth=1
                                        ; =>  This Inner Loop Header: Depth=2
	v_mov_b32_e32 v0, 1
	s_and_saveexec_b64 s[14:15], s[4:5]
	s_cbranch_execz .LBB0_76
; %bb.80:                               ;   in Loop: Header=BB0_79 Depth=2
	global_load_dword v0, v[34:35], off offset:20 glc
	s_waitcnt vmcnt(0)
	buffer_wbinvl1_vol
	v_and_b32_e32 v0, 1, v0
	s_branch .LBB0_76
.LBB0_81:                               ;   in Loop: Header=BB0_3 Depth=1
	global_load_dwordx4 v[10:13], v[6:7], off
	s_and_saveexec_b64 s[14:15], s[4:5]
	s_cbranch_execz .LBB0_2
; %bb.82:                               ;   in Loop: Header=BB0_3 Depth=1
	global_load_dwordx2 v[6:7], v3, s[10:11] offset:40
	global_load_dwordx2 v[16:17], v3, s[10:11] offset:24 glc
	global_load_dwordx2 v[12:13], v3, s[10:11]
	s_waitcnt vmcnt(2)
	v_readfirstlane_b32 s16, v6
	v_readfirstlane_b32 s17, v7
	s_add_u32 s18, s16, 1
	s_addc_u32 s19, s17, 0
	s_add_u32 s4, s18, s12
	s_addc_u32 s5, s19, s13
	s_cmp_eq_u64 s[4:5], 0
	s_cselect_b32 s5, s19, s5
	s_cselect_b32 s4, s18, s4
	s_and_b64 s[12:13], s[4:5], s[16:17]
	s_mul_i32 s13, s13, 24
	s_mul_hi_u32 s16, s12, 24
	s_mul_i32 s12, s12, 24
	s_add_i32 s13, s16, s13
	v_mov_b32_e32 v0, s13
	s_waitcnt vmcnt(0)
	v_add_co_u32_e32 v6, vcc, s12, v12
	v_addc_co_u32_e32 v7, vcc, v13, v0, vcc
	v_mov_b32_e32 v14, s4
	global_store_dwordx2 v[6:7], v[16:17], off
	v_mov_b32_e32 v15, s5
	s_waitcnt vmcnt(0)
	global_atomic_cmpswap_x2 v[14:15], v3, v[14:17], s[10:11] offset:24 glc
	s_waitcnt vmcnt(0)
	v_cmp_ne_u64_e32 vcc, v[14:15], v[16:17]
	s_and_b64 exec, exec, vcc
	s_cbranch_execz .LBB0_2
; %bb.83:                               ;   in Loop: Header=BB0_3 Depth=1
	s_mov_b64 s[12:13], 0
.LBB0_84:                               ;   Parent Loop BB0_3 Depth=1
                                        ; =>  This Inner Loop Header: Depth=2
	s_sleep 1
	global_store_dwordx2 v[6:7], v[14:15], off
	v_mov_b32_e32 v12, s4
	v_mov_b32_e32 v13, s5
	s_waitcnt vmcnt(0)
	global_atomic_cmpswap_x2 v[12:13], v3, v[12:15], s[10:11] offset:24 glc
	s_waitcnt vmcnt(0)
	v_cmp_eq_u64_e32 vcc, v[12:13], v[14:15]
	v_mov_b32_e32 v15, v13
	s_or_b64 s[12:13], vcc, s[12:13]
	v_mov_b32_e32 v14, v12
	s_andn2_b64 exec, exec, s[12:13]
	s_cbranch_execnz .LBB0_84
	s_branch .LBB0_2
.LBB0_85:
	s_or_b64 exec, exec, s[6:7]
	s_branch .LBB0_113
.LBB0_86:
	s_load_dwordx2 s[6:7], s[8:9], 0x50
	v_mbcnt_hi_u32_b32 v3, -1, v37
	v_readfirstlane_b32 s4, v3
	v_mov_b32_e32 v8, 0
	v_mov_b32_e32 v9, 0
	v_cmp_eq_u32_e64 s[4:5], s4, v3
	s_and_saveexec_b64 s[8:9], s[4:5]
	s_cbranch_execz .LBB0_92
; %bb.87:
	v_mov_b32_e32 v0, 0
	s_waitcnt lgkmcnt(0)
	global_load_dwordx2 v[6:7], v0, s[6:7] offset:24 glc
	s_waitcnt vmcnt(0)
	buffer_wbinvl1_vol
	global_load_dwordx2 v[4:5], v0, s[6:7] offset:40
	global_load_dwordx2 v[8:9], v0, s[6:7]
	s_waitcnt vmcnt(1)
	v_and_b32_e32 v2, v4, v6
	v_and_b32_e32 v4, v5, v7
	v_mul_lo_u32 v4, v4, 24
	v_mul_hi_u32 v5, v2, 24
	v_mul_lo_u32 v2, v2, 24
	v_add_u32_e32 v5, v5, v4
	s_waitcnt vmcnt(0)
	v_add_co_u32_e32 v4, vcc, v8, v2
	v_addc_co_u32_e32 v5, vcc, v9, v5, vcc
	global_load_dwordx2 v[4:5], v[4:5], off glc
	s_waitcnt vmcnt(0)
	global_atomic_cmpswap_x2 v[8:9], v0, v[4:7], s[6:7] offset:24 glc
	s_waitcnt vmcnt(0)
	buffer_wbinvl1_vol
	v_cmp_ne_u64_e32 vcc, v[8:9], v[6:7]
	s_and_saveexec_b64 s[10:11], vcc
	s_cbranch_execz .LBB0_91
; %bb.88:
	s_mov_b64 s[12:13], 0
.LBB0_89:                               ; =>This Inner Loop Header: Depth=1
	s_sleep 1
	global_load_dwordx2 v[4:5], v0, s[6:7] offset:40
	global_load_dwordx2 v[10:11], v0, s[6:7]
	v_mov_b32_e32 v6, v8
	v_mov_b32_e32 v7, v9
	s_waitcnt vmcnt(1)
	v_and_b32_e32 v2, v4, v6
	s_waitcnt vmcnt(0)
	v_mad_u64_u32 v[8:9], s[14:15], v2, 24, v[10:11]
	v_and_b32_e32 v4, v5, v7
	v_mov_b32_e32 v2, v9
	v_mad_u64_u32 v[4:5], s[14:15], v4, 24, v[2:3]
	v_mov_b32_e32 v9, v4
	global_load_dwordx2 v[4:5], v[8:9], off glc
	s_waitcnt vmcnt(0)
	global_atomic_cmpswap_x2 v[8:9], v0, v[4:7], s[6:7] offset:24 glc
	s_waitcnt vmcnt(0)
	buffer_wbinvl1_vol
	v_cmp_eq_u64_e32 vcc, v[8:9], v[6:7]
	s_or_b64 s[12:13], vcc, s[12:13]
	s_andn2_b64 exec, exec, s[12:13]
	s_cbranch_execnz .LBB0_89
; %bb.90:
	s_or_b64 exec, exec, s[12:13]
.LBB0_91:
	s_or_b64 exec, exec, s[10:11]
.LBB0_92:
	s_or_b64 exec, exec, s[8:9]
	v_mov_b32_e32 v2, 0
	s_waitcnt lgkmcnt(0)
	global_load_dwordx2 v[10:11], v2, s[6:7] offset:40
	global_load_dwordx4 v[4:7], v2, s[6:7]
	v_readfirstlane_b32 s9, v9
	v_readfirstlane_b32 s8, v8
	s_mov_b64 s[10:11], exec
	s_waitcnt vmcnt(1)
	v_readfirstlane_b32 s12, v10
	v_readfirstlane_b32 s13, v11
	s_and_b64 s[12:13], s[12:13], s[8:9]
	s_mul_i32 s14, s13, 24
	s_mul_hi_u32 s15, s12, 24
	s_mul_i32 s16, s12, 24
	s_add_i32 s14, s15, s14
	v_mov_b32_e32 v0, s14
	s_waitcnt vmcnt(0)
	v_add_co_u32_e32 v8, vcc, s16, v4
	v_addc_co_u32_e32 v9, vcc, v5, v0, vcc
	s_and_saveexec_b64 s[14:15], s[4:5]
	s_cbranch_execz .LBB0_94
; %bb.93:
	v_mov_b32_e32 v10, s10
	v_mov_b32_e32 v11, s11
	;; [unrolled: 1-line block ×4, first 2 shown]
	global_store_dwordx4 v[8:9], v[10:13], off offset:8
.LBB0_94:
	s_or_b64 exec, exec, s[14:15]
	s_lshl_b64 s[10:11], s[12:13], 12
	v_mov_b32_e32 v0, s11
	v_add_co_u32_e32 v6, vcc, s10, v6
	v_addc_co_u32_e32 v7, vcc, v7, v0, vcc
	s_movk_i32 s10, 0xff1f
	v_and_or_b32 v0, v36, s10, 32
	v_lshlrev_b32_e32 v10, 6, v3
	s_mov_b32 s12, 0
	v_mov_b32_e32 v3, v2
	v_readfirstlane_b32 s10, v6
	v_readfirstlane_b32 s11, v7
	s_mov_b32 s13, s12
	s_mov_b32 s14, s12
	;; [unrolled: 1-line block ×3, first 2 shown]
	s_nop 1
	global_store_dwordx4 v10, v[0:3], s[10:11]
	s_nop 0
	v_mov_b32_e32 v0, s12
	v_mov_b32_e32 v1, s13
	;; [unrolled: 1-line block ×4, first 2 shown]
	global_store_dwordx4 v10, v[0:3], s[10:11] offset:16
	global_store_dwordx4 v10, v[0:3], s[10:11] offset:32
	;; [unrolled: 1-line block ×3, first 2 shown]
	s_and_saveexec_b64 s[10:11], s[4:5]
	s_cbranch_execz .LBB0_102
; %bb.95:
	v_mov_b32_e32 v6, 0
	global_load_dwordx2 v[12:13], v6, s[6:7] offset:32 glc
	global_load_dwordx2 v[0:1], v6, s[6:7] offset:40
	v_mov_b32_e32 v10, s8
	v_mov_b32_e32 v11, s9
	s_waitcnt vmcnt(0)
	v_and_b32_e32 v0, s8, v0
	v_and_b32_e32 v1, s9, v1
	v_mul_lo_u32 v1, v1, 24
	v_mul_hi_u32 v2, v0, 24
	v_mul_lo_u32 v0, v0, 24
	v_add_u32_e32 v1, v2, v1
	v_add_co_u32_e32 v4, vcc, v4, v0
	v_addc_co_u32_e32 v5, vcc, v5, v1, vcc
	global_store_dwordx2 v[4:5], v[12:13], off
	s_waitcnt vmcnt(0)
	global_atomic_cmpswap_x2 v[2:3], v6, v[10:13], s[6:7] offset:32 glc
	s_waitcnt vmcnt(0)
	v_cmp_ne_u64_e32 vcc, v[2:3], v[12:13]
	s_and_saveexec_b64 s[12:13], vcc
	s_cbranch_execz .LBB0_98
; %bb.96:
	s_mov_b64 s[14:15], 0
.LBB0_97:                               ; =>This Inner Loop Header: Depth=1
	s_sleep 1
	global_store_dwordx2 v[4:5], v[2:3], off
	v_mov_b32_e32 v0, s8
	v_mov_b32_e32 v1, s9
	s_waitcnt vmcnt(0)
	global_atomic_cmpswap_x2 v[0:1], v6, v[0:3], s[6:7] offset:32 glc
	s_waitcnt vmcnt(0)
	v_cmp_eq_u64_e32 vcc, v[0:1], v[2:3]
	v_mov_b32_e32 v3, v1
	s_or_b64 s[14:15], vcc, s[14:15]
	v_mov_b32_e32 v2, v0
	s_andn2_b64 exec, exec, s[14:15]
	s_cbranch_execnz .LBB0_97
.LBB0_98:
	s_or_b64 exec, exec, s[12:13]
	v_mov_b32_e32 v3, 0
	global_load_dwordx2 v[0:1], v3, s[6:7] offset:16
	s_mov_b64 s[12:13], exec
	v_mbcnt_lo_u32_b32 v2, s12, 0
	v_mbcnt_hi_u32_b32 v2, s13, v2
	v_cmp_eq_u32_e32 vcc, 0, v2
	s_and_saveexec_b64 s[14:15], vcc
	s_cbranch_execz .LBB0_100
; %bb.99:
	s_bcnt1_i32_b64 s12, s[12:13]
	v_mov_b32_e32 v2, s12
	s_waitcnt vmcnt(0)
	global_atomic_add_x2 v[0:1], v[2:3], off offset:8
.LBB0_100:
	s_or_b64 exec, exec, s[14:15]
	s_waitcnt vmcnt(0)
	global_load_dwordx2 v[2:3], v[0:1], off offset:16
	s_waitcnt vmcnt(0)
	v_cmp_eq_u64_e32 vcc, 0, v[2:3]
	s_cbranch_vccnz .LBB0_102
; %bb.101:
	global_load_dword v0, v[0:1], off offset:24
	v_mov_b32_e32 v1, 0
	s_waitcnt vmcnt(0)
	v_readfirstlane_b32 s12, v0
	s_and_b32 m0, s12, 0xffffff
	global_store_dwordx2 v[2:3], v[0:1], off
	s_sendmsg sendmsg(MSG_INTERRUPT)
.LBB0_102:
	s_or_b64 exec, exec, s[10:11]
	s_branch .LBB0_106
.LBB0_103:                              ;   in Loop: Header=BB0_106 Depth=1
	s_or_b64 exec, exec, s[10:11]
	v_readfirstlane_b32 s10, v0
	s_cmp_eq_u32 s10, 0
	s_cbranch_scc1 .LBB0_105
; %bb.104:                              ;   in Loop: Header=BB0_106 Depth=1
	s_sleep 1
	s_cbranch_execnz .LBB0_106
	s_branch .LBB0_108
.LBB0_105:
	s_branch .LBB0_108
.LBB0_106:                              ; =>This Inner Loop Header: Depth=1
	v_mov_b32_e32 v0, 1
	s_and_saveexec_b64 s[10:11], s[4:5]
	s_cbranch_execz .LBB0_103
; %bb.107:                              ;   in Loop: Header=BB0_106 Depth=1
	global_load_dword v0, v[8:9], off offset:20 glc
	s_waitcnt vmcnt(0)
	buffer_wbinvl1_vol
	v_and_b32_e32 v0, 1, v0
	s_branch .LBB0_103
.LBB0_108:
	s_and_saveexec_b64 s[10:11], s[4:5]
	s_cbranch_execz .LBB0_111
; %bb.109:
	v_mov_b32_e32 v6, 0
	global_load_dwordx2 v[0:1], v6, s[6:7] offset:40
	global_load_dwordx2 v[9:10], v6, s[6:7] offset:24 glc
	global_load_dwordx2 v[2:3], v6, s[6:7]
	s_waitcnt vmcnt(2)
	v_readfirstlane_b32 s12, v0
	v_readfirstlane_b32 s13, v1
	s_add_u32 s14, s12, 1
	s_addc_u32 s15, s13, 0
	s_add_u32 s4, s14, s8
	s_addc_u32 s5, s15, s9
	s_cmp_eq_u64 s[4:5], 0
	s_cselect_b32 s5, s15, s5
	s_cselect_b32 s4, s14, s4
	s_and_b64 s[8:9], s[4:5], s[12:13]
	s_mul_i32 s9, s9, 24
	s_mul_hi_u32 s12, s8, 24
	s_mul_i32 s8, s8, 24
	s_add_i32 s9, s12, s9
	v_mov_b32_e32 v0, s9
	s_waitcnt vmcnt(0)
	v_add_co_u32_e32 v4, vcc, s8, v2
	v_addc_co_u32_e32 v5, vcc, v3, v0, vcc
	v_mov_b32_e32 v7, s4
	global_store_dwordx2 v[4:5], v[9:10], off
	v_mov_b32_e32 v8, s5
	s_waitcnt vmcnt(0)
	global_atomic_cmpswap_x2 v[2:3], v6, v[7:10], s[6:7] offset:24 glc
	s_mov_b64 s[8:9], 0
	s_waitcnt vmcnt(0)
	v_cmp_ne_u64_e32 vcc, v[2:3], v[9:10]
	s_and_b64 exec, exec, vcc
	s_cbranch_execz .LBB0_111
.LBB0_110:                              ; =>This Inner Loop Header: Depth=1
	s_sleep 1
	global_store_dwordx2 v[4:5], v[2:3], off
	v_mov_b32_e32 v0, s4
	v_mov_b32_e32 v1, s5
	s_waitcnt vmcnt(0)
	global_atomic_cmpswap_x2 v[0:1], v6, v[0:3], s[6:7] offset:24 glc
	s_waitcnt vmcnt(0)
	v_cmp_eq_u64_e32 vcc, v[0:1], v[2:3]
	v_mov_b32_e32 v3, v1
	s_or_b64 s[8:9], vcc, s[8:9]
	v_mov_b32_e32 v2, v0
	s_andn2_b64 exec, exec, s[8:9]
	s_cbranch_execnz .LBB0_110
.LBB0_111:
	s_or_b64 exec, exec, s[10:11]
	s_waitcnt vmcnt(0) lgkmcnt(0)
	s_setpc_b64 s[30:31]
.LBB0_112:
	s_cbranch_execnz .LBB0_86
.LBB0_113:
	s_waitcnt vmcnt(0) lgkmcnt(0)
	s_setpc_b64 s[30:31]
.Lfunc_end0:
	.size	__ockl_fprintf_append_string_n, .Lfunc_end0-__ockl_fprintf_append_string_n
                                        ; -- End function
	.set .L__ockl_fprintf_append_string_n.num_vgpr, 40
	.set .L__ockl_fprintf_append_string_n.num_agpr, 0
	.set .L__ockl_fprintf_append_string_n.numbered_sgpr, 32
	.set .L__ockl_fprintf_append_string_n.num_named_barrier, 0
	.set .L__ockl_fprintf_append_string_n.private_seg_size, 0
	.set .L__ockl_fprintf_append_string_n.uses_vcc, 1
	.set .L__ockl_fprintf_append_string_n.uses_flat_scratch, 0
	.set .L__ockl_fprintf_append_string_n.has_dyn_sized_stack, 0
	.set .L__ockl_fprintf_append_string_n.has_recursion, 0
	.set .L__ockl_fprintf_append_string_n.has_indirect_call, 0
	.section	.AMDGPU.csdata,"",@progbits
; Function info:
; codeLenInByte = 3900
; TotalNumSgprs: 36
; NumVgprs: 40
; ScratchSize: 0
; MemoryBound: 0
	.text
	.p2align	2                               ; -- Begin function __assert_fail
	.type	__assert_fail,@function
__assert_fail:                          ; @__assert_fail
; %bb.0:
	s_waitcnt vmcnt(0) expcnt(0) lgkmcnt(0)
	s_mov_b32 s25, s33
	s_mov_b32 s33, s32
	s_or_saveexec_b64 s[4:5], -1
	buffer_store_dword v40, off, s[0:3], s33 offset:48 ; 4-byte Folded Spill
	s_mov_b64 exec, s[4:5]
	v_writelane_b32 v40, s30, 0
	s_addk_i32 s32, 0x1000
	v_writelane_b32 v40, s31, 1
	v_mov_b32_e32 v8, 0
	s_getpc_b64 s[4:5]
	s_add_u32 s4, s4, __const.__assert_fail.fmt@rel32@lo+35
	s_addc_u32 s5, s5, __const.__assert_fail.fmt@rel32@hi+43
	v_mov_b32_e32 v5, v1
	v_mov_b32_e32 v4, v0
	global_load_dwordx4 v[0:3], v8, s[4:5]
	s_getpc_b64 s[16:17]
	s_add_u32 s16, s16, __const.__assert_fail.fmt@rel32@lo+4
	s_addc_u32 s17, s17, __const.__assert_fail.fmt@rel32@hi+12
	s_getpc_b64 s[18:19]
	s_add_u32 s18, s18, __const.__assert_fail.fmt@rel32@lo+20
	s_addc_u32 s19, s19, __const.__assert_fail.fmt@rel32@hi+28
	v_mbcnt_lo_u32_b32 v9, -1, 0
	s_load_dwordx4 s[4:7], s[16:17], 0x0
	s_load_dwordx4 s[12:15], s[18:19], 0x0
	s_load_dwordx2 s[10:11], s[8:9], 0x50
	v_mbcnt_hi_u32_b32 v34, -1, v9
	v_mov_b32_e32 v6, 0
	v_readfirstlane_b32 s16, v34
	v_mov_b32_e32 v7, 0
	s_waitcnt lgkmcnt(0)
	v_mov_b32_e32 v9, s7
	v_mov_b32_e32 v11, s5
	;; [unrolled: 1-line block ×3, first 2 shown]
	v_cmp_eq_u32_e64 s[4:5], s16, v34
	v_mov_b32_e32 v10, s6
	v_mov_b32_e32 v13, s15
	;; [unrolled: 1-line block ×5, first 2 shown]
	buffer_store_dword v9, off, s[0:3], s33 offset:12
	buffer_store_dword v10, off, s[0:3], s33 offset:8
	buffer_store_dword v11, off, s[0:3], s33 offset:4
	buffer_store_dword v12, off, s[0:3], s33
	buffer_store_dword v13, off, s[0:3], s33 offset:28
	buffer_store_dword v14, off, s[0:3], s33 offset:24
	;; [unrolled: 1-line block ×4, first 2 shown]
	s_waitcnt vmcnt(8)
	buffer_store_dword v3, off, s[0:3], s33 offset:43
	buffer_store_dword v2, off, s[0:3], s33 offset:39
	;; [unrolled: 1-line block ×4, first 2 shown]
	s_and_saveexec_b64 s[6:7], s[4:5]
	s_cbranch_execz .LBB1_6
; %bb.1:
	global_load_dwordx2 v[2:3], v8, s[10:11] offset:24 glc
	s_waitcnt vmcnt(0)
	buffer_wbinvl1_vol
	global_load_dwordx2 v[0:1], v8, s[10:11] offset:40
	global_load_dwordx2 v[6:7], v8, s[10:11]
	s_waitcnt vmcnt(1)
	v_and_b32_e32 v0, v0, v2
	v_and_b32_e32 v1, v1, v3
	v_mul_lo_u32 v1, v1, 24
	v_mul_hi_u32 v9, v0, 24
	v_mul_lo_u32 v0, v0, 24
	v_add_u32_e32 v1, v9, v1
	s_waitcnt vmcnt(0)
	v_add_co_u32_e32 v0, vcc, v6, v0
	v_addc_co_u32_e32 v1, vcc, v7, v1, vcc
	global_load_dwordx2 v[0:1], v[0:1], off glc
	s_waitcnt vmcnt(0)
	global_atomic_cmpswap_x2 v[6:7], v8, v[0:3], s[10:11] offset:24 glc
	s_waitcnt vmcnt(0)
	buffer_wbinvl1_vol
	v_cmp_ne_u64_e32 vcc, v[6:7], v[2:3]
	s_and_saveexec_b64 s[12:13], vcc
	s_cbranch_execz .LBB1_5
; %bb.2:
	s_mov_b64 s[14:15], 0
	v_mov_b32_e32 v0, 0
.LBB1_3:                                ; =>This Inner Loop Header: Depth=1
	s_sleep 1
	global_load_dwordx2 v[1:2], v0, s[10:11] offset:40
	global_load_dwordx2 v[9:10], v0, s[10:11]
	v_mov_b32_e32 v12, v7
	v_mov_b32_e32 v11, v6
	s_waitcnt vmcnt(1)
	v_and_b32_e32 v1, v1, v11
	s_waitcnt vmcnt(0)
	v_mad_u64_u32 v[6:7], s[16:17], v1, 24, v[9:10]
	v_and_b32_e32 v2, v2, v12
	v_mov_b32_e32 v1, v7
	v_mad_u64_u32 v[1:2], s[16:17], v2, 24, v[1:2]
	v_mov_b32_e32 v7, v1
	global_load_dwordx2 v[9:10], v[6:7], off glc
	s_waitcnt vmcnt(0)
	global_atomic_cmpswap_x2 v[6:7], v0, v[9:12], s[10:11] offset:24 glc
	s_waitcnt vmcnt(0)
	buffer_wbinvl1_vol
	v_cmp_eq_u64_e32 vcc, v[6:7], v[11:12]
	s_or_b64 s[14:15], vcc, s[14:15]
	s_andn2_b64 exec, exec, s[14:15]
	s_cbranch_execnz .LBB1_3
; %bb.4:
	s_or_b64 exec, exec, s[14:15]
.LBB1_5:
	s_or_b64 exec, exec, s[12:13]
.LBB1_6:
	s_or_b64 exec, exec, s[6:7]
	global_load_dwordx2 v[9:10], v8, s[10:11] offset:40
	global_load_dwordx4 v[0:3], v8, s[10:11]
	v_readfirstlane_b32 s7, v7
	v_readfirstlane_b32 s6, v6
	s_mov_b64 s[12:13], exec
	s_waitcnt vmcnt(1)
	v_readfirstlane_b32 s14, v9
	v_readfirstlane_b32 s15, v10
	s_and_b64 s[14:15], s[14:15], s[6:7]
	s_mul_i32 s16, s15, 24
	s_mul_hi_u32 s17, s14, 24
	s_mul_i32 s18, s14, 24
	s_add_i32 s16, s17, s16
	v_mov_b32_e32 v6, s16
	s_waitcnt vmcnt(0)
	v_add_co_u32_e32 v10, vcc, s18, v0
	v_addc_co_u32_e32 v11, vcc, v1, v6, vcc
	s_and_saveexec_b64 s[16:17], s[4:5]
	s_cbranch_execz .LBB1_8
; %bb.7:
	v_mov_b32_e32 v6, s12
	v_mov_b32_e32 v7, s13
	;; [unrolled: 1-line block ×4, first 2 shown]
	global_store_dwordx4 v[10:11], v[6:9], off offset:8
.LBB1_8:
	s_or_b64 exec, exec, s[16:17]
	s_lshl_b64 s[12:13], s[14:15], 12
	v_mov_b32_e32 v6, s13
	v_add_co_u32_e32 v2, vcc, s12, v2
	s_mov_b32 s12, 0
	v_addc_co_u32_e32 v3, vcc, v3, v6, vcc
	v_lshlrev_b32_e32 v35, 6, v34
	s_mov_b32 s15, s12
	v_mov_b32_e32 v7, 0
	v_add_co_u32_e32 v12, vcc, v2, v35
	s_mov_b32 s13, s12
	s_mov_b32 s14, s12
	v_mov_b32_e32 v17, s15
	v_addc_co_u32_e32 v13, vcc, 0, v3, vcc
	v_mov_b32_e32 v6, 33
	v_mov_b32_e32 v8, 1
	;; [unrolled: 1-line block ×3, first 2 shown]
	v_readfirstlane_b32 s16, v2
	v_readfirstlane_b32 s17, v3
	v_mov_b32_e32 v16, s14
	v_mov_b32_e32 v15, s13
	;; [unrolled: 1-line block ×3, first 2 shown]
	s_nop 1
	global_store_dwordx4 v35, v[6:9], s[16:17]
	global_store_dwordx4 v35, v[14:17], s[16:17] offset:16
	global_store_dwordx4 v35, v[14:17], s[16:17] offset:32
	;; [unrolled: 1-line block ×3, first 2 shown]
	s_and_saveexec_b64 s[12:13], s[4:5]
	s_cbranch_execz .LBB1_16
; %bb.9:
	global_load_dwordx2 v[16:17], v7, s[10:11] offset:32 glc
	global_load_dwordx2 v[2:3], v7, s[10:11] offset:40
	v_mov_b32_e32 v14, s6
	v_mov_b32_e32 v15, s7
	s_waitcnt vmcnt(0)
	v_and_b32_e32 v2, s6, v2
	v_and_b32_e32 v3, s7, v3
	v_mul_lo_u32 v3, v3, 24
	v_mul_hi_u32 v6, v2, 24
	v_mul_lo_u32 v2, v2, 24
	v_add_u32_e32 v3, v6, v3
	v_add_co_u32_e32 v8, vcc, v0, v2
	v_addc_co_u32_e32 v9, vcc, v1, v3, vcc
	global_store_dwordx2 v[8:9], v[16:17], off
	s_waitcnt vmcnt(0)
	global_atomic_cmpswap_x2 v[2:3], v7, v[14:17], s[10:11] offset:32 glc
	s_waitcnt vmcnt(0)
	v_cmp_ne_u64_e32 vcc, v[2:3], v[16:17]
	s_and_saveexec_b64 s[14:15], vcc
	s_cbranch_execz .LBB1_12
; %bb.10:
	s_mov_b64 s[16:17], 0
	v_mov_b32_e32 v6, 0
.LBB1_11:                               ; =>This Inner Loop Header: Depth=1
	s_sleep 1
	global_store_dwordx2 v[8:9], v[2:3], off
	v_mov_b32_e32 v0, s6
	v_mov_b32_e32 v1, s7
	s_waitcnt vmcnt(0)
	global_atomic_cmpswap_x2 v[0:1], v6, v[0:3], s[10:11] offset:32 glc
	s_waitcnt vmcnt(0)
	v_cmp_eq_u64_e32 vcc, v[0:1], v[2:3]
	v_mov_b32_e32 v3, v1
	s_or_b64 s[16:17], vcc, s[16:17]
	v_mov_b32_e32 v2, v0
	s_andn2_b64 exec, exec, s[16:17]
	s_cbranch_execnz .LBB1_11
.LBB1_12:
	s_or_b64 exec, exec, s[14:15]
	v_mov_b32_e32 v3, 0
	global_load_dwordx2 v[0:1], v3, s[10:11] offset:16
	s_mov_b64 s[14:15], exec
	v_mbcnt_lo_u32_b32 v2, s14, 0
	v_mbcnt_hi_u32_b32 v2, s15, v2
	v_cmp_eq_u32_e32 vcc, 0, v2
	s_and_saveexec_b64 s[16:17], vcc
	s_cbranch_execz .LBB1_14
; %bb.13:
	s_bcnt1_i32_b64 s14, s[14:15]
	v_mov_b32_e32 v2, s14
	s_waitcnt vmcnt(0)
	global_atomic_add_x2 v[0:1], v[2:3], off offset:8
.LBB1_14:
	s_or_b64 exec, exec, s[16:17]
	s_waitcnt vmcnt(0)
	global_load_dwordx2 v[2:3], v[0:1], off offset:16
	s_waitcnt vmcnt(0)
	v_cmp_eq_u64_e32 vcc, 0, v[2:3]
	s_cbranch_vccnz .LBB1_16
; %bb.15:
	global_load_dword v0, v[0:1], off offset:24
	v_mov_b32_e32 v1, 0
	s_waitcnt vmcnt(0)
	v_readfirstlane_b32 s14, v0
	s_and_b32 m0, s14, 0xffffff
	global_store_dwordx2 v[2:3], v[0:1], off
	s_sendmsg sendmsg(MSG_INTERRUPT)
.LBB1_16:
	s_or_b64 exec, exec, s[12:13]
	s_branch .LBB1_20
.LBB1_17:                               ;   in Loop: Header=BB1_20 Depth=1
	s_or_b64 exec, exec, s[12:13]
	v_readfirstlane_b32 s12, v0
	s_cmp_eq_u32 s12, 0
	s_cbranch_scc1 .LBB1_19
; %bb.18:                               ;   in Loop: Header=BB1_20 Depth=1
	s_sleep 1
	s_cbranch_execnz .LBB1_20
	s_branch .LBB1_22
.LBB1_19:
	s_branch .LBB1_22
.LBB1_20:                               ; =>This Inner Loop Header: Depth=1
	v_mov_b32_e32 v0, 1
	s_and_saveexec_b64 s[12:13], s[4:5]
	s_cbranch_execz .LBB1_17
; %bb.21:                               ;   in Loop: Header=BB1_20 Depth=1
	global_load_dword v0, v[10:11], off offset:20 glc
	s_waitcnt vmcnt(0)
	buffer_wbinvl1_vol
	v_and_b32_e32 v0, 1, v0
	s_branch .LBB1_17
.LBB1_22:
	global_load_dwordx2 v[6:7], v[12:13], off
	s_and_saveexec_b64 s[12:13], s[4:5]
	s_cbranch_execz .LBB1_25
; %bb.23:
	v_mov_b32_e32 v10, 0
	global_load_dwordx2 v[0:1], v10, s[10:11] offset:40
	global_load_dwordx2 v[13:14], v10, s[10:11] offset:24 glc
	global_load_dwordx2 v[2:3], v10, s[10:11]
	s_waitcnt vmcnt(2)
	v_readfirstlane_b32 s14, v0
	v_readfirstlane_b32 s15, v1
	s_add_u32 s16, s14, 1
	s_addc_u32 s17, s15, 0
	s_add_u32 s4, s16, s6
	s_addc_u32 s5, s17, s7
	s_cmp_eq_u64 s[4:5], 0
	s_cselect_b32 s5, s17, s5
	s_cselect_b32 s4, s16, s4
	s_and_b64 s[6:7], s[4:5], s[14:15]
	s_mul_i32 s7, s7, 24
	s_mul_hi_u32 s14, s6, 24
	s_mul_i32 s6, s6, 24
	s_add_i32 s7, s14, s7
	v_mov_b32_e32 v0, s7
	s_waitcnt vmcnt(0)
	v_add_co_u32_e32 v8, vcc, s6, v2
	v_addc_co_u32_e32 v9, vcc, v3, v0, vcc
	v_mov_b32_e32 v11, s4
	global_store_dwordx2 v[8:9], v[13:14], off
	v_mov_b32_e32 v12, s5
	s_waitcnt vmcnt(0)
	global_atomic_cmpswap_x2 v[2:3], v10, v[11:14], s[10:11] offset:24 glc
	s_mov_b64 s[6:7], 0
	s_waitcnt vmcnt(0)
	v_cmp_ne_u64_e32 vcc, v[2:3], v[13:14]
	s_and_b64 exec, exec, vcc
	s_cbranch_execz .LBB1_25
.LBB1_24:                               ; =>This Inner Loop Header: Depth=1
	s_sleep 1
	global_store_dwordx2 v[8:9], v[2:3], off
	v_mov_b32_e32 v0, s4
	v_mov_b32_e32 v1, s5
	s_waitcnt vmcnt(0)
	global_atomic_cmpswap_x2 v[0:1], v10, v[0:3], s[10:11] offset:24 glc
	s_waitcnt vmcnt(0)
	v_cmp_eq_u64_e32 vcc, v[0:1], v[2:3]
	v_mov_b32_e32 v3, v1
	s_or_b64 s[6:7], vcc, s[6:7]
	v_mov_b32_e32 v2, v0
	s_andn2_b64 exec, exec, s[6:7]
	s_cbranch_execnz .LBB1_24
.LBB1_25:
	s_or_b64 exec, exec, s[12:13]
	s_lshr_b32 s6, s33, 6
	s_mov_b64 s[4:5], 0
.LBB1_26:                               ; =>This Inner Loop Header: Depth=1
	v_mov_b32_e32 v0, s6
	buffer_load_ubyte v1, v0, s[0:3], 0 offen
	s_add_i32 s6, s6, 1
	v_mov_b32_e32 v0, s6
	s_waitcnt vmcnt(0)
	v_cmp_eq_u16_e32 vcc, 0, v1
	s_or_b64 s[4:5], vcc, s[4:5]
	s_andn2_b64 exec, exec, s[4:5]
	s_cbranch_execnz .LBB1_26
; %bb.27:
	s_or_b64 exec, exec, s[4:5]
	s_lshr_b32 s4, s33, 6
	s_cmp_lg_u32 s4, -1
	s_cbranch_scc0 .LBB1_112
; %bb.28:
	v_lshrrev_b32_e64 v1, 6, s33
	v_subrev_u32_e32 v28, v1, v0
	v_ashrrev_i32_e32 v29, 31, v28
	v_and_b32_e32 v36, 2, v6
	v_mov_b32_e32 v31, 0
	v_and_b32_e32 v0, -3, v6
	v_mov_b32_e32 v1, v7
	s_mov_b64 s[12:13], 0
	v_lshrrev_b32_e64 v37, 6, s33
	s_mov_b32 s20, 0
	s_movk_i32 s21, 0x1e0
	v_mov_b32_e32 v10, 2
	v_mov_b32_e32 v11, 1
	s_branch .LBB1_30
.LBB1_29:                               ;   in Loop: Header=BB1_30 Depth=1
	s_or_b64 exec, exec, s[6:7]
	v_sub_co_u32_e32 v28, vcc, v28, v38
	v_subb_co_u32_e32 v29, vcc, v29, v39, vcc
	v_cmp_eq_u64_e32 vcc, 0, v[28:29]
	v_add_u32_e32 v37, v37, v38
	s_or_b64 s[12:13], vcc, s[12:13]
	s_andn2_b64 exec, exec, s[12:13]
	s_cbranch_execz .LBB1_113
.LBB1_30:                               ; =>This Loop Header: Depth=1
                                        ;     Child Loop BB1_33 Depth 2
                                        ;     Child Loop BB1_41 Depth 2
	;; [unrolled: 1-line block ×11, first 2 shown]
	v_cmp_gt_u64_e32 vcc, 56, v[28:29]
	v_cmp_gt_u64_e64 s[4:5], 8, v[28:29]
	v_cndmask_b32_e32 v38, 56, v28, vcc
	v_add_u32_e32 v9, 8, v37
	s_and_saveexec_b64 s[6:7], s[4:5]
	s_xor_b64 s[6:7], exec, s[6:7]
	s_cbranch_execz .LBB1_36
; %bb.31:                               ;   in Loop: Header=BB1_30 Depth=1
	v_mov_b32_e32 v2, 0
	v_cmp_ne_u64_e64 s[4:5], 0, v[28:29]
	v_mov_b32_e32 v3, 0
	s_and_saveexec_b64 s[14:15], s[4:5]
	s_cbranch_execz .LBB1_35
; %bb.32:                               ;   in Loop: Header=BB1_30 Depth=1
	v_mov_b32_e32 v2, 0
	s_mov_b32 s22, 0
	s_mov_b64 s[16:17], 0
	v_mov_b32_e32 v3, 0
	s_mov_b64 s[18:19], 0
.LBB1_33:                               ;   Parent Loop BB1_30 Depth=1
                                        ; =>  This Inner Loop Header: Depth=2
	v_add_u32_e32 v8, s22, v37
	buffer_load_ubyte v8, v8, s[0:3], 0 offen
	v_mov_b32_e32 v9, s20
	s_add_i32 s22, s22, 1
	v_cmp_eq_u32_e64 s[4:5], s22, v38
	s_waitcnt vmcnt(0)
	v_and_b32_e32 v8, 0xffff, v8
	v_lshlrev_b64 v[8:9], s18, v[8:9]
	s_add_u32 s18, s18, 8
	s_addc_u32 s19, s19, 0
	v_or_b32_e32 v3, v9, v3
	s_or_b64 s[16:17], s[4:5], s[16:17]
	v_or_b32_e32 v2, v8, v2
	s_andn2_b64 exec, exec, s[16:17]
	s_cbranch_execnz .LBB1_33
; %bb.34:                               ;   in Loop: Header=BB1_30 Depth=1
	s_or_b64 exec, exec, s[16:17]
.LBB1_35:                               ;   in Loop: Header=BB1_30 Depth=1
	s_or_b64 exec, exec, s[14:15]
	v_mov_b32_e32 v9, v37
.LBB1_36:                               ;   in Loop: Header=BB1_30 Depth=1
	s_or_saveexec_b64 s[4:5], s[6:7]
	v_mov_b32_e32 v14, 0
	s_xor_b64 exec, exec, s[4:5]
	s_cbranch_execz .LBB1_38
; %bb.37:                               ;   in Loop: Header=BB1_30 Depth=1
	buffer_load_dword v2, v37, s[0:3], 0 offen
	buffer_load_dword v3, v37, s[0:3], 0 offen offset:4
	v_add_u32_e32 v14, -8, v38
.LBB1_38:                               ;   in Loop: Header=BB1_30 Depth=1
	s_or_b64 exec, exec, s[4:5]
	v_cmp_gt_u32_e64 s[4:5], 8, v14
	v_add_u32_e32 v8, 8, v9
                                        ; implicit-def: $vgpr12_vgpr13
	s_and_saveexec_b64 s[6:7], s[4:5]
	s_xor_b64 s[6:7], exec, s[6:7]
	s_cbranch_execz .LBB1_44
; %bb.39:                               ;   in Loop: Header=BB1_30 Depth=1
	v_mov_b32_e32 v12, 0
	v_mov_b32_e32 v13, 0
	v_cmp_ne_u32_e64 s[4:5], 0, v14
	s_and_saveexec_b64 s[14:15], s[4:5]
	s_cbranch_execz .LBB1_43
; %bb.40:                               ;   in Loop: Header=BB1_30 Depth=1
	v_mov_b32_e32 v12, 0
	s_mov_b32 s22, 0
	s_mov_b64 s[16:17], 0
	v_mov_b32_e32 v13, 0
	s_mov_b64 s[18:19], 0
.LBB1_41:                               ;   Parent Loop BB1_30 Depth=1
                                        ; =>  This Inner Loop Header: Depth=2
	v_add_u32_e32 v8, s22, v9
	buffer_load_ubyte v8, v8, s[0:3], 0 offen
	v_mov_b32_e32 v16, s20
	s_add_i32 s22, s22, 1
	v_cmp_eq_u32_e64 s[4:5], s22, v14
	s_waitcnt vmcnt(0)
	v_and_b32_e32 v15, 0xffff, v8
	v_lshlrev_b64 v[15:16], s18, v[15:16]
	s_add_u32 s18, s18, 8
	s_addc_u32 s19, s19, 0
	v_or_b32_e32 v13, v16, v13
	s_or_b64 s[16:17], s[4:5], s[16:17]
	v_or_b32_e32 v12, v15, v12
	s_andn2_b64 exec, exec, s[16:17]
	s_cbranch_execnz .LBB1_41
; %bb.42:                               ;   in Loop: Header=BB1_30 Depth=1
	s_or_b64 exec, exec, s[16:17]
.LBB1_43:                               ;   in Loop: Header=BB1_30 Depth=1
	s_or_b64 exec, exec, s[14:15]
	v_mov_b32_e32 v8, v9
                                        ; implicit-def: $vgpr14
.LBB1_44:                               ;   in Loop: Header=BB1_30 Depth=1
	s_or_saveexec_b64 s[4:5], s[6:7]
	v_mov_b32_e32 v16, 0
	s_xor_b64 exec, exec, s[4:5]
	s_cbranch_execz .LBB1_46
; %bb.45:                               ;   in Loop: Header=BB1_30 Depth=1
	buffer_load_dword v12, v9, s[0:3], 0 offen
	buffer_load_dword v13, v9, s[0:3], 0 offen offset:4
	v_add_u32_e32 v16, -8, v14
.LBB1_46:                               ;   in Loop: Header=BB1_30 Depth=1
	s_or_b64 exec, exec, s[4:5]
	v_cmp_gt_u32_e64 s[4:5], 8, v16
	v_add_u32_e32 v9, 8, v8
	s_and_saveexec_b64 s[6:7], s[4:5]
	s_xor_b64 s[6:7], exec, s[6:7]
	s_cbranch_execz .LBB1_52
; %bb.47:                               ;   in Loop: Header=BB1_30 Depth=1
	v_mov_b32_e32 v14, 0
	v_mov_b32_e32 v15, 0
	v_cmp_ne_u32_e64 s[4:5], 0, v16
	s_and_saveexec_b64 s[14:15], s[4:5]
	s_cbranch_execz .LBB1_51
; %bb.48:                               ;   in Loop: Header=BB1_30 Depth=1
	v_mov_b32_e32 v14, 0
	s_mov_b32 s22, 0
	s_mov_b64 s[16:17], 0
	v_mov_b32_e32 v15, 0
	s_mov_b64 s[18:19], 0
.LBB1_49:                               ;   Parent Loop BB1_30 Depth=1
                                        ; =>  This Inner Loop Header: Depth=2
	v_add_u32_e32 v9, s22, v8
	buffer_load_ubyte v9, v9, s[0:3], 0 offen
	v_mov_b32_e32 v18, s20
	s_add_i32 s22, s22, 1
	v_cmp_eq_u32_e64 s[4:5], s22, v16
	s_waitcnt vmcnt(0)
	v_and_b32_e32 v17, 0xffff, v9
	v_lshlrev_b64 v[17:18], s18, v[17:18]
	s_add_u32 s18, s18, 8
	s_addc_u32 s19, s19, 0
	v_or_b32_e32 v15, v18, v15
	s_or_b64 s[16:17], s[4:5], s[16:17]
	v_or_b32_e32 v14, v17, v14
	s_andn2_b64 exec, exec, s[16:17]
	s_cbranch_execnz .LBB1_49
; %bb.50:                               ;   in Loop: Header=BB1_30 Depth=1
	s_or_b64 exec, exec, s[16:17]
.LBB1_51:                               ;   in Loop: Header=BB1_30 Depth=1
	s_or_b64 exec, exec, s[14:15]
	v_mov_b32_e32 v9, v8
                                        ; implicit-def: $vgpr16
.LBB1_52:                               ;   in Loop: Header=BB1_30 Depth=1
	s_or_saveexec_b64 s[4:5], s[6:7]
	v_mov_b32_e32 v18, 0
	s_xor_b64 exec, exec, s[4:5]
	s_cbranch_execz .LBB1_54
; %bb.53:                               ;   in Loop: Header=BB1_30 Depth=1
	buffer_load_dword v14, v8, s[0:3], 0 offen
	buffer_load_dword v15, v8, s[0:3], 0 offen offset:4
	v_add_u32_e32 v18, -8, v16
.LBB1_54:                               ;   in Loop: Header=BB1_30 Depth=1
	s_or_b64 exec, exec, s[4:5]
	v_cmp_gt_u32_e64 s[4:5], 8, v18
	v_add_u32_e32 v8, 8, v9
                                        ; implicit-def: $vgpr16_vgpr17
	s_and_saveexec_b64 s[6:7], s[4:5]
	s_xor_b64 s[6:7], exec, s[6:7]
	s_cbranch_execz .LBB1_60
; %bb.55:                               ;   in Loop: Header=BB1_30 Depth=1
	v_mov_b32_e32 v16, 0
	v_mov_b32_e32 v17, 0
	v_cmp_ne_u32_e64 s[4:5], 0, v18
	s_and_saveexec_b64 s[14:15], s[4:5]
	s_cbranch_execz .LBB1_59
; %bb.56:                               ;   in Loop: Header=BB1_30 Depth=1
	v_mov_b32_e32 v16, 0
	s_mov_b32 s22, 0
	s_mov_b64 s[16:17], 0
	v_mov_b32_e32 v17, 0
	s_mov_b64 s[18:19], 0
.LBB1_57:                               ;   Parent Loop BB1_30 Depth=1
                                        ; =>  This Inner Loop Header: Depth=2
	v_add_u32_e32 v8, s22, v9
	buffer_load_ubyte v8, v8, s[0:3], 0 offen
	v_mov_b32_e32 v20, s20
	s_add_i32 s22, s22, 1
	v_cmp_eq_u32_e64 s[4:5], s22, v18
	s_waitcnt vmcnt(0)
	v_and_b32_e32 v19, 0xffff, v8
	v_lshlrev_b64 v[19:20], s18, v[19:20]
	s_add_u32 s18, s18, 8
	s_addc_u32 s19, s19, 0
	v_or_b32_e32 v17, v20, v17
	s_or_b64 s[16:17], s[4:5], s[16:17]
	v_or_b32_e32 v16, v19, v16
	s_andn2_b64 exec, exec, s[16:17]
	s_cbranch_execnz .LBB1_57
; %bb.58:                               ;   in Loop: Header=BB1_30 Depth=1
	s_or_b64 exec, exec, s[16:17]
.LBB1_59:                               ;   in Loop: Header=BB1_30 Depth=1
	s_or_b64 exec, exec, s[14:15]
	v_mov_b32_e32 v8, v9
                                        ; implicit-def: $vgpr18
.LBB1_60:                               ;   in Loop: Header=BB1_30 Depth=1
	s_or_saveexec_b64 s[4:5], s[6:7]
	v_mov_b32_e32 v20, 0
	s_xor_b64 exec, exec, s[4:5]
	s_cbranch_execz .LBB1_62
; %bb.61:                               ;   in Loop: Header=BB1_30 Depth=1
	buffer_load_dword v16, v9, s[0:3], 0 offen
	buffer_load_dword v17, v9, s[0:3], 0 offen offset:4
	v_add_u32_e32 v20, -8, v18
.LBB1_62:                               ;   in Loop: Header=BB1_30 Depth=1
	s_or_b64 exec, exec, s[4:5]
	v_cmp_gt_u32_e64 s[4:5], 8, v20
	v_add_u32_e32 v9, 8, v8
	s_and_saveexec_b64 s[6:7], s[4:5]
	s_xor_b64 s[6:7], exec, s[6:7]
	s_cbranch_execz .LBB1_68
; %bb.63:                               ;   in Loop: Header=BB1_30 Depth=1
	v_mov_b32_e32 v18, 0
	v_mov_b32_e32 v19, 0
	v_cmp_ne_u32_e64 s[4:5], 0, v20
	s_and_saveexec_b64 s[14:15], s[4:5]
	s_cbranch_execz .LBB1_67
; %bb.64:                               ;   in Loop: Header=BB1_30 Depth=1
	v_mov_b32_e32 v18, 0
	s_mov_b32 s22, 0
	s_mov_b64 s[16:17], 0
	v_mov_b32_e32 v19, 0
	s_mov_b64 s[18:19], 0
.LBB1_65:                               ;   Parent Loop BB1_30 Depth=1
                                        ; =>  This Inner Loop Header: Depth=2
	v_add_u32_e32 v9, s22, v8
	buffer_load_ubyte v9, v9, s[0:3], 0 offen
	v_mov_b32_e32 v22, s20
	s_add_i32 s22, s22, 1
	v_cmp_eq_u32_e64 s[4:5], s22, v20
	s_waitcnt vmcnt(0)
	v_and_b32_e32 v21, 0xffff, v9
	v_lshlrev_b64 v[21:22], s18, v[21:22]
	s_add_u32 s18, s18, 8
	s_addc_u32 s19, s19, 0
	v_or_b32_e32 v19, v22, v19
	s_or_b64 s[16:17], s[4:5], s[16:17]
	v_or_b32_e32 v18, v21, v18
	s_andn2_b64 exec, exec, s[16:17]
	s_cbranch_execnz .LBB1_65
; %bb.66:                               ;   in Loop: Header=BB1_30 Depth=1
	s_or_b64 exec, exec, s[16:17]
.LBB1_67:                               ;   in Loop: Header=BB1_30 Depth=1
	s_or_b64 exec, exec, s[14:15]
	v_mov_b32_e32 v9, v8
                                        ; implicit-def: $vgpr20
.LBB1_68:                               ;   in Loop: Header=BB1_30 Depth=1
	s_or_saveexec_b64 s[4:5], s[6:7]
	v_mov_b32_e32 v22, 0
	s_xor_b64 exec, exec, s[4:5]
	s_cbranch_execz .LBB1_70
; %bb.69:                               ;   in Loop: Header=BB1_30 Depth=1
	buffer_load_dword v18, v8, s[0:3], 0 offen
	buffer_load_dword v19, v8, s[0:3], 0 offen offset:4
	v_add_u32_e32 v22, -8, v20
.LBB1_70:                               ;   in Loop: Header=BB1_30 Depth=1
	s_or_b64 exec, exec, s[4:5]
	v_cmp_gt_u32_e64 s[4:5], 8, v22
	v_add_u32_e32 v8, 8, v9
                                        ; implicit-def: $vgpr20_vgpr21
	s_and_saveexec_b64 s[6:7], s[4:5]
	s_xor_b64 s[6:7], exec, s[6:7]
	s_cbranch_execz .LBB1_76
; %bb.71:                               ;   in Loop: Header=BB1_30 Depth=1
	v_mov_b32_e32 v20, 0
	v_mov_b32_e32 v21, 0
	v_cmp_ne_u32_e64 s[4:5], 0, v22
	s_and_saveexec_b64 s[14:15], s[4:5]
	s_cbranch_execz .LBB1_75
; %bb.72:                               ;   in Loop: Header=BB1_30 Depth=1
	v_mov_b32_e32 v20, 0
	s_mov_b32 s22, 0
	s_mov_b64 s[16:17], 0
	v_mov_b32_e32 v21, 0
	s_mov_b64 s[18:19], 0
.LBB1_73:                               ;   Parent Loop BB1_30 Depth=1
                                        ; =>  This Inner Loop Header: Depth=2
	v_add_u32_e32 v8, s22, v9
	buffer_load_ubyte v8, v8, s[0:3], 0 offen
	v_mov_b32_e32 v24, s20
	s_add_i32 s22, s22, 1
	v_cmp_eq_u32_e64 s[4:5], s22, v22
	s_waitcnt vmcnt(0)
	v_and_b32_e32 v23, 0xffff, v8
	v_lshlrev_b64 v[23:24], s18, v[23:24]
	s_add_u32 s18, s18, 8
	s_addc_u32 s19, s19, 0
	v_or_b32_e32 v21, v24, v21
	s_or_b64 s[16:17], s[4:5], s[16:17]
	v_or_b32_e32 v20, v23, v20
	s_andn2_b64 exec, exec, s[16:17]
	s_cbranch_execnz .LBB1_73
; %bb.74:                               ;   in Loop: Header=BB1_30 Depth=1
	s_or_b64 exec, exec, s[16:17]
.LBB1_75:                               ;   in Loop: Header=BB1_30 Depth=1
	s_or_b64 exec, exec, s[14:15]
	v_mov_b32_e32 v8, v9
                                        ; implicit-def: $vgpr22
.LBB1_76:                               ;   in Loop: Header=BB1_30 Depth=1
	s_or_saveexec_b64 s[4:5], s[6:7]
	v_mov_b32_e32 v24, 0
	s_xor_b64 exec, exec, s[4:5]
	s_cbranch_execz .LBB1_78
; %bb.77:                               ;   in Loop: Header=BB1_30 Depth=1
	buffer_load_dword v20, v9, s[0:3], 0 offen
	buffer_load_dword v21, v9, s[0:3], 0 offen offset:4
	v_add_u32_e32 v24, -8, v22
.LBB1_78:                               ;   in Loop: Header=BB1_30 Depth=1
	s_or_b64 exec, exec, s[4:5]
	v_cmp_gt_u32_e64 s[4:5], 8, v24
	s_and_saveexec_b64 s[6:7], s[4:5]
	s_xor_b64 s[6:7], exec, s[6:7]
	s_cbranch_execz .LBB1_84
; %bb.79:                               ;   in Loop: Header=BB1_30 Depth=1
	v_mov_b32_e32 v22, 0
	v_mov_b32_e32 v23, 0
	v_cmp_ne_u32_e64 s[4:5], 0, v24
	s_and_saveexec_b64 s[14:15], s[4:5]
	s_cbranch_execz .LBB1_83
; %bb.80:                               ;   in Loop: Header=BB1_30 Depth=1
	v_mov_b32_e32 v22, 0
	s_mov_b64 s[16:17], 0
	v_mov_b32_e32 v23, 0
	s_mov_b64 s[18:19], 0
.LBB1_81:                               ;   Parent Loop BB1_30 Depth=1
                                        ; =>  This Inner Loop Header: Depth=2
	buffer_load_ubyte v9, v8, s[0:3], 0 offen
	v_mov_b32_e32 v26, s20
	v_add_u32_e32 v24, -1, v24
	v_cmp_eq_u32_e64 s[4:5], 0, v24
	v_add_u32_e32 v8, 1, v8
	s_waitcnt vmcnt(0)
	v_and_b32_e32 v25, 0xffff, v9
	v_lshlrev_b64 v[25:26], s18, v[25:26]
	s_add_u32 s18, s18, 8
	s_addc_u32 s19, s19, 0
	v_or_b32_e32 v23, v26, v23
	s_or_b64 s[16:17], s[4:5], s[16:17]
	v_or_b32_e32 v22, v25, v22
	s_andn2_b64 exec, exec, s[16:17]
	s_cbranch_execnz .LBB1_81
; %bb.82:                               ;   in Loop: Header=BB1_30 Depth=1
	s_or_b64 exec, exec, s[16:17]
.LBB1_83:                               ;   in Loop: Header=BB1_30 Depth=1
	s_or_b64 exec, exec, s[14:15]
                                        ; implicit-def: $vgpr8
.LBB1_84:                               ;   in Loop: Header=BB1_30 Depth=1
	s_andn2_saveexec_b64 s[4:5], s[6:7]
	s_cbranch_execz .LBB1_86
; %bb.85:                               ;   in Loop: Header=BB1_30 Depth=1
	buffer_load_dword v22, v8, s[0:3], 0 offen
	buffer_load_dword v23, v8, s[0:3], 0 offen offset:4
.LBB1_86:                               ;   in Loop: Header=BB1_30 Depth=1
	s_or_b64 exec, exec, s[4:5]
	v_readfirstlane_b32 s4, v34
	v_mov_b32_e32 v8, 0
	v_mov_b32_e32 v9, 0
	v_cmp_eq_u32_e64 s[4:5], s4, v34
	s_and_saveexec_b64 s[14:15], s[4:5]
	s_cbranch_execz .LBB1_92
; %bb.87:                               ;   in Loop: Header=BB1_30 Depth=1
	global_load_dwordx2 v[26:27], v31, s[10:11] offset:24 glc
	s_waitcnt vmcnt(0)
	buffer_wbinvl1_vol
	global_load_dwordx2 v[8:9], v31, s[10:11] offset:40
	global_load_dwordx2 v[24:25], v31, s[10:11]
	s_waitcnt vmcnt(1)
	v_and_b32_e32 v8, v8, v26
	v_and_b32_e32 v9, v9, v27
	v_mul_lo_u32 v9, v9, 24
	v_mul_hi_u32 v30, v8, 24
	v_mul_lo_u32 v8, v8, 24
	v_add_u32_e32 v9, v30, v9
	s_waitcnt vmcnt(0)
	v_add_co_u32_e64 v8, s[6:7], v24, v8
	v_addc_co_u32_e64 v9, s[6:7], v25, v9, s[6:7]
	global_load_dwordx2 v[24:25], v[8:9], off glc
	s_waitcnt vmcnt(0)
	global_atomic_cmpswap_x2 v[8:9], v31, v[24:27], s[10:11] offset:24 glc
	s_waitcnt vmcnt(0)
	buffer_wbinvl1_vol
	v_cmp_ne_u64_e64 s[6:7], v[8:9], v[26:27]
	s_and_saveexec_b64 s[16:17], s[6:7]
	s_cbranch_execz .LBB1_91
; %bb.88:                               ;   in Loop: Header=BB1_30 Depth=1
	s_mov_b64 s[18:19], 0
.LBB1_89:                               ;   Parent Loop BB1_30 Depth=1
                                        ; =>  This Inner Loop Header: Depth=2
	s_sleep 1
	global_load_dwordx2 v[24:25], v31, s[10:11] offset:40
	global_load_dwordx2 v[32:33], v31, s[10:11]
	v_mov_b32_e32 v27, v9
	v_mov_b32_e32 v26, v8
	s_waitcnt vmcnt(1)
	v_and_b32_e32 v8, v24, v26
	s_waitcnt vmcnt(0)
	v_mad_u64_u32 v[8:9], s[6:7], v8, 24, v[32:33]
	v_and_b32_e32 v24, v25, v27
	v_mad_u64_u32 v[24:25], s[6:7], v24, 24, v[9:10]
	v_mov_b32_e32 v9, v24
	global_load_dwordx2 v[24:25], v[8:9], off glc
	s_waitcnt vmcnt(0)
	global_atomic_cmpswap_x2 v[8:9], v31, v[24:27], s[10:11] offset:24 glc
	s_waitcnt vmcnt(0)
	buffer_wbinvl1_vol
	v_cmp_eq_u64_e64 s[6:7], v[8:9], v[26:27]
	s_or_b64 s[18:19], s[6:7], s[18:19]
	s_andn2_b64 exec, exec, s[18:19]
	s_cbranch_execnz .LBB1_89
; %bb.90:                               ;   in Loop: Header=BB1_30 Depth=1
	s_or_b64 exec, exec, s[18:19]
.LBB1_91:                               ;   in Loop: Header=BB1_30 Depth=1
	s_or_b64 exec, exec, s[16:17]
.LBB1_92:                               ;   in Loop: Header=BB1_30 Depth=1
	s_or_b64 exec, exec, s[14:15]
	global_load_dwordx2 v[32:33], v31, s[10:11] offset:40
	global_load_dwordx4 v[24:27], v31, s[10:11]
	v_readfirstlane_b32 s15, v9
	v_readfirstlane_b32 s14, v8
	s_mov_b64 s[16:17], exec
	s_waitcnt vmcnt(1)
	v_readfirstlane_b32 s6, v32
	v_readfirstlane_b32 s7, v33
	s_and_b64 s[18:19], s[6:7], s[14:15]
	s_mul_i32 s6, s19, 24
	s_mul_hi_u32 s7, s18, 24
	s_mul_i32 s22, s18, 24
	s_add_i32 s6, s7, s6
	v_mov_b32_e32 v8, s6
	s_waitcnt vmcnt(0)
	v_add_co_u32_e64 v32, s[6:7], s22, v24
	v_addc_co_u32_e64 v33, s[6:7], v25, v8, s[6:7]
	s_and_saveexec_b64 s[6:7], s[4:5]
	s_cbranch_execz .LBB1_94
; %bb.93:                               ;   in Loop: Header=BB1_30 Depth=1
	v_mov_b32_e32 v8, s16
	v_mov_b32_e32 v9, s17
	global_store_dwordx4 v[32:33], v[8:11], off offset:8
.LBB1_94:                               ;   in Loop: Header=BB1_30 Depth=1
	s_or_b64 exec, exec, s[6:7]
	s_lshl_b64 s[6:7], s[18:19], 12
	v_cndmask_b32_e32 v39, 0, v29, vcc
	v_mov_b32_e32 v8, s7
	v_add_co_u32_e32 v26, vcc, s6, v26
	v_addc_co_u32_e32 v27, vcc, v27, v8, vcc
	v_cmp_gt_u64_e32 vcc, 57, v[28:29]
	v_and_b32_e32 v0, 0xffffff1f, v0
	v_cndmask_b32_e32 v8, 0, v36, vcc
	v_lshl_add_u32 v9, v38, 2, 28
	v_or_b32_e32 v0, v0, v8
	v_and_or_b32 v0, v9, s21, v0
	v_readfirstlane_b32 s6, v26
	v_readfirstlane_b32 s7, v27
	s_nop 4
	global_store_dwordx4 v35, v[0:3], s[6:7]
	global_store_dwordx4 v35, v[12:15], s[6:7] offset:16
	global_store_dwordx4 v35, v[16:19], s[6:7] offset:32
	global_store_dwordx4 v35, v[20:23], s[6:7] offset:48
	s_and_saveexec_b64 s[6:7], s[4:5]
	s_cbranch_execz .LBB1_102
; %bb.95:                               ;   in Loop: Header=BB1_30 Depth=1
	global_load_dwordx2 v[14:15], v31, s[10:11] offset:32 glc
	global_load_dwordx2 v[0:1], v31, s[10:11] offset:40
	v_mov_b32_e32 v12, s14
	v_mov_b32_e32 v13, s15
	s_waitcnt vmcnt(0)
	v_readfirstlane_b32 s16, v0
	v_readfirstlane_b32 s17, v1
	s_and_b64 s[16:17], s[16:17], s[14:15]
	s_mul_i32 s17, s17, 24
	s_mul_hi_u32 s18, s16, 24
	s_mul_i32 s16, s16, 24
	s_add_i32 s17, s18, s17
	v_mov_b32_e32 v0, s17
	v_add_co_u32_e32 v8, vcc, s16, v24
	v_addc_co_u32_e32 v9, vcc, v25, v0, vcc
	global_store_dwordx2 v[8:9], v[14:15], off
	s_waitcnt vmcnt(0)
	global_atomic_cmpswap_x2 v[2:3], v31, v[12:15], s[10:11] offset:32 glc
	s_waitcnt vmcnt(0)
	v_cmp_ne_u64_e32 vcc, v[2:3], v[14:15]
	s_and_saveexec_b64 s[16:17], vcc
	s_cbranch_execz .LBB1_98
; %bb.96:                               ;   in Loop: Header=BB1_30 Depth=1
	s_mov_b64 s[18:19], 0
.LBB1_97:                               ;   Parent Loop BB1_30 Depth=1
                                        ; =>  This Inner Loop Header: Depth=2
	s_sleep 1
	global_store_dwordx2 v[8:9], v[2:3], off
	v_mov_b32_e32 v0, s14
	v_mov_b32_e32 v1, s15
	s_waitcnt vmcnt(0)
	global_atomic_cmpswap_x2 v[0:1], v31, v[0:3], s[10:11] offset:32 glc
	s_waitcnt vmcnt(0)
	v_cmp_eq_u64_e32 vcc, v[0:1], v[2:3]
	v_mov_b32_e32 v3, v1
	s_or_b64 s[18:19], vcc, s[18:19]
	v_mov_b32_e32 v2, v0
	s_andn2_b64 exec, exec, s[18:19]
	s_cbranch_execnz .LBB1_97
.LBB1_98:                               ;   in Loop: Header=BB1_30 Depth=1
	s_or_b64 exec, exec, s[16:17]
	global_load_dwordx2 v[0:1], v31, s[10:11] offset:16
	s_mov_b64 s[18:19], exec
	v_mbcnt_lo_u32_b32 v2, s18, 0
	v_mbcnt_hi_u32_b32 v2, s19, v2
	v_cmp_eq_u32_e32 vcc, 0, v2
	s_and_saveexec_b64 s[16:17], vcc
	s_cbranch_execz .LBB1_100
; %bb.99:                               ;   in Loop: Header=BB1_30 Depth=1
	s_bcnt1_i32_b64 s18, s[18:19]
	v_mov_b32_e32 v30, s18
	s_waitcnt vmcnt(0)
	global_atomic_add_x2 v[0:1], v[30:31], off offset:8
.LBB1_100:                              ;   in Loop: Header=BB1_30 Depth=1
	s_or_b64 exec, exec, s[16:17]
	s_waitcnt vmcnt(0)
	global_load_dwordx2 v[2:3], v[0:1], off offset:16
	s_waitcnt vmcnt(0)
	v_cmp_eq_u64_e32 vcc, 0, v[2:3]
	s_cbranch_vccnz .LBB1_102
; %bb.101:                              ;   in Loop: Header=BB1_30 Depth=1
	global_load_dword v30, v[0:1], off offset:24
	s_waitcnt vmcnt(0)
	v_readfirstlane_b32 s16, v30
	s_and_b32 m0, s16, 0xffffff
	global_store_dwordx2 v[2:3], v[30:31], off
	s_sendmsg sendmsg(MSG_INTERRUPT)
.LBB1_102:                              ;   in Loop: Header=BB1_30 Depth=1
	s_or_b64 exec, exec, s[6:7]
	v_add_co_u32_e32 v0, vcc, v26, v35
	v_addc_co_u32_e32 v1, vcc, 0, v27, vcc
	s_branch .LBB1_106
.LBB1_103:                              ;   in Loop: Header=BB1_106 Depth=2
	s_or_b64 exec, exec, s[6:7]
	v_readfirstlane_b32 s6, v2
	s_cmp_eq_u32 s6, 0
	s_cbranch_scc1 .LBB1_105
; %bb.104:                              ;   in Loop: Header=BB1_106 Depth=2
	s_sleep 1
	s_cbranch_execnz .LBB1_106
	s_branch .LBB1_108
.LBB1_105:                              ;   in Loop: Header=BB1_30 Depth=1
	s_branch .LBB1_108
.LBB1_106:                              ;   Parent Loop BB1_30 Depth=1
                                        ; =>  This Inner Loop Header: Depth=2
	v_mov_b32_e32 v2, 1
	s_and_saveexec_b64 s[6:7], s[4:5]
	s_cbranch_execz .LBB1_103
; %bb.107:                              ;   in Loop: Header=BB1_106 Depth=2
	global_load_dword v2, v[32:33], off offset:20 glc
	s_waitcnt vmcnt(0)
	buffer_wbinvl1_vol
	v_and_b32_e32 v2, 1, v2
	s_branch .LBB1_103
.LBB1_108:                              ;   in Loop: Header=BB1_30 Depth=1
	global_load_dwordx2 v[0:1], v[0:1], off
	s_and_saveexec_b64 s[6:7], s[4:5]
	s_cbranch_execz .LBB1_29
; %bb.109:                              ;   in Loop: Header=BB1_30 Depth=1
	global_load_dwordx2 v[2:3], v31, s[10:11] offset:40
	global_load_dwordx2 v[16:17], v31, s[10:11] offset:24 glc
	global_load_dwordx2 v[8:9], v31, s[10:11]
	s_waitcnt vmcnt(2)
	v_readfirstlane_b32 s16, v2
	v_readfirstlane_b32 s17, v3
	s_add_u32 s18, s16, 1
	s_addc_u32 s19, s17, 0
	s_add_u32 s4, s18, s14
	s_addc_u32 s5, s19, s15
	s_cmp_eq_u64 s[4:5], 0
	s_cselect_b32 s5, s19, s5
	s_cselect_b32 s4, s18, s4
	s_and_b64 s[14:15], s[4:5], s[16:17]
	s_mul_i32 s15, s15, 24
	s_mul_hi_u32 s16, s14, 24
	s_mul_i32 s14, s14, 24
	s_add_i32 s15, s16, s15
	v_mov_b32_e32 v3, s15
	s_waitcnt vmcnt(0)
	v_add_co_u32_e32 v2, vcc, s14, v8
	v_addc_co_u32_e32 v3, vcc, v9, v3, vcc
	v_mov_b32_e32 v14, s4
	global_store_dwordx2 v[2:3], v[16:17], off
	v_mov_b32_e32 v15, s5
	s_waitcnt vmcnt(0)
	global_atomic_cmpswap_x2 v[14:15], v31, v[14:17], s[10:11] offset:24 glc
	s_waitcnt vmcnt(0)
	v_cmp_ne_u64_e32 vcc, v[14:15], v[16:17]
	s_and_b64 exec, exec, vcc
	s_cbranch_execz .LBB1_29
; %bb.110:                              ;   in Loop: Header=BB1_30 Depth=1
	s_mov_b64 s[14:15], 0
.LBB1_111:                              ;   Parent Loop BB1_30 Depth=1
                                        ; =>  This Inner Loop Header: Depth=2
	s_sleep 1
	global_store_dwordx2 v[2:3], v[14:15], off
	v_mov_b32_e32 v12, s4
	v_mov_b32_e32 v13, s5
	s_waitcnt vmcnt(0)
	global_atomic_cmpswap_x2 v[8:9], v31, v[12:15], s[10:11] offset:24 glc
	s_waitcnt vmcnt(0)
	v_cmp_eq_u64_e32 vcc, v[8:9], v[14:15]
	v_mov_b32_e32 v15, v9
	s_or_b64 s[14:15], vcc, s[14:15]
	v_mov_b32_e32 v14, v8
	s_andn2_b64 exec, exec, s[14:15]
	s_cbranch_execnz .LBB1_111
	s_branch .LBB1_29
.LBB1_112:
                                        ; implicit-def: $vgpr0_vgpr1
	s_cbranch_execnz .LBB1_114
	s_branch .LBB1_140
.LBB1_113:
	s_or_b64 exec, exec, s[12:13]
	s_branch .LBB1_140
.LBB1_114:
	v_readfirstlane_b32 s4, v34
	v_mov_b32_e32 v9, 0
	v_mov_b32_e32 v10, 0
	v_cmp_eq_u32_e64 s[4:5], s4, v34
	s_and_saveexec_b64 s[6:7], s[4:5]
	s_cbranch_execz .LBB1_120
; %bb.115:
	s_waitcnt vmcnt(0)
	v_mov_b32_e32 v0, 0
	global_load_dwordx2 v[11:12], v0, s[10:11] offset:24 glc
	s_waitcnt vmcnt(0)
	buffer_wbinvl1_vol
	global_load_dwordx2 v[1:2], v0, s[10:11] offset:40
	global_load_dwordx2 v[8:9], v0, s[10:11]
	s_waitcnt vmcnt(1)
	v_and_b32_e32 v1, v1, v11
	v_and_b32_e32 v2, v2, v12
	v_mul_lo_u32 v2, v2, 24
	v_mul_hi_u32 v3, v1, 24
	v_mul_lo_u32 v1, v1, 24
	v_add_u32_e32 v2, v3, v2
	s_waitcnt vmcnt(0)
	v_add_co_u32_e32 v1, vcc, v8, v1
	v_addc_co_u32_e32 v2, vcc, v9, v2, vcc
	global_load_dwordx2 v[9:10], v[1:2], off glc
	s_waitcnt vmcnt(0)
	global_atomic_cmpswap_x2 v[9:10], v0, v[9:12], s[10:11] offset:24 glc
	s_waitcnt vmcnt(0)
	buffer_wbinvl1_vol
	v_cmp_ne_u64_e32 vcc, v[9:10], v[11:12]
	s_and_saveexec_b64 s[12:13], vcc
	s_cbranch_execz .LBB1_119
; %bb.116:
	s_mov_b64 s[14:15], 0
.LBB1_117:                              ; =>This Inner Loop Header: Depth=1
	s_sleep 1
	global_load_dwordx2 v[1:2], v0, s[10:11] offset:40
	global_load_dwordx2 v[13:14], v0, s[10:11]
	v_mov_b32_e32 v12, v10
	v_mov_b32_e32 v11, v9
	s_waitcnt vmcnt(1)
	v_and_b32_e32 v1, v1, v11
	s_waitcnt vmcnt(0)
	v_mad_u64_u32 v[8:9], s[16:17], v1, 24, v[13:14]
	v_and_b32_e32 v2, v2, v12
	v_mov_b32_e32 v1, v9
	v_mad_u64_u32 v[1:2], s[16:17], v2, 24, v[1:2]
	v_mov_b32_e32 v9, v1
	global_load_dwordx2 v[9:10], v[8:9], off glc
	s_waitcnt vmcnt(0)
	global_atomic_cmpswap_x2 v[9:10], v0, v[9:12], s[10:11] offset:24 glc
	s_waitcnt vmcnt(0)
	buffer_wbinvl1_vol
	v_cmp_eq_u64_e32 vcc, v[9:10], v[11:12]
	s_or_b64 s[14:15], vcc, s[14:15]
	s_andn2_b64 exec, exec, s[14:15]
	s_cbranch_execnz .LBB1_117
; %bb.118:
	s_or_b64 exec, exec, s[14:15]
.LBB1_119:
	s_or_b64 exec, exec, s[12:13]
.LBB1_120:
	s_or_b64 exec, exec, s[6:7]
	v_mov_b32_e32 v8, 0
	global_load_dwordx2 v[11:12], v8, s[10:11] offset:40
	global_load_dwordx4 v[0:3], v8, s[10:11]
	v_readfirstlane_b32 s7, v10
	v_readfirstlane_b32 s6, v9
	s_mov_b64 s[12:13], exec
	s_waitcnt vmcnt(1)
	v_readfirstlane_b32 s14, v11
	v_readfirstlane_b32 s15, v12
	s_and_b64 s[14:15], s[14:15], s[6:7]
	s_mul_i32 s16, s15, 24
	s_mul_hi_u32 s17, s14, 24
	s_mul_i32 s18, s14, 24
	s_add_i32 s16, s17, s16
	v_mov_b32_e32 v9, s16
	s_waitcnt vmcnt(0)
	v_add_co_u32_e32 v10, vcc, s18, v0
	v_addc_co_u32_e32 v11, vcc, v1, v9, vcc
	s_and_saveexec_b64 s[16:17], s[4:5]
	s_cbranch_execz .LBB1_122
; %bb.121:
	v_mov_b32_e32 v12, s12
	v_mov_b32_e32 v13, s13
	;; [unrolled: 1-line block ×4, first 2 shown]
	global_store_dwordx4 v[10:11], v[12:15], off offset:8
.LBB1_122:
	s_or_b64 exec, exec, s[16:17]
	s_lshl_b64 s[12:13], s[14:15], 12
	v_mov_b32_e32 v9, s13
	v_add_co_u32_e32 v2, vcc, s12, v2
	v_addc_co_u32_e32 v3, vcc, v3, v9, vcc
	s_movk_i32 s12, 0xff1f
	v_and_or_b32 v6, v6, s12, 32
	s_mov_b32 s12, 0
	v_mov_b32_e32 v9, v8
	v_readfirstlane_b32 s16, v2
	v_readfirstlane_b32 s17, v3
	v_add_co_u32_e32 v12, vcc, v2, v35
	s_mov_b32 s13, s12
	s_mov_b32 s14, s12
	;; [unrolled: 1-line block ×3, first 2 shown]
	s_nop 0
	global_store_dwordx4 v35, v[6:9], s[16:17]
	v_addc_co_u32_e32 v13, vcc, 0, v3, vcc
	v_mov_b32_e32 v6, s12
	v_mov_b32_e32 v7, s13
	;; [unrolled: 1-line block ×4, first 2 shown]
	global_store_dwordx4 v35, v[6:9], s[16:17] offset:16
	global_store_dwordx4 v35, v[6:9], s[16:17] offset:32
	;; [unrolled: 1-line block ×3, first 2 shown]
	s_and_saveexec_b64 s[12:13], s[4:5]
	s_cbranch_execz .LBB1_130
; %bb.123:
	v_mov_b32_e32 v8, 0
	global_load_dwordx2 v[16:17], v8, s[10:11] offset:32 glc
	global_load_dwordx2 v[2:3], v8, s[10:11] offset:40
	v_mov_b32_e32 v14, s6
	v_mov_b32_e32 v15, s7
	s_waitcnt vmcnt(0)
	v_readfirstlane_b32 s14, v2
	v_readfirstlane_b32 s15, v3
	s_and_b64 s[14:15], s[14:15], s[6:7]
	s_mul_i32 s15, s15, 24
	s_mul_hi_u32 s16, s14, 24
	s_mul_i32 s14, s14, 24
	s_add_i32 s15, s16, s15
	v_mov_b32_e32 v2, s15
	v_add_co_u32_e32 v6, vcc, s14, v0
	v_addc_co_u32_e32 v7, vcc, v1, v2, vcc
	global_store_dwordx2 v[6:7], v[16:17], off
	s_waitcnt vmcnt(0)
	global_atomic_cmpswap_x2 v[2:3], v8, v[14:17], s[10:11] offset:32 glc
	s_waitcnt vmcnt(0)
	v_cmp_ne_u64_e32 vcc, v[2:3], v[16:17]
	s_and_saveexec_b64 s[14:15], vcc
	s_cbranch_execz .LBB1_126
; %bb.124:
	s_mov_b64 s[16:17], 0
.LBB1_125:                              ; =>This Inner Loop Header: Depth=1
	s_sleep 1
	global_store_dwordx2 v[6:7], v[2:3], off
	v_mov_b32_e32 v0, s6
	v_mov_b32_e32 v1, s7
	s_waitcnt vmcnt(0)
	global_atomic_cmpswap_x2 v[0:1], v8, v[0:3], s[10:11] offset:32 glc
	s_waitcnt vmcnt(0)
	v_cmp_eq_u64_e32 vcc, v[0:1], v[2:3]
	v_mov_b32_e32 v3, v1
	s_or_b64 s[16:17], vcc, s[16:17]
	v_mov_b32_e32 v2, v0
	s_andn2_b64 exec, exec, s[16:17]
	s_cbranch_execnz .LBB1_125
.LBB1_126:
	s_or_b64 exec, exec, s[14:15]
	v_mov_b32_e32 v3, 0
	global_load_dwordx2 v[0:1], v3, s[10:11] offset:16
	s_mov_b64 s[14:15], exec
	v_mbcnt_lo_u32_b32 v2, s14, 0
	v_mbcnt_hi_u32_b32 v2, s15, v2
	v_cmp_eq_u32_e32 vcc, 0, v2
	s_and_saveexec_b64 s[16:17], vcc
	s_cbranch_execz .LBB1_128
; %bb.127:
	s_bcnt1_i32_b64 s14, s[14:15]
	v_mov_b32_e32 v2, s14
	s_waitcnt vmcnt(0)
	global_atomic_add_x2 v[0:1], v[2:3], off offset:8
.LBB1_128:
	s_or_b64 exec, exec, s[16:17]
	s_waitcnt vmcnt(0)
	global_load_dwordx2 v[2:3], v[0:1], off offset:16
	s_waitcnt vmcnt(0)
	v_cmp_eq_u64_e32 vcc, 0, v[2:3]
	s_cbranch_vccnz .LBB1_130
; %bb.129:
	global_load_dword v0, v[0:1], off offset:24
	v_mov_b32_e32 v1, 0
	s_waitcnt vmcnt(0)
	v_readfirstlane_b32 s14, v0
	s_and_b32 m0, s14, 0xffffff
	global_store_dwordx2 v[2:3], v[0:1], off
	s_sendmsg sendmsg(MSG_INTERRUPT)
.LBB1_130:
	s_or_b64 exec, exec, s[12:13]
	s_branch .LBB1_134
.LBB1_131:                              ;   in Loop: Header=BB1_134 Depth=1
	s_or_b64 exec, exec, s[12:13]
	v_readfirstlane_b32 s12, v0
	s_cmp_eq_u32 s12, 0
	s_cbranch_scc1 .LBB1_133
; %bb.132:                              ;   in Loop: Header=BB1_134 Depth=1
	s_sleep 1
	s_cbranch_execnz .LBB1_134
	s_branch .LBB1_136
.LBB1_133:
	s_branch .LBB1_136
.LBB1_134:                              ; =>This Inner Loop Header: Depth=1
	v_mov_b32_e32 v0, 1
	s_and_saveexec_b64 s[12:13], s[4:5]
	s_cbranch_execz .LBB1_131
; %bb.135:                              ;   in Loop: Header=BB1_134 Depth=1
	global_load_dword v0, v[10:11], off offset:20 glc
	s_waitcnt vmcnt(0)
	buffer_wbinvl1_vol
	v_and_b32_e32 v0, 1, v0
	s_branch .LBB1_131
.LBB1_136:
	global_load_dwordx2 v[0:1], v[12:13], off
	s_and_saveexec_b64 s[12:13], s[4:5]
	s_cbranch_execz .LBB1_139
; %bb.137:
	v_mov_b32_e32 v10, 0
	global_load_dwordx2 v[2:3], v10, s[10:11] offset:40
	global_load_dwordx2 v[13:14], v10, s[10:11] offset:24 glc
	global_load_dwordx2 v[6:7], v10, s[10:11]
	s_waitcnt vmcnt(2)
	v_readfirstlane_b32 s14, v2
	v_readfirstlane_b32 s15, v3
	s_add_u32 s16, s14, 1
	s_addc_u32 s17, s15, 0
	s_add_u32 s4, s16, s6
	s_addc_u32 s5, s17, s7
	s_cmp_eq_u64 s[4:5], 0
	s_cselect_b32 s5, s17, s5
	s_cselect_b32 s4, s16, s4
	s_and_b64 s[6:7], s[4:5], s[14:15]
	s_mul_i32 s7, s7, 24
	s_mul_hi_u32 s14, s6, 24
	s_mul_i32 s6, s6, 24
	s_add_i32 s7, s14, s7
	v_mov_b32_e32 v3, s7
	s_waitcnt vmcnt(0)
	v_add_co_u32_e32 v2, vcc, s6, v6
	v_addc_co_u32_e32 v3, vcc, v7, v3, vcc
	v_mov_b32_e32 v11, s4
	global_store_dwordx2 v[2:3], v[13:14], off
	v_mov_b32_e32 v12, s5
	s_waitcnt vmcnt(0)
	global_atomic_cmpswap_x2 v[8:9], v10, v[11:14], s[10:11] offset:24 glc
	s_mov_b64 s[6:7], 0
	s_waitcnt vmcnt(0)
	v_cmp_ne_u64_e32 vcc, v[8:9], v[13:14]
	s_and_b64 exec, exec, vcc
	s_cbranch_execz .LBB1_139
.LBB1_138:                              ; =>This Inner Loop Header: Depth=1
	s_sleep 1
	global_store_dwordx2 v[2:3], v[8:9], off
	v_mov_b32_e32 v6, s4
	v_mov_b32_e32 v7, s5
	s_waitcnt vmcnt(0)
	global_atomic_cmpswap_x2 v[6:7], v10, v[6:9], s[10:11] offset:24 glc
	s_waitcnt vmcnt(0)
	v_cmp_eq_u64_e32 vcc, v[6:7], v[8:9]
	v_mov_b32_e32 v9, v7
	s_or_b64 s[6:7], vcc, s[6:7]
	v_mov_b32_e32 v8, v6
	s_andn2_b64 exec, exec, s[6:7]
	s_cbranch_execnz .LBB1_138
.LBB1_139:
	s_or_b64 exec, exec, s[12:13]
.LBB1_140:
	s_getpc_b64 s[6:7]
	s_add_u32 s6, s6, .str.4@rel32@lo+4
	s_addc_u32 s7, s7, .str.4@rel32@hi+12
	s_cmp_lg_u64 s[6:7], 0
	s_cbranch_scc0 .LBB1_225
; %bb.141:
	s_getpc_b64 s[4:5]
	s_add_u32 s4, s4, .str.4@rel32@lo+80
	s_addc_u32 s5, s5, .str.4@rel32@hi+88
	s_sub_i32 s12, s4, s6
	s_ashr_i32 s13, s12, 31
	s_waitcnt vmcnt(0)
	v_and_b32_e32 v32, 2, v0
	v_mov_b32_e32 v3, 0
	v_and_b32_e32 v6, -3, v0
	v_mov_b32_e32 v7, v1
	v_mov_b32_e32 v12, 2
	;; [unrolled: 1-line block ×3, first 2 shown]
	s_branch .LBB1_143
.LBB1_142:                              ;   in Loop: Header=BB1_143 Depth=1
	s_or_b64 exec, exec, s[18:19]
	s_sub_u32 s12, s12, s14
	s_subb_u32 s13, s13, s15
	s_add_u32 s6, s6, s14
	s_addc_u32 s7, s7, s15
	s_cmp_lg_u64 s[12:13], 0
	s_cbranch_scc0 .LBB1_226
.LBB1_143:                              ; =>This Loop Header: Depth=1
                                        ;     Child Loop BB1_146 Depth 2
                                        ;     Child Loop BB1_154 Depth 2
                                        ;     Child Loop BB1_162 Depth 2
                                        ;     Child Loop BB1_170 Depth 2
                                        ;     Child Loop BB1_178 Depth 2
                                        ;     Child Loop BB1_186 Depth 2
                                        ;     Child Loop BB1_194 Depth 2
                                        ;     Child Loop BB1_202 Depth 2
                                        ;     Child Loop BB1_210 Depth 2
                                        ;     Child Loop BB1_219 Depth 2
                                        ;     Child Loop BB1_224 Depth 2
	v_cmp_lt_u64_e64 s[4:5], s[12:13], 56
	v_cmp_gt_u64_e64 s[16:17], s[12:13], 7
	s_and_b64 s[4:5], s[4:5], exec
	s_cselect_b32 s15, s13, 0
	s_cselect_b32 s14, s12, 56
	s_add_u32 s4, s6, 8
	s_addc_u32 s5, s7, 0
	s_and_b64 vcc, exec, s[16:17]
	s_cbranch_vccnz .LBB1_147
; %bb.144:                              ;   in Loop: Header=BB1_143 Depth=1
	s_cmp_eq_u64 s[12:13], 0
	s_cbranch_scc1 .LBB1_148
; %bb.145:                              ;   in Loop: Header=BB1_143 Depth=1
	v_mov_b32_e32 v8, 0
	s_lshl_b64 s[4:5], s[14:15], 3
	s_mov_b64 s[16:17], 0
	v_mov_b32_e32 v9, 0
	s_mov_b64 s[18:19], s[6:7]
.LBB1_146:                              ;   Parent Loop BB1_143 Depth=1
                                        ; =>  This Inner Loop Header: Depth=2
	global_load_ubyte v2, v3, s[18:19]
	s_waitcnt vmcnt(0)
	v_and_b32_e32 v2, 0xffff, v2
	v_lshlrev_b64 v[10:11], s16, v[2:3]
	s_add_u32 s16, s16, 8
	s_addc_u32 s17, s17, 0
	s_add_u32 s18, s18, 1
	s_addc_u32 s19, s19, 0
	v_or_b32_e32 v8, v10, v8
	s_cmp_lg_u32 s4, s16
	v_or_b32_e32 v9, v11, v9
	s_cbranch_scc1 .LBB1_146
	s_branch .LBB1_149
.LBB1_147:                              ;   in Loop: Header=BB1_143 Depth=1
	s_mov_b32 s20, 0
	s_branch .LBB1_150
.LBB1_148:                              ;   in Loop: Header=BB1_143 Depth=1
	v_mov_b32_e32 v8, 0
	v_mov_b32_e32 v9, 0
.LBB1_149:                              ;   in Loop: Header=BB1_143 Depth=1
	s_mov_b64 s[4:5], s[6:7]
	s_mov_b32 s20, 0
	s_cbranch_execnz .LBB1_151
.LBB1_150:                              ;   in Loop: Header=BB1_143 Depth=1
	global_load_dwordx2 v[8:9], v3, s[6:7]
	s_add_i32 s20, s14, -8
.LBB1_151:                              ;   in Loop: Header=BB1_143 Depth=1
	s_add_u32 s16, s4, 8
	s_addc_u32 s17, s5, 0
	s_cmp_gt_u32 s20, 7
	s_cbranch_scc1 .LBB1_155
; %bb.152:                              ;   in Loop: Header=BB1_143 Depth=1
	s_cmp_eq_u32 s20, 0
	s_cbranch_scc1 .LBB1_156
; %bb.153:                              ;   in Loop: Header=BB1_143 Depth=1
	v_mov_b32_e32 v14, 0
	s_mov_b64 s[16:17], 0
	v_mov_b32_e32 v15, 0
	s_mov_b64 s[18:19], 0
.LBB1_154:                              ;   Parent Loop BB1_143 Depth=1
                                        ; =>  This Inner Loop Header: Depth=2
	s_add_u32 s22, s4, s18
	s_addc_u32 s23, s5, s19
	global_load_ubyte v2, v3, s[22:23]
	s_add_u32 s18, s18, 1
	s_addc_u32 s19, s19, 0
	s_waitcnt vmcnt(0)
	v_and_b32_e32 v2, 0xffff, v2
	v_lshlrev_b64 v[10:11], s16, v[2:3]
	s_add_u32 s16, s16, 8
	s_addc_u32 s17, s17, 0
	v_or_b32_e32 v14, v10, v14
	s_cmp_lg_u32 s20, s18
	v_or_b32_e32 v15, v11, v15
	s_cbranch_scc1 .LBB1_154
	s_branch .LBB1_157
.LBB1_155:                              ;   in Loop: Header=BB1_143 Depth=1
                                        ; implicit-def: $vgpr14_vgpr15
	s_mov_b32 s21, 0
	s_branch .LBB1_158
.LBB1_156:                              ;   in Loop: Header=BB1_143 Depth=1
	v_mov_b32_e32 v14, 0
	v_mov_b32_e32 v15, 0
.LBB1_157:                              ;   in Loop: Header=BB1_143 Depth=1
	s_mov_b64 s[16:17], s[4:5]
	s_mov_b32 s21, 0
	s_cbranch_execnz .LBB1_159
.LBB1_158:                              ;   in Loop: Header=BB1_143 Depth=1
	global_load_dwordx2 v[14:15], v3, s[4:5]
	s_add_i32 s21, s20, -8
.LBB1_159:                              ;   in Loop: Header=BB1_143 Depth=1
	s_add_u32 s4, s16, 8
	s_addc_u32 s5, s17, 0
	s_cmp_gt_u32 s21, 7
	s_cbranch_scc1 .LBB1_163
; %bb.160:                              ;   in Loop: Header=BB1_143 Depth=1
	s_cmp_eq_u32 s21, 0
	s_cbranch_scc1 .LBB1_164
; %bb.161:                              ;   in Loop: Header=BB1_143 Depth=1
	v_mov_b32_e32 v16, 0
	s_mov_b64 s[4:5], 0
	v_mov_b32_e32 v17, 0
	s_mov_b64 s[18:19], 0
.LBB1_162:                              ;   Parent Loop BB1_143 Depth=1
                                        ; =>  This Inner Loop Header: Depth=2
	s_add_u32 s22, s16, s18
	s_addc_u32 s23, s17, s19
	global_load_ubyte v2, v3, s[22:23]
	s_add_u32 s18, s18, 1
	s_addc_u32 s19, s19, 0
	s_waitcnt vmcnt(0)
	v_and_b32_e32 v2, 0xffff, v2
	v_lshlrev_b64 v[10:11], s4, v[2:3]
	s_add_u32 s4, s4, 8
	s_addc_u32 s5, s5, 0
	v_or_b32_e32 v16, v10, v16
	s_cmp_lg_u32 s21, s18
	v_or_b32_e32 v17, v11, v17
	s_cbranch_scc1 .LBB1_162
	s_branch .LBB1_165
.LBB1_163:                              ;   in Loop: Header=BB1_143 Depth=1
	s_mov_b32 s20, 0
	s_branch .LBB1_166
.LBB1_164:                              ;   in Loop: Header=BB1_143 Depth=1
	v_mov_b32_e32 v16, 0
	v_mov_b32_e32 v17, 0
.LBB1_165:                              ;   in Loop: Header=BB1_143 Depth=1
	s_mov_b64 s[4:5], s[16:17]
	s_mov_b32 s20, 0
	s_cbranch_execnz .LBB1_167
.LBB1_166:                              ;   in Loop: Header=BB1_143 Depth=1
	global_load_dwordx2 v[16:17], v3, s[16:17]
	s_add_i32 s20, s21, -8
.LBB1_167:                              ;   in Loop: Header=BB1_143 Depth=1
	s_add_u32 s16, s4, 8
	s_addc_u32 s17, s5, 0
	s_cmp_gt_u32 s20, 7
	s_cbranch_scc1 .LBB1_171
; %bb.168:                              ;   in Loop: Header=BB1_143 Depth=1
	s_cmp_eq_u32 s20, 0
	s_cbranch_scc1 .LBB1_172
; %bb.169:                              ;   in Loop: Header=BB1_143 Depth=1
	v_mov_b32_e32 v18, 0
	s_mov_b64 s[16:17], 0
	v_mov_b32_e32 v19, 0
	s_mov_b64 s[18:19], 0
.LBB1_170:                              ;   Parent Loop BB1_143 Depth=1
                                        ; =>  This Inner Loop Header: Depth=2
	s_add_u32 s22, s4, s18
	s_addc_u32 s23, s5, s19
	global_load_ubyte v2, v3, s[22:23]
	s_add_u32 s18, s18, 1
	s_addc_u32 s19, s19, 0
	s_waitcnt vmcnt(0)
	v_and_b32_e32 v2, 0xffff, v2
	v_lshlrev_b64 v[10:11], s16, v[2:3]
	s_add_u32 s16, s16, 8
	s_addc_u32 s17, s17, 0
	v_or_b32_e32 v18, v10, v18
	s_cmp_lg_u32 s20, s18
	v_or_b32_e32 v19, v11, v19
	s_cbranch_scc1 .LBB1_170
	s_branch .LBB1_173
.LBB1_171:                              ;   in Loop: Header=BB1_143 Depth=1
                                        ; implicit-def: $vgpr18_vgpr19
	s_mov_b32 s21, 0
	s_branch .LBB1_174
.LBB1_172:                              ;   in Loop: Header=BB1_143 Depth=1
	v_mov_b32_e32 v18, 0
	v_mov_b32_e32 v19, 0
.LBB1_173:                              ;   in Loop: Header=BB1_143 Depth=1
	s_mov_b64 s[16:17], s[4:5]
	s_mov_b32 s21, 0
	s_cbranch_execnz .LBB1_175
.LBB1_174:                              ;   in Loop: Header=BB1_143 Depth=1
	global_load_dwordx2 v[18:19], v3, s[4:5]
	s_add_i32 s21, s20, -8
.LBB1_175:                              ;   in Loop: Header=BB1_143 Depth=1
	s_add_u32 s4, s16, 8
	s_addc_u32 s5, s17, 0
	s_cmp_gt_u32 s21, 7
	s_cbranch_scc1 .LBB1_179
; %bb.176:                              ;   in Loop: Header=BB1_143 Depth=1
	s_cmp_eq_u32 s21, 0
	s_cbranch_scc1 .LBB1_180
; %bb.177:                              ;   in Loop: Header=BB1_143 Depth=1
	v_mov_b32_e32 v20, 0
	s_mov_b64 s[4:5], 0
	v_mov_b32_e32 v21, 0
	s_mov_b64 s[18:19], 0
.LBB1_178:                              ;   Parent Loop BB1_143 Depth=1
                                        ; =>  This Inner Loop Header: Depth=2
	s_add_u32 s22, s16, s18
	s_addc_u32 s23, s17, s19
	global_load_ubyte v2, v3, s[22:23]
	s_add_u32 s18, s18, 1
	s_addc_u32 s19, s19, 0
	s_waitcnt vmcnt(0)
	v_and_b32_e32 v2, 0xffff, v2
	v_lshlrev_b64 v[10:11], s4, v[2:3]
	s_add_u32 s4, s4, 8
	s_addc_u32 s5, s5, 0
	v_or_b32_e32 v20, v10, v20
	s_cmp_lg_u32 s21, s18
	v_or_b32_e32 v21, v11, v21
	s_cbranch_scc1 .LBB1_178
	s_branch .LBB1_181
.LBB1_179:                              ;   in Loop: Header=BB1_143 Depth=1
	s_mov_b32 s20, 0
	s_branch .LBB1_182
.LBB1_180:                              ;   in Loop: Header=BB1_143 Depth=1
	v_mov_b32_e32 v20, 0
	v_mov_b32_e32 v21, 0
.LBB1_181:                              ;   in Loop: Header=BB1_143 Depth=1
	s_mov_b64 s[4:5], s[16:17]
	s_mov_b32 s20, 0
	s_cbranch_execnz .LBB1_183
.LBB1_182:                              ;   in Loop: Header=BB1_143 Depth=1
	global_load_dwordx2 v[20:21], v3, s[16:17]
	s_add_i32 s20, s21, -8
.LBB1_183:                              ;   in Loop: Header=BB1_143 Depth=1
	s_add_u32 s16, s4, 8
	s_addc_u32 s17, s5, 0
	s_cmp_gt_u32 s20, 7
	s_cbranch_scc1 .LBB1_187
; %bb.184:                              ;   in Loop: Header=BB1_143 Depth=1
	s_cmp_eq_u32 s20, 0
	s_cbranch_scc1 .LBB1_188
; %bb.185:                              ;   in Loop: Header=BB1_143 Depth=1
	v_mov_b32_e32 v22, 0
	s_mov_b64 s[16:17], 0
	v_mov_b32_e32 v23, 0
	s_mov_b64 s[18:19], 0
.LBB1_186:                              ;   Parent Loop BB1_143 Depth=1
                                        ; =>  This Inner Loop Header: Depth=2
	s_add_u32 s22, s4, s18
	s_addc_u32 s23, s5, s19
	global_load_ubyte v2, v3, s[22:23]
	s_add_u32 s18, s18, 1
	s_addc_u32 s19, s19, 0
	s_waitcnt vmcnt(0)
	v_and_b32_e32 v2, 0xffff, v2
	v_lshlrev_b64 v[10:11], s16, v[2:3]
	s_add_u32 s16, s16, 8
	s_addc_u32 s17, s17, 0
	v_or_b32_e32 v22, v10, v22
	s_cmp_lg_u32 s20, s18
	v_or_b32_e32 v23, v11, v23
	s_cbranch_scc1 .LBB1_186
	s_branch .LBB1_189
.LBB1_187:                              ;   in Loop: Header=BB1_143 Depth=1
                                        ; implicit-def: $vgpr22_vgpr23
	s_mov_b32 s21, 0
	s_branch .LBB1_190
.LBB1_188:                              ;   in Loop: Header=BB1_143 Depth=1
	v_mov_b32_e32 v22, 0
	v_mov_b32_e32 v23, 0
.LBB1_189:                              ;   in Loop: Header=BB1_143 Depth=1
	s_mov_b64 s[16:17], s[4:5]
	s_mov_b32 s21, 0
	s_cbranch_execnz .LBB1_191
.LBB1_190:                              ;   in Loop: Header=BB1_143 Depth=1
	global_load_dwordx2 v[22:23], v3, s[4:5]
	s_add_i32 s21, s20, -8
.LBB1_191:                              ;   in Loop: Header=BB1_143 Depth=1
	s_cmp_gt_u32 s21, 7
	s_cbranch_scc1 .LBB1_195
; %bb.192:                              ;   in Loop: Header=BB1_143 Depth=1
	s_cmp_eq_u32 s21, 0
	s_cbranch_scc1 .LBB1_196
; %bb.193:                              ;   in Loop: Header=BB1_143 Depth=1
	v_mov_b32_e32 v24, 0
	s_mov_b64 s[4:5], 0
	v_mov_b32_e32 v25, 0
	s_mov_b64 s[18:19], s[16:17]
.LBB1_194:                              ;   Parent Loop BB1_143 Depth=1
                                        ; =>  This Inner Loop Header: Depth=2
	global_load_ubyte v2, v3, s[18:19]
	s_add_i32 s21, s21, -1
	s_waitcnt vmcnt(0)
	v_and_b32_e32 v2, 0xffff, v2
	v_lshlrev_b64 v[10:11], s4, v[2:3]
	s_add_u32 s4, s4, 8
	s_addc_u32 s5, s5, 0
	s_add_u32 s18, s18, 1
	s_addc_u32 s19, s19, 0
	v_or_b32_e32 v24, v10, v24
	s_cmp_lg_u32 s21, 0
	v_or_b32_e32 v25, v11, v25
	s_cbranch_scc1 .LBB1_194
	s_branch .LBB1_197
.LBB1_195:                              ;   in Loop: Header=BB1_143 Depth=1
	s_branch .LBB1_198
.LBB1_196:                              ;   in Loop: Header=BB1_143 Depth=1
	v_mov_b32_e32 v24, 0
	v_mov_b32_e32 v25, 0
.LBB1_197:                              ;   in Loop: Header=BB1_143 Depth=1
	s_cbranch_execnz .LBB1_199
.LBB1_198:                              ;   in Loop: Header=BB1_143 Depth=1
	global_load_dwordx2 v[24:25], v3, s[16:17]
.LBB1_199:                              ;   in Loop: Header=BB1_143 Depth=1
	v_readfirstlane_b32 s4, v34
	v_mov_b32_e32 v10, 0
	v_mov_b32_e32 v11, 0
	v_cmp_eq_u32_e64 s[4:5], s4, v34
	s_and_saveexec_b64 s[16:17], s[4:5]
	s_cbranch_execz .LBB1_205
; %bb.200:                              ;   in Loop: Header=BB1_143 Depth=1
	global_load_dwordx2 v[28:29], v3, s[10:11] offset:24 glc
	s_waitcnt vmcnt(0)
	buffer_wbinvl1_vol
	global_load_dwordx2 v[10:11], v3, s[10:11] offset:40
	global_load_dwordx2 v[26:27], v3, s[10:11]
	s_waitcnt vmcnt(1)
	v_and_b32_e32 v2, v10, v28
	v_and_b32_e32 v10, v11, v29
	v_mul_lo_u32 v10, v10, 24
	v_mul_hi_u32 v11, v2, 24
	v_mul_lo_u32 v2, v2, 24
	v_add_u32_e32 v11, v11, v10
	s_waitcnt vmcnt(0)
	v_add_co_u32_e32 v10, vcc, v26, v2
	v_addc_co_u32_e32 v11, vcc, v27, v11, vcc
	global_load_dwordx2 v[26:27], v[10:11], off glc
	s_waitcnt vmcnt(0)
	global_atomic_cmpswap_x2 v[10:11], v3, v[26:29], s[10:11] offset:24 glc
	s_waitcnt vmcnt(0)
	buffer_wbinvl1_vol
	v_cmp_ne_u64_e32 vcc, v[10:11], v[28:29]
	s_and_saveexec_b64 s[18:19], vcc
	s_cbranch_execz .LBB1_204
; %bb.201:                              ;   in Loop: Header=BB1_143 Depth=1
	s_mov_b64 s[20:21], 0
.LBB1_202:                              ;   Parent Loop BB1_143 Depth=1
                                        ; =>  This Inner Loop Header: Depth=2
	s_sleep 1
	global_load_dwordx2 v[26:27], v3, s[10:11] offset:40
	global_load_dwordx2 v[30:31], v3, s[10:11]
	v_mov_b32_e32 v29, v11
	v_mov_b32_e32 v28, v10
	s_waitcnt vmcnt(1)
	v_and_b32_e32 v2, v26, v28
	s_waitcnt vmcnt(0)
	v_mad_u64_u32 v[10:11], s[22:23], v2, 24, v[30:31]
	v_and_b32_e32 v26, v27, v29
	v_mov_b32_e32 v2, v11
	v_mad_u64_u32 v[26:27], s[22:23], v26, 24, v[2:3]
	v_mov_b32_e32 v11, v26
	global_load_dwordx2 v[26:27], v[10:11], off glc
	s_waitcnt vmcnt(0)
	global_atomic_cmpswap_x2 v[10:11], v3, v[26:29], s[10:11] offset:24 glc
	s_waitcnt vmcnt(0)
	buffer_wbinvl1_vol
	v_cmp_eq_u64_e32 vcc, v[10:11], v[28:29]
	s_or_b64 s[20:21], vcc, s[20:21]
	s_andn2_b64 exec, exec, s[20:21]
	s_cbranch_execnz .LBB1_202
; %bb.203:                              ;   in Loop: Header=BB1_143 Depth=1
	s_or_b64 exec, exec, s[20:21]
.LBB1_204:                              ;   in Loop: Header=BB1_143 Depth=1
	s_or_b64 exec, exec, s[18:19]
.LBB1_205:                              ;   in Loop: Header=BB1_143 Depth=1
	s_or_b64 exec, exec, s[16:17]
	global_load_dwordx2 v[30:31], v3, s[10:11] offset:40
	global_load_dwordx4 v[26:29], v3, s[10:11]
	v_readfirstlane_b32 s17, v11
	v_readfirstlane_b32 s16, v10
	s_mov_b64 s[18:19], exec
	s_waitcnt vmcnt(1)
	v_readfirstlane_b32 s20, v30
	v_readfirstlane_b32 s21, v31
	s_and_b64 s[20:21], s[20:21], s[16:17]
	s_mul_i32 s22, s21, 24
	s_mul_hi_u32 s23, s20, 24
	s_mul_i32 s24, s20, 24
	s_add_i32 s22, s23, s22
	v_mov_b32_e32 v2, s22
	s_waitcnt vmcnt(0)
	v_add_co_u32_e32 v30, vcc, s24, v26
	v_addc_co_u32_e32 v31, vcc, v27, v2, vcc
	s_and_saveexec_b64 s[22:23], s[4:5]
	s_cbranch_execz .LBB1_207
; %bb.206:                              ;   in Loop: Header=BB1_143 Depth=1
	v_mov_b32_e32 v10, s18
	v_mov_b32_e32 v11, s19
	global_store_dwordx4 v[30:31], v[10:13], off offset:8
.LBB1_207:                              ;   in Loop: Header=BB1_143 Depth=1
	s_or_b64 exec, exec, s[22:23]
	s_lshl_b64 s[18:19], s[20:21], 12
	v_mov_b32_e32 v2, s19
	v_add_co_u32_e32 v28, vcc, s18, v28
	v_addc_co_u32_e32 v29, vcc, v29, v2, vcc
	v_cmp_lt_u64_e64 vcc, s[12:13], 57
	s_lshl_b32 s18, s14, 2
	v_cndmask_b32_e32 v2, 0, v32, vcc
	s_add_i32 s18, s18, 28
	v_and_b32_e32 v6, 0xffffff1f, v6
	s_and_b32 s18, s18, 0x1e0
	v_or_b32_e32 v2, v6, v2
	v_or_b32_e32 v6, s18, v2
	v_readfirstlane_b32 s18, v28
	v_readfirstlane_b32 s19, v29
	s_nop 4
	global_store_dwordx4 v35, v[6:9], s[18:19]
	global_store_dwordx4 v35, v[14:17], s[18:19] offset:16
	global_store_dwordx4 v35, v[18:21], s[18:19] offset:32
	;; [unrolled: 1-line block ×3, first 2 shown]
	s_and_saveexec_b64 s[18:19], s[4:5]
	s_cbranch_execz .LBB1_215
; %bb.208:                              ;   in Loop: Header=BB1_143 Depth=1
	global_load_dwordx2 v[16:17], v3, s[10:11] offset:32 glc
	global_load_dwordx2 v[6:7], v3, s[10:11] offset:40
	v_mov_b32_e32 v14, s16
	v_mov_b32_e32 v15, s17
	s_waitcnt vmcnt(0)
	v_readfirstlane_b32 s20, v6
	v_readfirstlane_b32 s21, v7
	s_and_b64 s[20:21], s[20:21], s[16:17]
	s_mul_i32 s21, s21, 24
	s_mul_hi_u32 s22, s20, 24
	s_mul_i32 s20, s20, 24
	s_add_i32 s21, s22, s21
	v_mov_b32_e32 v2, s21
	v_add_co_u32_e32 v10, vcc, s20, v26
	v_addc_co_u32_e32 v11, vcc, v27, v2, vcc
	global_store_dwordx2 v[10:11], v[16:17], off
	s_waitcnt vmcnt(0)
	global_atomic_cmpswap_x2 v[8:9], v3, v[14:17], s[10:11] offset:32 glc
	s_waitcnt vmcnt(0)
	v_cmp_ne_u64_e32 vcc, v[8:9], v[16:17]
	s_and_saveexec_b64 s[20:21], vcc
	s_cbranch_execz .LBB1_211
; %bb.209:                              ;   in Loop: Header=BB1_143 Depth=1
	s_mov_b64 s[22:23], 0
.LBB1_210:                              ;   Parent Loop BB1_143 Depth=1
                                        ; =>  This Inner Loop Header: Depth=2
	s_sleep 1
	global_store_dwordx2 v[10:11], v[8:9], off
	v_mov_b32_e32 v6, s16
	v_mov_b32_e32 v7, s17
	s_waitcnt vmcnt(0)
	global_atomic_cmpswap_x2 v[6:7], v3, v[6:9], s[10:11] offset:32 glc
	s_waitcnt vmcnt(0)
	v_cmp_eq_u64_e32 vcc, v[6:7], v[8:9]
	v_mov_b32_e32 v9, v7
	s_or_b64 s[22:23], vcc, s[22:23]
	v_mov_b32_e32 v8, v6
	s_andn2_b64 exec, exec, s[22:23]
	s_cbranch_execnz .LBB1_210
.LBB1_211:                              ;   in Loop: Header=BB1_143 Depth=1
	s_or_b64 exec, exec, s[20:21]
	global_load_dwordx2 v[6:7], v3, s[10:11] offset:16
	s_mov_b64 s[22:23], exec
	v_mbcnt_lo_u32_b32 v2, s22, 0
	v_mbcnt_hi_u32_b32 v2, s23, v2
	v_cmp_eq_u32_e32 vcc, 0, v2
	s_and_saveexec_b64 s[20:21], vcc
	s_cbranch_execz .LBB1_213
; %bb.212:                              ;   in Loop: Header=BB1_143 Depth=1
	s_bcnt1_i32_b64 s22, s[22:23]
	v_mov_b32_e32 v2, s22
	s_waitcnt vmcnt(0)
	global_atomic_add_x2 v[6:7], v[2:3], off offset:8
.LBB1_213:                              ;   in Loop: Header=BB1_143 Depth=1
	s_or_b64 exec, exec, s[20:21]
	s_waitcnt vmcnt(0)
	global_load_dwordx2 v[8:9], v[6:7], off offset:16
	s_waitcnt vmcnt(0)
	v_cmp_eq_u64_e32 vcc, 0, v[8:9]
	s_cbranch_vccnz .LBB1_215
; %bb.214:                              ;   in Loop: Header=BB1_143 Depth=1
	global_load_dword v2, v[6:7], off offset:24
	s_waitcnt vmcnt(0)
	v_readfirstlane_b32 s20, v2
	s_and_b32 m0, s20, 0xffffff
	global_store_dwordx2 v[8:9], v[2:3], off
	s_sendmsg sendmsg(MSG_INTERRUPT)
.LBB1_215:                              ;   in Loop: Header=BB1_143 Depth=1
	s_or_b64 exec, exec, s[18:19]
	v_add_co_u32_e32 v6, vcc, v28, v35
	v_addc_co_u32_e32 v7, vcc, 0, v29, vcc
	s_branch .LBB1_219
.LBB1_216:                              ;   in Loop: Header=BB1_219 Depth=2
	s_or_b64 exec, exec, s[18:19]
	v_readfirstlane_b32 s18, v2
	s_cmp_eq_u32 s18, 0
	s_cbranch_scc1 .LBB1_218
; %bb.217:                              ;   in Loop: Header=BB1_219 Depth=2
	s_sleep 1
	s_cbranch_execnz .LBB1_219
	s_branch .LBB1_221
.LBB1_218:                              ;   in Loop: Header=BB1_143 Depth=1
	s_branch .LBB1_221
.LBB1_219:                              ;   Parent Loop BB1_143 Depth=1
                                        ; =>  This Inner Loop Header: Depth=2
	v_mov_b32_e32 v2, 1
	s_and_saveexec_b64 s[18:19], s[4:5]
	s_cbranch_execz .LBB1_216
; %bb.220:                              ;   in Loop: Header=BB1_219 Depth=2
	global_load_dword v2, v[30:31], off offset:20 glc
	s_waitcnt vmcnt(0)
	buffer_wbinvl1_vol
	v_and_b32_e32 v2, 1, v2
	s_branch .LBB1_216
.LBB1_221:                              ;   in Loop: Header=BB1_143 Depth=1
	global_load_dwordx2 v[6:7], v[6:7], off
	s_and_saveexec_b64 s[18:19], s[4:5]
	s_cbranch_execz .LBB1_142
; %bb.222:                              ;   in Loop: Header=BB1_143 Depth=1
	global_load_dwordx2 v[8:9], v3, s[10:11] offset:40
	global_load_dwordx2 v[18:19], v3, s[10:11] offset:24 glc
	global_load_dwordx2 v[10:11], v3, s[10:11]
	s_waitcnt vmcnt(2)
	v_readfirstlane_b32 s20, v8
	v_readfirstlane_b32 s21, v9
	s_add_u32 s22, s20, 1
	s_addc_u32 s23, s21, 0
	s_add_u32 s4, s22, s16
	s_addc_u32 s5, s23, s17
	s_cmp_eq_u64 s[4:5], 0
	s_cselect_b32 s5, s23, s5
	s_cselect_b32 s4, s22, s4
	s_and_b64 s[16:17], s[4:5], s[20:21]
	s_mul_i32 s17, s17, 24
	s_mul_hi_u32 s20, s16, 24
	s_mul_i32 s16, s16, 24
	s_add_i32 s17, s20, s17
	v_mov_b32_e32 v2, s17
	s_waitcnt vmcnt(0)
	v_add_co_u32_e32 v14, vcc, s16, v10
	v_addc_co_u32_e32 v15, vcc, v11, v2, vcc
	v_mov_b32_e32 v16, s4
	global_store_dwordx2 v[14:15], v[18:19], off
	v_mov_b32_e32 v17, s5
	s_waitcnt vmcnt(0)
	global_atomic_cmpswap_x2 v[10:11], v3, v[16:19], s[10:11] offset:24 glc
	s_waitcnt vmcnt(0)
	v_cmp_ne_u64_e32 vcc, v[10:11], v[18:19]
	s_and_b64 exec, exec, vcc
	s_cbranch_execz .LBB1_142
; %bb.223:                              ;   in Loop: Header=BB1_143 Depth=1
	s_mov_b64 s[16:17], 0
.LBB1_224:                              ;   Parent Loop BB1_143 Depth=1
                                        ; =>  This Inner Loop Header: Depth=2
	s_sleep 1
	global_store_dwordx2 v[14:15], v[10:11], off
	v_mov_b32_e32 v8, s4
	v_mov_b32_e32 v9, s5
	s_waitcnt vmcnt(0)
	global_atomic_cmpswap_x2 v[8:9], v3, v[8:11], s[10:11] offset:24 glc
	s_waitcnt vmcnt(0)
	v_cmp_eq_u64_e32 vcc, v[8:9], v[10:11]
	v_mov_b32_e32 v11, v9
	s_or_b64 s[16:17], vcc, s[16:17]
	v_mov_b32_e32 v10, v8
	s_andn2_b64 exec, exec, s[16:17]
	s_cbranch_execnz .LBB1_224
	s_branch .LBB1_142
.LBB1_225:
                                        ; implicit-def: $vgpr6_vgpr7
	s_cbranch_execnz .LBB1_227
	s_branch .LBB1_253
.LBB1_226:
	s_branch .LBB1_253
.LBB1_227:
	v_readfirstlane_b32 s4, v34
	v_mov_b32_e32 v10, 0
	v_mov_b32_e32 v11, 0
	v_cmp_eq_u32_e64 s[4:5], s4, v34
	s_and_saveexec_b64 s[6:7], s[4:5]
	s_cbranch_execz .LBB1_233
; %bb.228:
	v_mov_b32_e32 v2, 0
	global_load_dwordx2 v[8:9], v2, s[10:11] offset:24 glc
	s_waitcnt vmcnt(0)
	buffer_wbinvl1_vol
	global_load_dwordx2 v[6:7], v2, s[10:11] offset:40
	global_load_dwordx2 v[10:11], v2, s[10:11]
	s_waitcnt vmcnt(1)
	v_and_b32_e32 v3, v6, v8
	v_and_b32_e32 v6, v7, v9
	v_mul_lo_u32 v6, v6, 24
	v_mul_hi_u32 v7, v3, 24
	v_mul_lo_u32 v3, v3, 24
	v_add_u32_e32 v7, v7, v6
	s_waitcnt vmcnt(0)
	v_add_co_u32_e32 v6, vcc, v10, v3
	v_addc_co_u32_e32 v7, vcc, v11, v7, vcc
	global_load_dwordx2 v[6:7], v[6:7], off glc
	s_waitcnt vmcnt(0)
	global_atomic_cmpswap_x2 v[10:11], v2, v[6:9], s[10:11] offset:24 glc
	s_waitcnt vmcnt(0)
	buffer_wbinvl1_vol
	v_cmp_ne_u64_e32 vcc, v[10:11], v[8:9]
	s_and_saveexec_b64 s[12:13], vcc
	s_cbranch_execz .LBB1_232
; %bb.229:
	s_mov_b64 s[14:15], 0
.LBB1_230:                              ; =>This Inner Loop Header: Depth=1
	s_sleep 1
	global_load_dwordx2 v[6:7], v2, s[10:11] offset:40
	global_load_dwordx2 v[12:13], v2, s[10:11]
	v_mov_b32_e32 v8, v10
	v_mov_b32_e32 v9, v11
	s_waitcnt vmcnt(1)
	v_and_b32_e32 v3, v6, v8
	s_waitcnt vmcnt(0)
	v_mad_u64_u32 v[10:11], s[16:17], v3, 24, v[12:13]
	v_and_b32_e32 v6, v7, v9
	v_mov_b32_e32 v3, v11
	v_mad_u64_u32 v[6:7], s[16:17], v6, 24, v[3:4]
	v_mov_b32_e32 v11, v6
	global_load_dwordx2 v[6:7], v[10:11], off glc
	s_waitcnt vmcnt(0)
	global_atomic_cmpswap_x2 v[10:11], v2, v[6:9], s[10:11] offset:24 glc
	s_waitcnt vmcnt(0)
	buffer_wbinvl1_vol
	v_cmp_eq_u64_e32 vcc, v[10:11], v[8:9]
	s_or_b64 s[14:15], vcc, s[14:15]
	s_andn2_b64 exec, exec, s[14:15]
	s_cbranch_execnz .LBB1_230
; %bb.231:
	s_or_b64 exec, exec, s[14:15]
.LBB1_232:
	s_or_b64 exec, exec, s[12:13]
.LBB1_233:
	s_or_b64 exec, exec, s[6:7]
	v_mov_b32_e32 v2, 0
	global_load_dwordx2 v[12:13], v2, s[10:11] offset:40
	global_load_dwordx4 v[6:9], v2, s[10:11]
	v_readfirstlane_b32 s7, v11
	v_readfirstlane_b32 s6, v10
	s_mov_b64 s[12:13], exec
	s_waitcnt vmcnt(1)
	v_readfirstlane_b32 s14, v12
	v_readfirstlane_b32 s15, v13
	s_and_b64 s[14:15], s[14:15], s[6:7]
	s_mul_i32 s16, s15, 24
	s_mul_hi_u32 s17, s14, 24
	s_mul_i32 s18, s14, 24
	s_add_i32 s16, s17, s16
	v_mov_b32_e32 v3, s16
	s_waitcnt vmcnt(0)
	v_add_co_u32_e32 v10, vcc, s18, v6
	v_addc_co_u32_e32 v11, vcc, v7, v3, vcc
	s_and_saveexec_b64 s[16:17], s[4:5]
	s_cbranch_execz .LBB1_235
; %bb.234:
	v_mov_b32_e32 v12, s12
	v_mov_b32_e32 v13, s13
	v_mov_b32_e32 v14, 2
	v_mov_b32_e32 v15, 1
	global_store_dwordx4 v[10:11], v[12:15], off offset:8
.LBB1_235:
	s_or_b64 exec, exec, s[16:17]
	s_lshl_b64 s[12:13], s[14:15], 12
	v_mov_b32_e32 v3, s13
	v_add_co_u32_e32 v12, vcc, s12, v8
	v_addc_co_u32_e32 v13, vcc, v9, v3, vcc
	s_movk_i32 s12, 0xff1f
	v_and_or_b32 v0, v0, s12, 32
	s_mov_b32 s12, 0
	v_mov_b32_e32 v3, v2
	v_readfirstlane_b32 s16, v12
	v_readfirstlane_b32 s17, v13
	v_add_co_u32_e32 v8, vcc, v12, v35
	s_mov_b32 s13, s12
	s_mov_b32 s14, s12
	;; [unrolled: 1-line block ×3, first 2 shown]
	s_nop 0
	global_store_dwordx4 v35, v[0:3], s[16:17]
	v_addc_co_u32_e32 v9, vcc, 0, v13, vcc
	v_mov_b32_e32 v0, s12
	v_mov_b32_e32 v1, s13
	;; [unrolled: 1-line block ×4, first 2 shown]
	global_store_dwordx4 v35, v[0:3], s[16:17] offset:16
	global_store_dwordx4 v35, v[0:3], s[16:17] offset:32
	;; [unrolled: 1-line block ×3, first 2 shown]
	s_and_saveexec_b64 s[12:13], s[4:5]
	s_cbranch_execz .LBB1_243
; %bb.236:
	v_mov_b32_e32 v12, 0
	global_load_dwordx2 v[15:16], v12, s[10:11] offset:32 glc
	global_load_dwordx2 v[0:1], v12, s[10:11] offset:40
	v_mov_b32_e32 v13, s6
	v_mov_b32_e32 v14, s7
	s_waitcnt vmcnt(0)
	v_readfirstlane_b32 s14, v0
	v_readfirstlane_b32 s15, v1
	s_and_b64 s[14:15], s[14:15], s[6:7]
	s_mul_i32 s15, s15, 24
	s_mul_hi_u32 s16, s14, 24
	s_mul_i32 s14, s14, 24
	s_add_i32 s15, s16, s15
	v_mov_b32_e32 v0, s15
	v_add_co_u32_e32 v6, vcc, s14, v6
	v_addc_co_u32_e32 v7, vcc, v7, v0, vcc
	global_store_dwordx2 v[6:7], v[15:16], off
	s_waitcnt vmcnt(0)
	global_atomic_cmpswap_x2 v[2:3], v12, v[13:16], s[10:11] offset:32 glc
	s_waitcnt vmcnt(0)
	v_cmp_ne_u64_e32 vcc, v[2:3], v[15:16]
	s_and_saveexec_b64 s[14:15], vcc
	s_cbranch_execz .LBB1_239
; %bb.237:
	s_mov_b64 s[16:17], 0
.LBB1_238:                              ; =>This Inner Loop Header: Depth=1
	s_sleep 1
	global_store_dwordx2 v[6:7], v[2:3], off
	v_mov_b32_e32 v0, s6
	v_mov_b32_e32 v1, s7
	s_waitcnt vmcnt(0)
	global_atomic_cmpswap_x2 v[0:1], v12, v[0:3], s[10:11] offset:32 glc
	s_waitcnt vmcnt(0)
	v_cmp_eq_u64_e32 vcc, v[0:1], v[2:3]
	v_mov_b32_e32 v3, v1
	s_or_b64 s[16:17], vcc, s[16:17]
	v_mov_b32_e32 v2, v0
	s_andn2_b64 exec, exec, s[16:17]
	s_cbranch_execnz .LBB1_238
.LBB1_239:
	s_or_b64 exec, exec, s[14:15]
	v_mov_b32_e32 v3, 0
	global_load_dwordx2 v[0:1], v3, s[10:11] offset:16
	s_mov_b64 s[14:15], exec
	v_mbcnt_lo_u32_b32 v2, s14, 0
	v_mbcnt_hi_u32_b32 v2, s15, v2
	v_cmp_eq_u32_e32 vcc, 0, v2
	s_and_saveexec_b64 s[16:17], vcc
	s_cbranch_execz .LBB1_241
; %bb.240:
	s_bcnt1_i32_b64 s14, s[14:15]
	v_mov_b32_e32 v2, s14
	s_waitcnt vmcnt(0)
	global_atomic_add_x2 v[0:1], v[2:3], off offset:8
.LBB1_241:
	s_or_b64 exec, exec, s[16:17]
	s_waitcnt vmcnt(0)
	global_load_dwordx2 v[2:3], v[0:1], off offset:16
	s_waitcnt vmcnt(0)
	v_cmp_eq_u64_e32 vcc, 0, v[2:3]
	s_cbranch_vccnz .LBB1_243
; %bb.242:
	global_load_dword v0, v[0:1], off offset:24
	v_mov_b32_e32 v1, 0
	s_waitcnt vmcnt(0)
	v_readfirstlane_b32 s14, v0
	s_and_b32 m0, s14, 0xffffff
	global_store_dwordx2 v[2:3], v[0:1], off
	s_sendmsg sendmsg(MSG_INTERRUPT)
.LBB1_243:
	s_or_b64 exec, exec, s[12:13]
	s_branch .LBB1_247
.LBB1_244:                              ;   in Loop: Header=BB1_247 Depth=1
	s_or_b64 exec, exec, s[12:13]
	v_readfirstlane_b32 s12, v0
	s_cmp_eq_u32 s12, 0
	s_cbranch_scc1 .LBB1_246
; %bb.245:                              ;   in Loop: Header=BB1_247 Depth=1
	s_sleep 1
	s_cbranch_execnz .LBB1_247
	s_branch .LBB1_249
.LBB1_246:
	s_branch .LBB1_249
.LBB1_247:                              ; =>This Inner Loop Header: Depth=1
	v_mov_b32_e32 v0, 1
	s_and_saveexec_b64 s[12:13], s[4:5]
	s_cbranch_execz .LBB1_244
; %bb.248:                              ;   in Loop: Header=BB1_247 Depth=1
	global_load_dword v0, v[10:11], off offset:20 glc
	s_waitcnt vmcnt(0)
	buffer_wbinvl1_vol
	v_and_b32_e32 v0, 1, v0
	s_branch .LBB1_244
.LBB1_249:
	global_load_dwordx2 v[6:7], v[8:9], off
	s_and_saveexec_b64 s[12:13], s[4:5]
	s_cbranch_execz .LBB1_252
; %bb.250:
	v_mov_b32_e32 v10, 0
	global_load_dwordx2 v[0:1], v10, s[10:11] offset:40
	global_load_dwordx2 v[13:14], v10, s[10:11] offset:24 glc
	global_load_dwordx2 v[2:3], v10, s[10:11]
	s_waitcnt vmcnt(2)
	v_readfirstlane_b32 s14, v0
	v_readfirstlane_b32 s15, v1
	s_add_u32 s16, s14, 1
	s_addc_u32 s17, s15, 0
	s_add_u32 s4, s16, s6
	s_addc_u32 s5, s17, s7
	s_cmp_eq_u64 s[4:5], 0
	s_cselect_b32 s5, s17, s5
	s_cselect_b32 s4, s16, s4
	s_and_b64 s[6:7], s[4:5], s[14:15]
	s_mul_i32 s7, s7, 24
	s_mul_hi_u32 s14, s6, 24
	s_mul_i32 s6, s6, 24
	s_add_i32 s7, s14, s7
	v_mov_b32_e32 v0, s7
	s_waitcnt vmcnt(0)
	v_add_co_u32_e32 v8, vcc, s6, v2
	v_addc_co_u32_e32 v9, vcc, v3, v0, vcc
	v_mov_b32_e32 v11, s4
	global_store_dwordx2 v[8:9], v[13:14], off
	v_mov_b32_e32 v12, s5
	s_waitcnt vmcnt(0)
	global_atomic_cmpswap_x2 v[2:3], v10, v[11:14], s[10:11] offset:24 glc
	s_mov_b64 s[6:7], 0
	s_waitcnt vmcnt(0)
	v_cmp_ne_u64_e32 vcc, v[2:3], v[13:14]
	s_and_b64 exec, exec, vcc
	s_cbranch_execz .LBB1_252
.LBB1_251:                              ; =>This Inner Loop Header: Depth=1
	s_sleep 1
	global_store_dwordx2 v[8:9], v[2:3], off
	v_mov_b32_e32 v0, s4
	v_mov_b32_e32 v1, s5
	s_waitcnt vmcnt(0)
	global_atomic_cmpswap_x2 v[0:1], v10, v[0:3], s[10:11] offset:24 glc
	s_waitcnt vmcnt(0)
	v_cmp_eq_u64_e32 vcc, v[0:1], v[2:3]
	v_mov_b32_e32 v3, v1
	s_or_b64 s[6:7], vcc, s[6:7]
	v_mov_b32_e32 v2, v0
	s_andn2_b64 exec, exec, s[6:7]
	s_cbranch_execnz .LBB1_251
.LBB1_252:
	s_or_b64 exec, exec, s[12:13]
.LBB1_253:
	v_readfirstlane_b32 s4, v34
	v_mov_b32_e32 v10, 0
	v_mov_b32_e32 v11, 0
	v_cmp_eq_u32_e64 s[4:5], s4, v34
	s_and_saveexec_b64 s[6:7], s[4:5]
	s_cbranch_execz .LBB1_259
; %bb.254:
	s_waitcnt vmcnt(0)
	v_mov_b32_e32 v0, 0
	global_load_dwordx2 v[12:13], v0, s[10:11] offset:24 glc
	s_waitcnt vmcnt(0)
	buffer_wbinvl1_vol
	global_load_dwordx2 v[1:2], v0, s[10:11] offset:40
	global_load_dwordx2 v[8:9], v0, s[10:11]
	s_waitcnt vmcnt(1)
	v_and_b32_e32 v1, v1, v12
	v_and_b32_e32 v2, v2, v13
	v_mul_lo_u32 v2, v2, 24
	v_mul_hi_u32 v3, v1, 24
	v_mul_lo_u32 v1, v1, 24
	v_add_u32_e32 v2, v3, v2
	s_waitcnt vmcnt(0)
	v_add_co_u32_e32 v1, vcc, v8, v1
	v_addc_co_u32_e32 v2, vcc, v9, v2, vcc
	global_load_dwordx2 v[10:11], v[1:2], off glc
	s_waitcnt vmcnt(0)
	global_atomic_cmpswap_x2 v[10:11], v0, v[10:13], s[10:11] offset:24 glc
	s_waitcnt vmcnt(0)
	buffer_wbinvl1_vol
	v_cmp_ne_u64_e32 vcc, v[10:11], v[12:13]
	s_and_saveexec_b64 s[12:13], vcc
	s_cbranch_execz .LBB1_258
; %bb.255:
	s_mov_b64 s[14:15], 0
.LBB1_256:                              ; =>This Inner Loop Header: Depth=1
	s_sleep 1
	global_load_dwordx2 v[1:2], v0, s[10:11] offset:40
	global_load_dwordx2 v[8:9], v0, s[10:11]
	v_mov_b32_e32 v13, v11
	v_mov_b32_e32 v12, v10
	s_waitcnt vmcnt(1)
	v_and_b32_e32 v1, v1, v12
	s_waitcnt vmcnt(0)
	v_mad_u64_u32 v[8:9], s[16:17], v1, 24, v[8:9]
	v_and_b32_e32 v2, v2, v13
	v_mov_b32_e32 v1, v9
	v_mad_u64_u32 v[1:2], s[16:17], v2, 24, v[1:2]
	v_mov_b32_e32 v9, v1
	global_load_dwordx2 v[10:11], v[8:9], off glc
	s_waitcnt vmcnt(0)
	global_atomic_cmpswap_x2 v[10:11], v0, v[10:13], s[10:11] offset:24 glc
	s_waitcnt vmcnt(0)
	buffer_wbinvl1_vol
	v_cmp_eq_u64_e32 vcc, v[10:11], v[12:13]
	s_or_b64 s[14:15], vcc, s[14:15]
	s_andn2_b64 exec, exec, s[14:15]
	s_cbranch_execnz .LBB1_256
; %bb.257:
	s_or_b64 exec, exec, s[14:15]
.LBB1_258:
	s_or_b64 exec, exec, s[12:13]
.LBB1_259:
	s_or_b64 exec, exec, s[6:7]
	v_mov_b32_e32 v9, 0
	global_load_dwordx2 v[12:13], v9, s[10:11] offset:40
	global_load_dwordx4 v[0:3], v9, s[10:11]
	v_readfirstlane_b32 s7, v11
	v_readfirstlane_b32 s6, v10
	s_mov_b64 s[12:13], exec
	s_waitcnt vmcnt(1)
	v_readfirstlane_b32 s14, v12
	v_readfirstlane_b32 s15, v13
	s_and_b64 s[14:15], s[14:15], s[6:7]
	s_mul_i32 s16, s15, 24
	s_mul_hi_u32 s17, s14, 24
	s_mul_i32 s18, s14, 24
	s_add_i32 s16, s17, s16
	v_mov_b32_e32 v8, s16
	s_waitcnt vmcnt(0)
	v_add_co_u32_e32 v10, vcc, s18, v0
	v_addc_co_u32_e32 v11, vcc, v1, v8, vcc
	s_and_saveexec_b64 s[16:17], s[4:5]
	s_cbranch_execz .LBB1_261
; %bb.260:
	v_mov_b32_e32 v12, s12
	v_mov_b32_e32 v13, s13
	v_mov_b32_e32 v14, 2
	v_mov_b32_e32 v15, 1
	global_store_dwordx4 v[10:11], v[12:15], off offset:8
.LBB1_261:
	s_or_b64 exec, exec, s[16:17]
	s_lshl_b64 s[12:13], s[14:15], 12
	v_mov_b32_e32 v8, s13
	v_add_co_u32_e32 v2, vcc, s12, v2
	v_addc_co_u32_e32 v3, vcc, v3, v8, vcc
	s_movk_i32 s12, 0xff1f
	v_and_or_b32 v6, v6, s12, 32
	s_mov_b32 s12, 0
	v_mov_b32_e32 v8, 0x331
	v_readfirstlane_b32 s16, v2
	v_readfirstlane_b32 s17, v3
	v_add_co_u32_e32 v12, vcc, v2, v35
	s_mov_b32 s13, s12
	s_mov_b32 s14, s12
	;; [unrolled: 1-line block ×3, first 2 shown]
	s_nop 0
	global_store_dwordx4 v35, v[6:9], s[16:17]
	v_addc_co_u32_e32 v13, vcc, 0, v3, vcc
	v_mov_b32_e32 v6, s12
	v_mov_b32_e32 v7, s13
	;; [unrolled: 1-line block ×4, first 2 shown]
	global_store_dwordx4 v35, v[6:9], s[16:17] offset:16
	global_store_dwordx4 v35, v[6:9], s[16:17] offset:32
	;; [unrolled: 1-line block ×3, first 2 shown]
	s_and_saveexec_b64 s[12:13], s[4:5]
	s_cbranch_execz .LBB1_269
; %bb.262:
	v_mov_b32_e32 v8, 0
	global_load_dwordx2 v[16:17], v8, s[10:11] offset:32 glc
	global_load_dwordx2 v[2:3], v8, s[10:11] offset:40
	v_mov_b32_e32 v14, s6
	v_mov_b32_e32 v15, s7
	s_waitcnt vmcnt(0)
	v_readfirstlane_b32 s14, v2
	v_readfirstlane_b32 s15, v3
	s_and_b64 s[14:15], s[14:15], s[6:7]
	s_mul_i32 s15, s15, 24
	s_mul_hi_u32 s16, s14, 24
	s_mul_i32 s14, s14, 24
	s_add_i32 s15, s16, s15
	v_mov_b32_e32 v2, s15
	v_add_co_u32_e32 v6, vcc, s14, v0
	v_addc_co_u32_e32 v7, vcc, v1, v2, vcc
	global_store_dwordx2 v[6:7], v[16:17], off
	s_waitcnt vmcnt(0)
	global_atomic_cmpswap_x2 v[2:3], v8, v[14:17], s[10:11] offset:32 glc
	s_waitcnt vmcnt(0)
	v_cmp_ne_u64_e32 vcc, v[2:3], v[16:17]
	s_and_saveexec_b64 s[14:15], vcc
	s_cbranch_execz .LBB1_265
; %bb.263:
	s_mov_b64 s[16:17], 0
.LBB1_264:                              ; =>This Inner Loop Header: Depth=1
	s_sleep 1
	global_store_dwordx2 v[6:7], v[2:3], off
	v_mov_b32_e32 v0, s6
	v_mov_b32_e32 v1, s7
	s_waitcnt vmcnt(0)
	global_atomic_cmpswap_x2 v[0:1], v8, v[0:3], s[10:11] offset:32 glc
	s_waitcnt vmcnt(0)
	v_cmp_eq_u64_e32 vcc, v[0:1], v[2:3]
	v_mov_b32_e32 v3, v1
	s_or_b64 s[16:17], vcc, s[16:17]
	v_mov_b32_e32 v2, v0
	s_andn2_b64 exec, exec, s[16:17]
	s_cbranch_execnz .LBB1_264
.LBB1_265:
	s_or_b64 exec, exec, s[14:15]
	v_mov_b32_e32 v3, 0
	global_load_dwordx2 v[0:1], v3, s[10:11] offset:16
	s_mov_b64 s[14:15], exec
	v_mbcnt_lo_u32_b32 v2, s14, 0
	v_mbcnt_hi_u32_b32 v2, s15, v2
	v_cmp_eq_u32_e32 vcc, 0, v2
	s_and_saveexec_b64 s[16:17], vcc
	s_cbranch_execz .LBB1_267
; %bb.266:
	s_bcnt1_i32_b64 s14, s[14:15]
	v_mov_b32_e32 v2, s14
	s_waitcnt vmcnt(0)
	global_atomic_add_x2 v[0:1], v[2:3], off offset:8
.LBB1_267:
	s_or_b64 exec, exec, s[16:17]
	s_waitcnt vmcnt(0)
	global_load_dwordx2 v[2:3], v[0:1], off offset:16
	s_waitcnt vmcnt(0)
	v_cmp_eq_u64_e32 vcc, 0, v[2:3]
	s_cbranch_vccnz .LBB1_269
; %bb.268:
	global_load_dword v0, v[0:1], off offset:24
	v_mov_b32_e32 v1, 0
	s_waitcnt vmcnt(0)
	v_readfirstlane_b32 s14, v0
	s_and_b32 m0, s14, 0xffffff
	global_store_dwordx2 v[2:3], v[0:1], off
	s_sendmsg sendmsg(MSG_INTERRUPT)
.LBB1_269:
	s_or_b64 exec, exec, s[12:13]
	s_branch .LBB1_273
.LBB1_270:                              ;   in Loop: Header=BB1_273 Depth=1
	s_or_b64 exec, exec, s[12:13]
	v_readfirstlane_b32 s12, v0
	s_cmp_eq_u32 s12, 0
	s_cbranch_scc1 .LBB1_272
; %bb.271:                              ;   in Loop: Header=BB1_273 Depth=1
	s_sleep 1
	s_cbranch_execnz .LBB1_273
	s_branch .LBB1_275
.LBB1_272:
	s_branch .LBB1_275
.LBB1_273:                              ; =>This Inner Loop Header: Depth=1
	v_mov_b32_e32 v0, 1
	s_and_saveexec_b64 s[12:13], s[4:5]
	s_cbranch_execz .LBB1_270
; %bb.274:                              ;   in Loop: Header=BB1_273 Depth=1
	global_load_dword v0, v[10:11], off offset:20 glc
	s_waitcnt vmcnt(0)
	buffer_wbinvl1_vol
	v_and_b32_e32 v0, 1, v0
	s_branch .LBB1_270
.LBB1_275:
	global_load_dwordx2 v[0:1], v[12:13], off
	s_and_saveexec_b64 s[12:13], s[4:5]
	s_cbranch_execz .LBB1_278
; %bb.276:
	v_mov_b32_e32 v10, 0
	global_load_dwordx2 v[2:3], v10, s[10:11] offset:40
	global_load_dwordx2 v[13:14], v10, s[10:11] offset:24 glc
	global_load_dwordx2 v[6:7], v10, s[10:11]
	s_waitcnt vmcnt(2)
	v_readfirstlane_b32 s14, v2
	v_readfirstlane_b32 s15, v3
	s_add_u32 s16, s14, 1
	s_addc_u32 s17, s15, 0
	s_add_u32 s4, s16, s6
	s_addc_u32 s5, s17, s7
	s_cmp_eq_u64 s[4:5], 0
	s_cselect_b32 s5, s17, s5
	s_cselect_b32 s4, s16, s4
	s_and_b64 s[6:7], s[4:5], s[14:15]
	s_mul_i32 s7, s7, 24
	s_mul_hi_u32 s14, s6, 24
	s_mul_i32 s6, s6, 24
	s_add_i32 s7, s14, s7
	v_mov_b32_e32 v3, s7
	s_waitcnt vmcnt(0)
	v_add_co_u32_e32 v2, vcc, s6, v6
	v_addc_co_u32_e32 v3, vcc, v7, v3, vcc
	v_mov_b32_e32 v11, s4
	global_store_dwordx2 v[2:3], v[13:14], off
	v_mov_b32_e32 v12, s5
	s_waitcnt vmcnt(0)
	global_atomic_cmpswap_x2 v[8:9], v10, v[11:14], s[10:11] offset:24 glc
	s_mov_b64 s[6:7], 0
	s_waitcnt vmcnt(0)
	v_cmp_ne_u64_e32 vcc, v[8:9], v[13:14]
	s_and_b64 exec, exec, vcc
	s_cbranch_execz .LBB1_278
.LBB1_277:                              ; =>This Inner Loop Header: Depth=1
	s_sleep 1
	global_store_dwordx2 v[2:3], v[8:9], off
	v_mov_b32_e32 v6, s4
	v_mov_b32_e32 v7, s5
	s_waitcnt vmcnt(0)
	global_atomic_cmpswap_x2 v[6:7], v10, v[6:9], s[10:11] offset:24 glc
	s_waitcnt vmcnt(0)
	v_cmp_eq_u64_e32 vcc, v[6:7], v[8:9]
	v_mov_b32_e32 v9, v7
	s_or_b64 s[6:7], vcc, s[6:7]
	v_mov_b32_e32 v8, v6
	s_andn2_b64 exec, exec, s[6:7]
	s_cbranch_execnz .LBB1_277
.LBB1_278:
	s_or_b64 exec, exec, s[12:13]
	v_mov_b32_e32 v7, v5
	s_mov_b64 s[4:5], 0
	v_mov_b32_e32 v6, v4
.LBB1_279:                              ; =>This Inner Loop Header: Depth=1
	global_load_ubyte v8, v[6:7], off
	v_add_co_u32_e32 v2, vcc, 1, v6
	v_addc_co_u32_e32 v3, vcc, 0, v7, vcc
	v_mov_b32_e32 v7, v3
	v_mov_b32_e32 v6, v2
	s_waitcnt vmcnt(0)
	v_cmp_eq_u16_e32 vcc, 0, v8
	s_or_b64 s[4:5], vcc, s[4:5]
	s_andn2_b64 exec, exec, s[4:5]
	s_cbranch_execnz .LBB1_279
; %bb.280:
	s_or_b64 exec, exec, s[4:5]
	v_cmp_ne_u64_e32 vcc, 0, v[4:5]
	s_mov_b64 s[12:13], 0
	s_and_saveexec_b64 s[4:5], vcc
	s_xor_b64 s[6:7], exec, s[4:5]
	s_cbranch_execz .LBB1_366
; %bb.281:
	v_sub_u32_e32 v26, v2, v4
	v_ashrrev_i32_e32 v27, 31, v26
	v_and_b32_e32 v36, 2, v0
	v_mov_b32_e32 v29, 0
	v_and_b32_e32 v0, -3, v0
	s_mov_b32 s22, 0
	s_movk_i32 s23, 0x1e0
	v_mov_b32_e32 v8, 2
	v_mov_b32_e32 v9, 1
	s_branch .LBB1_283
.LBB1_282:                              ;   in Loop: Header=BB1_283 Depth=1
	s_or_b64 exec, exec, s[16:17]
	v_sub_co_u32_e32 v26, vcc, v26, v30
	v_subb_co_u32_e32 v27, vcc, v27, v31, vcc
	v_cmp_eq_u64_e32 vcc, 0, v[26:27]
	s_or_b64 s[12:13], vcc, s[12:13]
	v_add_co_u32_e32 v4, vcc, v4, v30
	v_addc_co_u32_e32 v5, vcc, v5, v31, vcc
	s_andn2_b64 exec, exec, s[12:13]
	s_cbranch_execz .LBB1_365
.LBB1_283:                              ; =>This Loop Header: Depth=1
                                        ;     Child Loop BB1_286 Depth 2
                                        ;     Child Loop BB1_294 Depth 2
	;; [unrolled: 1-line block ×11, first 2 shown]
	v_cmp_gt_u64_e32 vcc, 56, v[26:27]
	v_add_co_u32_e64 v12, s[4:5], 8, v4
	v_cndmask_b32_e32 v31, 0, v27, vcc
	v_cndmask_b32_e32 v30, 56, v26, vcc
	v_cmp_gt_u64_e32 vcc, 8, v[26:27]
	v_addc_co_u32_e64 v13, s[4:5], 0, v5, s[4:5]
	s_and_saveexec_b64 s[4:5], vcc
	s_xor_b64 s[4:5], exec, s[4:5]
	s_cbranch_execz .LBB1_289
; %bb.284:                              ;   in Loop: Header=BB1_283 Depth=1
	v_mov_b32_e32 v2, 0
	v_cmp_ne_u64_e32 vcc, 0, v[26:27]
	v_mov_b32_e32 v3, 0
	s_and_saveexec_b64 s[14:15], vcc
	s_cbranch_execz .LBB1_288
; %bb.285:                              ;   in Loop: Header=BB1_283 Depth=1
	v_lshlrev_b64 v[6:7], 3, v[30:31]
	v_mov_b32_e32 v2, 0
	v_mov_b32_e32 v11, v5
	s_mov_b64 s[16:17], 0
	v_mov_b32_e32 v3, 0
	v_mov_b32_e32 v10, v4
	s_mov_b64 s[18:19], 0
.LBB1_286:                              ;   Parent Loop BB1_283 Depth=1
                                        ; =>  This Inner Loop Header: Depth=2
	global_load_ubyte v7, v[10:11], off
	v_mov_b32_e32 v13, s22
	v_add_co_u32_e32 v10, vcc, 1, v10
	v_addc_co_u32_e32 v11, vcc, 0, v11, vcc
	s_waitcnt vmcnt(0)
	v_and_b32_e32 v12, 0xffff, v7
	v_lshlrev_b64 v[12:13], s18, v[12:13]
	s_add_u32 s18, s18, 8
	s_addc_u32 s19, s19, 0
	v_cmp_eq_u32_e32 vcc, s18, v6
	v_or_b32_e32 v3, v13, v3
	s_or_b64 s[16:17], vcc, s[16:17]
	v_or_b32_e32 v2, v12, v2
	s_andn2_b64 exec, exec, s[16:17]
	s_cbranch_execnz .LBB1_286
; %bb.287:                              ;   in Loop: Header=BB1_283 Depth=1
	s_or_b64 exec, exec, s[16:17]
.LBB1_288:                              ;   in Loop: Header=BB1_283 Depth=1
	s_or_b64 exec, exec, s[14:15]
	v_mov_b32_e32 v13, v5
	v_mov_b32_e32 v12, v4
.LBB1_289:                              ;   in Loop: Header=BB1_283 Depth=1
	s_or_saveexec_b64 s[4:5], s[4:5]
	v_mov_b32_e32 v14, 0
	s_xor_b64 exec, exec, s[4:5]
	s_cbranch_execz .LBB1_291
; %bb.290:                              ;   in Loop: Header=BB1_283 Depth=1
	global_load_dwordx2 v[2:3], v[4:5], off
	v_add_u32_e32 v14, -8, v30
.LBB1_291:                              ;   in Loop: Header=BB1_283 Depth=1
	s_or_b64 exec, exec, s[4:5]
	v_add_co_u32_e64 v6, s[4:5], 8, v12
	v_cmp_gt_u32_e32 vcc, 8, v14
	v_addc_co_u32_e64 v7, s[4:5], 0, v13, s[4:5]
                                        ; implicit-def: $vgpr10_vgpr11
	s_and_saveexec_b64 s[4:5], vcc
	s_xor_b64 s[4:5], exec, s[4:5]
	s_cbranch_execz .LBB1_297
; %bb.292:                              ;   in Loop: Header=BB1_283 Depth=1
	v_mov_b32_e32 v10, 0
	v_mov_b32_e32 v11, 0
	v_cmp_ne_u32_e32 vcc, 0, v14
	s_and_saveexec_b64 s[14:15], vcc
	s_cbranch_execz .LBB1_296
; %bb.293:                              ;   in Loop: Header=BB1_283 Depth=1
	v_mov_b32_e32 v10, 0
	s_mov_b64 s[16:17], 0
	v_mov_b32_e32 v11, 0
	s_mov_b64 s[18:19], 0
	s_mov_b64 s[20:21], 0
.LBB1_294:                              ;   Parent Loop BB1_283 Depth=1
                                        ; =>  This Inner Loop Header: Depth=2
	v_mov_b32_e32 v7, s21
	v_add_co_u32_e32 v6, vcc, s20, v12
	v_addc_co_u32_e32 v7, vcc, v13, v7, vcc
	global_load_ubyte v6, v[6:7], off
	s_add_u32 s20, s20, 1
	v_mov_b32_e32 v7, s22
	s_addc_u32 s21, s21, 0
	v_cmp_eq_u32_e32 vcc, s20, v14
	s_waitcnt vmcnt(0)
	v_and_b32_e32 v6, 0xffff, v6
	v_lshlrev_b64 v[6:7], s18, v[6:7]
	s_add_u32 s18, s18, 8
	s_addc_u32 s19, s19, 0
	v_or_b32_e32 v11, v7, v11
	s_or_b64 s[16:17], vcc, s[16:17]
	v_or_b32_e32 v10, v6, v10
	s_andn2_b64 exec, exec, s[16:17]
	s_cbranch_execnz .LBB1_294
; %bb.295:                              ;   in Loop: Header=BB1_283 Depth=1
	s_or_b64 exec, exec, s[16:17]
.LBB1_296:                              ;   in Loop: Header=BB1_283 Depth=1
	s_or_b64 exec, exec, s[14:15]
	v_mov_b32_e32 v6, v12
	v_mov_b32_e32 v7, v13
                                        ; implicit-def: $vgpr14
.LBB1_297:                              ;   in Loop: Header=BB1_283 Depth=1
	s_or_saveexec_b64 s[4:5], s[4:5]
	v_mov_b32_e32 v15, 0
	s_xor_b64 exec, exec, s[4:5]
	s_cbranch_execz .LBB1_299
; %bb.298:                              ;   in Loop: Header=BB1_283 Depth=1
	global_load_dwordx2 v[10:11], v[12:13], off
	v_add_u32_e32 v15, -8, v14
.LBB1_299:                              ;   in Loop: Header=BB1_283 Depth=1
	s_or_b64 exec, exec, s[4:5]
	v_add_co_u32_e64 v16, s[4:5], 8, v6
	v_cmp_gt_u32_e32 vcc, 8, v15
	v_addc_co_u32_e64 v17, s[4:5], 0, v7, s[4:5]
	s_and_saveexec_b64 s[4:5], vcc
	s_xor_b64 s[4:5], exec, s[4:5]
	s_cbranch_execz .LBB1_305
; %bb.300:                              ;   in Loop: Header=BB1_283 Depth=1
	v_mov_b32_e32 v12, 0
	v_mov_b32_e32 v13, 0
	v_cmp_ne_u32_e32 vcc, 0, v15
	s_and_saveexec_b64 s[14:15], vcc
	s_cbranch_execz .LBB1_304
; %bb.301:                              ;   in Loop: Header=BB1_283 Depth=1
	v_mov_b32_e32 v12, 0
	s_mov_b64 s[16:17], 0
	v_mov_b32_e32 v13, 0
	s_mov_b64 s[18:19], 0
	s_mov_b64 s[20:21], 0
.LBB1_302:                              ;   Parent Loop BB1_283 Depth=1
                                        ; =>  This Inner Loop Header: Depth=2
	v_mov_b32_e32 v14, s21
	v_add_co_u32_e32 v16, vcc, s20, v6
	v_addc_co_u32_e32 v17, vcc, v7, v14, vcc
	global_load_ubyte v14, v[16:17], off
	s_add_u32 s20, s20, 1
	v_mov_b32_e32 v17, s22
	s_addc_u32 s21, s21, 0
	v_cmp_eq_u32_e32 vcc, s20, v15
	s_waitcnt vmcnt(0)
	v_and_b32_e32 v16, 0xffff, v14
	v_lshlrev_b64 v[16:17], s18, v[16:17]
	s_add_u32 s18, s18, 8
	s_addc_u32 s19, s19, 0
	v_or_b32_e32 v13, v17, v13
	s_or_b64 s[16:17], vcc, s[16:17]
	v_or_b32_e32 v12, v16, v12
	s_andn2_b64 exec, exec, s[16:17]
	s_cbranch_execnz .LBB1_302
; %bb.303:                              ;   in Loop: Header=BB1_283 Depth=1
	s_or_b64 exec, exec, s[16:17]
.LBB1_304:                              ;   in Loop: Header=BB1_283 Depth=1
	s_or_b64 exec, exec, s[14:15]
	v_mov_b32_e32 v17, v7
	v_mov_b32_e32 v16, v6
                                        ; implicit-def: $vgpr15
.LBB1_305:                              ;   in Loop: Header=BB1_283 Depth=1
	s_or_saveexec_b64 s[4:5], s[4:5]
	v_mov_b32_e32 v18, 0
	s_xor_b64 exec, exec, s[4:5]
	s_cbranch_execz .LBB1_307
; %bb.306:                              ;   in Loop: Header=BB1_283 Depth=1
	global_load_dwordx2 v[12:13], v[6:7], off
	v_add_u32_e32 v18, -8, v15
.LBB1_307:                              ;   in Loop: Header=BB1_283 Depth=1
	s_or_b64 exec, exec, s[4:5]
	v_add_co_u32_e64 v6, s[4:5], 8, v16
	v_cmp_gt_u32_e32 vcc, 8, v18
	v_addc_co_u32_e64 v7, s[4:5], 0, v17, s[4:5]
                                        ; implicit-def: $vgpr14_vgpr15
	s_and_saveexec_b64 s[4:5], vcc
	s_xor_b64 s[4:5], exec, s[4:5]
	s_cbranch_execz .LBB1_313
; %bb.308:                              ;   in Loop: Header=BB1_283 Depth=1
	v_mov_b32_e32 v14, 0
	v_mov_b32_e32 v15, 0
	v_cmp_ne_u32_e32 vcc, 0, v18
	s_and_saveexec_b64 s[14:15], vcc
	s_cbranch_execz .LBB1_312
; %bb.309:                              ;   in Loop: Header=BB1_283 Depth=1
	v_mov_b32_e32 v14, 0
	s_mov_b64 s[16:17], 0
	v_mov_b32_e32 v15, 0
	s_mov_b64 s[18:19], 0
	s_mov_b64 s[20:21], 0
.LBB1_310:                              ;   Parent Loop BB1_283 Depth=1
                                        ; =>  This Inner Loop Header: Depth=2
	v_mov_b32_e32 v7, s21
	v_add_co_u32_e32 v6, vcc, s20, v16
	v_addc_co_u32_e32 v7, vcc, v17, v7, vcc
	global_load_ubyte v6, v[6:7], off
	s_add_u32 s20, s20, 1
	v_mov_b32_e32 v7, s22
	s_addc_u32 s21, s21, 0
	v_cmp_eq_u32_e32 vcc, s20, v18
	s_waitcnt vmcnt(0)
	v_and_b32_e32 v6, 0xffff, v6
	v_lshlrev_b64 v[6:7], s18, v[6:7]
	s_add_u32 s18, s18, 8
	s_addc_u32 s19, s19, 0
	v_or_b32_e32 v15, v7, v15
	s_or_b64 s[16:17], vcc, s[16:17]
	v_or_b32_e32 v14, v6, v14
	s_andn2_b64 exec, exec, s[16:17]
	s_cbranch_execnz .LBB1_310
; %bb.311:                              ;   in Loop: Header=BB1_283 Depth=1
	s_or_b64 exec, exec, s[16:17]
.LBB1_312:                              ;   in Loop: Header=BB1_283 Depth=1
	s_or_b64 exec, exec, s[14:15]
	v_mov_b32_e32 v6, v16
	v_mov_b32_e32 v7, v17
                                        ; implicit-def: $vgpr18
.LBB1_313:                              ;   in Loop: Header=BB1_283 Depth=1
	s_or_saveexec_b64 s[4:5], s[4:5]
	v_mov_b32_e32 v19, 0
	s_xor_b64 exec, exec, s[4:5]
	s_cbranch_execz .LBB1_315
; %bb.314:                              ;   in Loop: Header=BB1_283 Depth=1
	global_load_dwordx2 v[14:15], v[16:17], off
	v_add_u32_e32 v19, -8, v18
.LBB1_315:                              ;   in Loop: Header=BB1_283 Depth=1
	s_or_b64 exec, exec, s[4:5]
	v_add_co_u32_e64 v20, s[4:5], 8, v6
	v_cmp_gt_u32_e32 vcc, 8, v19
	v_addc_co_u32_e64 v21, s[4:5], 0, v7, s[4:5]
	s_and_saveexec_b64 s[4:5], vcc
	s_xor_b64 s[4:5], exec, s[4:5]
	s_cbranch_execz .LBB1_321
; %bb.316:                              ;   in Loop: Header=BB1_283 Depth=1
	v_mov_b32_e32 v16, 0
	v_mov_b32_e32 v17, 0
	v_cmp_ne_u32_e32 vcc, 0, v19
	s_and_saveexec_b64 s[14:15], vcc
	s_cbranch_execz .LBB1_320
; %bb.317:                              ;   in Loop: Header=BB1_283 Depth=1
	v_mov_b32_e32 v16, 0
	s_mov_b64 s[16:17], 0
	v_mov_b32_e32 v17, 0
	s_mov_b64 s[18:19], 0
	s_mov_b64 s[20:21], 0
.LBB1_318:                              ;   Parent Loop BB1_283 Depth=1
                                        ; =>  This Inner Loop Header: Depth=2
	v_mov_b32_e32 v18, s21
	v_add_co_u32_e32 v20, vcc, s20, v6
	v_addc_co_u32_e32 v21, vcc, v7, v18, vcc
	global_load_ubyte v18, v[20:21], off
	s_add_u32 s20, s20, 1
	v_mov_b32_e32 v21, s22
	s_addc_u32 s21, s21, 0
	v_cmp_eq_u32_e32 vcc, s20, v19
	s_waitcnt vmcnt(0)
	v_and_b32_e32 v20, 0xffff, v18
	v_lshlrev_b64 v[20:21], s18, v[20:21]
	s_add_u32 s18, s18, 8
	s_addc_u32 s19, s19, 0
	v_or_b32_e32 v17, v21, v17
	s_or_b64 s[16:17], vcc, s[16:17]
	v_or_b32_e32 v16, v20, v16
	s_andn2_b64 exec, exec, s[16:17]
	s_cbranch_execnz .LBB1_318
; %bb.319:                              ;   in Loop: Header=BB1_283 Depth=1
	s_or_b64 exec, exec, s[16:17]
.LBB1_320:                              ;   in Loop: Header=BB1_283 Depth=1
	s_or_b64 exec, exec, s[14:15]
	v_mov_b32_e32 v21, v7
	v_mov_b32_e32 v20, v6
                                        ; implicit-def: $vgpr19
.LBB1_321:                              ;   in Loop: Header=BB1_283 Depth=1
	s_or_saveexec_b64 s[4:5], s[4:5]
	v_mov_b32_e32 v22, 0
	s_xor_b64 exec, exec, s[4:5]
	s_cbranch_execz .LBB1_323
; %bb.322:                              ;   in Loop: Header=BB1_283 Depth=1
	global_load_dwordx2 v[16:17], v[6:7], off
	v_add_u32_e32 v22, -8, v19
.LBB1_323:                              ;   in Loop: Header=BB1_283 Depth=1
	s_or_b64 exec, exec, s[4:5]
	v_add_co_u32_e64 v6, s[4:5], 8, v20
	v_cmp_gt_u32_e32 vcc, 8, v22
	v_addc_co_u32_e64 v7, s[4:5], 0, v21, s[4:5]
                                        ; implicit-def: $vgpr18_vgpr19
	s_and_saveexec_b64 s[4:5], vcc
	s_xor_b64 s[4:5], exec, s[4:5]
	s_cbranch_execz .LBB1_329
; %bb.324:                              ;   in Loop: Header=BB1_283 Depth=1
	v_mov_b32_e32 v18, 0
	v_mov_b32_e32 v19, 0
	v_cmp_ne_u32_e32 vcc, 0, v22
	s_and_saveexec_b64 s[14:15], vcc
	s_cbranch_execz .LBB1_328
; %bb.325:                              ;   in Loop: Header=BB1_283 Depth=1
	v_mov_b32_e32 v18, 0
	s_mov_b64 s[16:17], 0
	v_mov_b32_e32 v19, 0
	s_mov_b64 s[18:19], 0
	s_mov_b64 s[20:21], 0
.LBB1_326:                              ;   Parent Loop BB1_283 Depth=1
                                        ; =>  This Inner Loop Header: Depth=2
	v_mov_b32_e32 v7, s21
	v_add_co_u32_e32 v6, vcc, s20, v20
	v_addc_co_u32_e32 v7, vcc, v21, v7, vcc
	global_load_ubyte v6, v[6:7], off
	s_add_u32 s20, s20, 1
	v_mov_b32_e32 v7, s22
	s_addc_u32 s21, s21, 0
	v_cmp_eq_u32_e32 vcc, s20, v22
	s_waitcnt vmcnt(0)
	v_and_b32_e32 v6, 0xffff, v6
	v_lshlrev_b64 v[6:7], s18, v[6:7]
	s_add_u32 s18, s18, 8
	s_addc_u32 s19, s19, 0
	v_or_b32_e32 v19, v7, v19
	s_or_b64 s[16:17], vcc, s[16:17]
	v_or_b32_e32 v18, v6, v18
	s_andn2_b64 exec, exec, s[16:17]
	s_cbranch_execnz .LBB1_326
; %bb.327:                              ;   in Loop: Header=BB1_283 Depth=1
	s_or_b64 exec, exec, s[16:17]
.LBB1_328:                              ;   in Loop: Header=BB1_283 Depth=1
	s_or_b64 exec, exec, s[14:15]
	v_mov_b32_e32 v6, v20
	v_mov_b32_e32 v7, v21
                                        ; implicit-def: $vgpr22
.LBB1_329:                              ;   in Loop: Header=BB1_283 Depth=1
	s_or_saveexec_b64 s[4:5], s[4:5]
	v_mov_b32_e32 v23, 0
	s_xor_b64 exec, exec, s[4:5]
	s_cbranch_execz .LBB1_331
; %bb.330:                              ;   in Loop: Header=BB1_283 Depth=1
	global_load_dwordx2 v[18:19], v[20:21], off
	v_add_u32_e32 v23, -8, v22
.LBB1_331:                              ;   in Loop: Header=BB1_283 Depth=1
	s_or_b64 exec, exec, s[4:5]
	v_cmp_gt_u32_e32 vcc, 8, v23
	s_and_saveexec_b64 s[4:5], vcc
	s_xor_b64 s[4:5], exec, s[4:5]
	s_cbranch_execz .LBB1_337
; %bb.332:                              ;   in Loop: Header=BB1_283 Depth=1
	v_mov_b32_e32 v20, 0
	v_mov_b32_e32 v21, 0
	v_cmp_ne_u32_e32 vcc, 0, v23
	s_and_saveexec_b64 s[14:15], vcc
	s_cbranch_execz .LBB1_336
; %bb.333:                              ;   in Loop: Header=BB1_283 Depth=1
	v_mov_b32_e32 v20, 0
	s_mov_b64 s[16:17], 0
	v_mov_b32_e32 v21, 0
	s_mov_b64 s[18:19], 0
.LBB1_334:                              ;   Parent Loop BB1_283 Depth=1
                                        ; =>  This Inner Loop Header: Depth=2
	global_load_ubyte v22, v[6:7], off
	v_mov_b32_e32 v25, s22
	v_add_co_u32_e32 v6, vcc, 1, v6
	v_add_u32_e32 v23, -1, v23
	v_addc_co_u32_e32 v7, vcc, 0, v7, vcc
	v_cmp_eq_u32_e32 vcc, 0, v23
	s_waitcnt vmcnt(0)
	v_and_b32_e32 v24, 0xffff, v22
	v_lshlrev_b64 v[24:25], s18, v[24:25]
	s_add_u32 s18, s18, 8
	s_addc_u32 s19, s19, 0
	v_or_b32_e32 v21, v25, v21
	s_or_b64 s[16:17], vcc, s[16:17]
	v_or_b32_e32 v20, v24, v20
	s_andn2_b64 exec, exec, s[16:17]
	s_cbranch_execnz .LBB1_334
; %bb.335:                              ;   in Loop: Header=BB1_283 Depth=1
	s_or_b64 exec, exec, s[16:17]
.LBB1_336:                              ;   in Loop: Header=BB1_283 Depth=1
	s_or_b64 exec, exec, s[14:15]
                                        ; implicit-def: $vgpr6_vgpr7
.LBB1_337:                              ;   in Loop: Header=BB1_283 Depth=1
	s_andn2_saveexec_b64 s[4:5], s[4:5]
	s_cbranch_execz .LBB1_339
; %bb.338:                              ;   in Loop: Header=BB1_283 Depth=1
	global_load_dwordx2 v[20:21], v[6:7], off
.LBB1_339:                              ;   in Loop: Header=BB1_283 Depth=1
	s_or_b64 exec, exec, s[4:5]
	v_readfirstlane_b32 s4, v34
	v_mov_b32_e32 v6, 0
	v_mov_b32_e32 v7, 0
	v_cmp_eq_u32_e64 s[4:5], s4, v34
	s_and_saveexec_b64 s[14:15], s[4:5]
	s_cbranch_execz .LBB1_345
; %bb.340:                              ;   in Loop: Header=BB1_283 Depth=1
	global_load_dwordx2 v[24:25], v29, s[10:11] offset:24 glc
	s_waitcnt vmcnt(0)
	buffer_wbinvl1_vol
	global_load_dwordx2 v[6:7], v29, s[10:11] offset:40
	global_load_dwordx2 v[22:23], v29, s[10:11]
	s_waitcnt vmcnt(1)
	v_and_b32_e32 v6, v6, v24
	v_and_b32_e32 v7, v7, v25
	v_mul_lo_u32 v7, v7, 24
	v_mul_hi_u32 v28, v6, 24
	v_mul_lo_u32 v6, v6, 24
	v_add_u32_e32 v7, v28, v7
	s_waitcnt vmcnt(0)
	v_add_co_u32_e32 v6, vcc, v22, v6
	v_addc_co_u32_e32 v7, vcc, v23, v7, vcc
	global_load_dwordx2 v[22:23], v[6:7], off glc
	s_waitcnt vmcnt(0)
	global_atomic_cmpswap_x2 v[6:7], v29, v[22:25], s[10:11] offset:24 glc
	s_waitcnt vmcnt(0)
	buffer_wbinvl1_vol
	v_cmp_ne_u64_e32 vcc, v[6:7], v[24:25]
	s_and_saveexec_b64 s[16:17], vcc
	s_cbranch_execz .LBB1_344
; %bb.341:                              ;   in Loop: Header=BB1_283 Depth=1
	s_mov_b64 s[18:19], 0
.LBB1_342:                              ;   Parent Loop BB1_283 Depth=1
                                        ; =>  This Inner Loop Header: Depth=2
	s_sleep 1
	global_load_dwordx2 v[22:23], v29, s[10:11] offset:40
	global_load_dwordx2 v[32:33], v29, s[10:11]
	v_mov_b32_e32 v25, v7
	v_mov_b32_e32 v24, v6
	s_waitcnt vmcnt(1)
	v_and_b32_e32 v6, v22, v24
	s_waitcnt vmcnt(0)
	v_mad_u64_u32 v[6:7], s[20:21], v6, 24, v[32:33]
	v_and_b32_e32 v22, v23, v25
	v_mad_u64_u32 v[22:23], s[20:21], v22, 24, v[7:8]
	v_mov_b32_e32 v7, v22
	global_load_dwordx2 v[22:23], v[6:7], off glc
	s_waitcnt vmcnt(0)
	global_atomic_cmpswap_x2 v[6:7], v29, v[22:25], s[10:11] offset:24 glc
	s_waitcnt vmcnt(0)
	buffer_wbinvl1_vol
	v_cmp_eq_u64_e32 vcc, v[6:7], v[24:25]
	s_or_b64 s[18:19], vcc, s[18:19]
	s_andn2_b64 exec, exec, s[18:19]
	s_cbranch_execnz .LBB1_342
; %bb.343:                              ;   in Loop: Header=BB1_283 Depth=1
	s_or_b64 exec, exec, s[18:19]
.LBB1_344:                              ;   in Loop: Header=BB1_283 Depth=1
	s_or_b64 exec, exec, s[16:17]
.LBB1_345:                              ;   in Loop: Header=BB1_283 Depth=1
	s_or_b64 exec, exec, s[14:15]
	global_load_dwordx2 v[32:33], v29, s[10:11] offset:40
	global_load_dwordx4 v[22:25], v29, s[10:11]
	v_readfirstlane_b32 s15, v7
	v_readfirstlane_b32 s14, v6
	s_mov_b64 s[16:17], exec
	s_waitcnt vmcnt(1)
	v_readfirstlane_b32 s18, v32
	v_readfirstlane_b32 s19, v33
	s_and_b64 s[18:19], s[18:19], s[14:15]
	s_mul_i32 s20, s19, 24
	s_mul_hi_u32 s21, s18, 24
	s_mul_i32 s24, s18, 24
	s_add_i32 s20, s21, s20
	v_mov_b32_e32 v6, s20
	s_waitcnt vmcnt(0)
	v_add_co_u32_e32 v32, vcc, s24, v22
	v_addc_co_u32_e32 v33, vcc, v23, v6, vcc
	s_and_saveexec_b64 s[20:21], s[4:5]
	s_cbranch_execz .LBB1_347
; %bb.346:                              ;   in Loop: Header=BB1_283 Depth=1
	v_mov_b32_e32 v6, s16
	v_mov_b32_e32 v7, s17
	global_store_dwordx4 v[32:33], v[6:9], off offset:8
.LBB1_347:                              ;   in Loop: Header=BB1_283 Depth=1
	s_or_b64 exec, exec, s[20:21]
	s_lshl_b64 s[16:17], s[18:19], 12
	v_mov_b32_e32 v6, s17
	v_add_co_u32_e32 v24, vcc, s16, v24
	v_addc_co_u32_e32 v25, vcc, v25, v6, vcc
	v_cmp_gt_u64_e32 vcc, 57, v[26:27]
	v_and_b32_e32 v0, 0xffffff1f, v0
	v_cndmask_b32_e32 v6, 0, v36, vcc
	v_lshl_add_u32 v7, v30, 2, 28
	v_or_b32_e32 v0, v0, v6
	v_and_or_b32 v0, v7, s23, v0
	v_readfirstlane_b32 s16, v24
	v_readfirstlane_b32 s17, v25
	s_nop 4
	global_store_dwordx4 v35, v[0:3], s[16:17]
	global_store_dwordx4 v35, v[10:13], s[16:17] offset:16
	global_store_dwordx4 v35, v[14:17], s[16:17] offset:32
	;; [unrolled: 1-line block ×3, first 2 shown]
	s_and_saveexec_b64 s[16:17], s[4:5]
	s_cbranch_execz .LBB1_355
; %bb.348:                              ;   in Loop: Header=BB1_283 Depth=1
	global_load_dwordx2 v[12:13], v29, s[10:11] offset:32 glc
	global_load_dwordx2 v[0:1], v29, s[10:11] offset:40
	v_mov_b32_e32 v10, s14
	v_mov_b32_e32 v11, s15
	s_waitcnt vmcnt(0)
	v_readfirstlane_b32 s18, v0
	v_readfirstlane_b32 s19, v1
	s_and_b64 s[18:19], s[18:19], s[14:15]
	s_mul_i32 s19, s19, 24
	s_mul_hi_u32 s20, s18, 24
	s_mul_i32 s18, s18, 24
	s_add_i32 s19, s20, s19
	v_mov_b32_e32 v0, s19
	v_add_co_u32_e32 v6, vcc, s18, v22
	v_addc_co_u32_e32 v7, vcc, v23, v0, vcc
	global_store_dwordx2 v[6:7], v[12:13], off
	s_waitcnt vmcnt(0)
	global_atomic_cmpswap_x2 v[2:3], v29, v[10:13], s[10:11] offset:32 glc
	s_waitcnt vmcnt(0)
	v_cmp_ne_u64_e32 vcc, v[2:3], v[12:13]
	s_and_saveexec_b64 s[18:19], vcc
	s_cbranch_execz .LBB1_351
; %bb.349:                              ;   in Loop: Header=BB1_283 Depth=1
	s_mov_b64 s[20:21], 0
.LBB1_350:                              ;   Parent Loop BB1_283 Depth=1
                                        ; =>  This Inner Loop Header: Depth=2
	s_sleep 1
	global_store_dwordx2 v[6:7], v[2:3], off
	v_mov_b32_e32 v0, s14
	v_mov_b32_e32 v1, s15
	s_waitcnt vmcnt(0)
	global_atomic_cmpswap_x2 v[0:1], v29, v[0:3], s[10:11] offset:32 glc
	s_waitcnt vmcnt(0)
	v_cmp_eq_u64_e32 vcc, v[0:1], v[2:3]
	v_mov_b32_e32 v3, v1
	s_or_b64 s[20:21], vcc, s[20:21]
	v_mov_b32_e32 v2, v0
	s_andn2_b64 exec, exec, s[20:21]
	s_cbranch_execnz .LBB1_350
.LBB1_351:                              ;   in Loop: Header=BB1_283 Depth=1
	s_or_b64 exec, exec, s[18:19]
	global_load_dwordx2 v[0:1], v29, s[10:11] offset:16
	s_mov_b64 s[20:21], exec
	v_mbcnt_lo_u32_b32 v2, s20, 0
	v_mbcnt_hi_u32_b32 v2, s21, v2
	v_cmp_eq_u32_e32 vcc, 0, v2
	s_and_saveexec_b64 s[18:19], vcc
	s_cbranch_execz .LBB1_353
; %bb.352:                              ;   in Loop: Header=BB1_283 Depth=1
	s_bcnt1_i32_b64 s20, s[20:21]
	v_mov_b32_e32 v28, s20
	s_waitcnt vmcnt(0)
	global_atomic_add_x2 v[0:1], v[28:29], off offset:8
.LBB1_353:                              ;   in Loop: Header=BB1_283 Depth=1
	s_or_b64 exec, exec, s[18:19]
	s_waitcnt vmcnt(0)
	global_load_dwordx2 v[2:3], v[0:1], off offset:16
	s_waitcnt vmcnt(0)
	v_cmp_eq_u64_e32 vcc, 0, v[2:3]
	s_cbranch_vccnz .LBB1_355
; %bb.354:                              ;   in Loop: Header=BB1_283 Depth=1
	global_load_dword v28, v[0:1], off offset:24
	s_waitcnt vmcnt(0)
	v_readfirstlane_b32 s18, v28
	s_and_b32 m0, s18, 0xffffff
	global_store_dwordx2 v[2:3], v[28:29], off
	s_sendmsg sendmsg(MSG_INTERRUPT)
.LBB1_355:                              ;   in Loop: Header=BB1_283 Depth=1
	s_or_b64 exec, exec, s[16:17]
	v_add_co_u32_e32 v0, vcc, v24, v35
	v_addc_co_u32_e32 v1, vcc, 0, v25, vcc
	s_branch .LBB1_359
.LBB1_356:                              ;   in Loop: Header=BB1_359 Depth=2
	s_or_b64 exec, exec, s[16:17]
	v_readfirstlane_b32 s16, v2
	s_cmp_eq_u32 s16, 0
	s_cbranch_scc1 .LBB1_358
; %bb.357:                              ;   in Loop: Header=BB1_359 Depth=2
	s_sleep 1
	s_cbranch_execnz .LBB1_359
	s_branch .LBB1_361
.LBB1_358:                              ;   in Loop: Header=BB1_283 Depth=1
	s_branch .LBB1_361
.LBB1_359:                              ;   Parent Loop BB1_283 Depth=1
                                        ; =>  This Inner Loop Header: Depth=2
	v_mov_b32_e32 v2, 1
	s_and_saveexec_b64 s[16:17], s[4:5]
	s_cbranch_execz .LBB1_356
; %bb.360:                              ;   in Loop: Header=BB1_359 Depth=2
	global_load_dword v2, v[32:33], off offset:20 glc
	s_waitcnt vmcnt(0)
	buffer_wbinvl1_vol
	v_and_b32_e32 v2, 1, v2
	s_branch .LBB1_356
.LBB1_361:                              ;   in Loop: Header=BB1_283 Depth=1
	global_load_dwordx2 v[0:1], v[0:1], off
	s_and_saveexec_b64 s[16:17], s[4:5]
	s_cbranch_execz .LBB1_282
; %bb.362:                              ;   in Loop: Header=BB1_283 Depth=1
	global_load_dwordx2 v[2:3], v29, s[10:11] offset:40
	global_load_dwordx2 v[14:15], v29, s[10:11] offset:24 glc
	global_load_dwordx2 v[6:7], v29, s[10:11]
	s_waitcnt vmcnt(2)
	v_readfirstlane_b32 s18, v2
	v_readfirstlane_b32 s19, v3
	s_add_u32 s20, s18, 1
	s_addc_u32 s21, s19, 0
	s_add_u32 s4, s20, s14
	s_addc_u32 s5, s21, s15
	s_cmp_eq_u64 s[4:5], 0
	s_cselect_b32 s5, s21, s5
	s_cselect_b32 s4, s20, s4
	s_and_b64 s[14:15], s[4:5], s[18:19]
	s_mul_i32 s15, s15, 24
	s_mul_hi_u32 s18, s14, 24
	s_mul_i32 s14, s14, 24
	s_add_i32 s15, s18, s15
	v_mov_b32_e32 v3, s15
	s_waitcnt vmcnt(0)
	v_add_co_u32_e32 v2, vcc, s14, v6
	v_addc_co_u32_e32 v3, vcc, v7, v3, vcc
	v_mov_b32_e32 v12, s4
	global_store_dwordx2 v[2:3], v[14:15], off
	v_mov_b32_e32 v13, s5
	s_waitcnt vmcnt(0)
	global_atomic_cmpswap_x2 v[12:13], v29, v[12:15], s[10:11] offset:24 glc
	s_waitcnt vmcnt(0)
	v_cmp_ne_u64_e32 vcc, v[12:13], v[14:15]
	s_and_b64 exec, exec, vcc
	s_cbranch_execz .LBB1_282
; %bb.363:                              ;   in Loop: Header=BB1_283 Depth=1
	s_mov_b64 s[14:15], 0
.LBB1_364:                              ;   Parent Loop BB1_283 Depth=1
                                        ; =>  This Inner Loop Header: Depth=2
	s_sleep 1
	global_store_dwordx2 v[2:3], v[12:13], off
	v_mov_b32_e32 v10, s4
	v_mov_b32_e32 v11, s5
	s_waitcnt vmcnt(0)
	global_atomic_cmpswap_x2 v[6:7], v29, v[10:13], s[10:11] offset:24 glc
	s_waitcnt vmcnt(0)
	v_cmp_eq_u64_e32 vcc, v[6:7], v[12:13]
	v_mov_b32_e32 v13, v7
	s_or_b64 s[14:15], vcc, s[14:15]
	v_mov_b32_e32 v12, v6
	s_andn2_b64 exec, exec, s[14:15]
	s_cbranch_execnz .LBB1_364
	s_branch .LBB1_282
.LBB1_365:
	s_or_b64 exec, exec, s[12:13]
                                        ; implicit-def: $vgpr35
                                        ; implicit-def: $vgpr34
.LBB1_366:
	s_andn2_saveexec_b64 s[6:7], s[6:7]
	s_cbranch_execz .LBB1_393
; %bb.367:
	v_readfirstlane_b32 s4, v34
	v_mov_b32_e32 v8, 0
	v_mov_b32_e32 v9, 0
	v_cmp_eq_u32_e64 s[4:5], s4, v34
	s_and_saveexec_b64 s[12:13], s[4:5]
	s_cbranch_execz .LBB1_373
; %bb.368:
	v_mov_b32_e32 v2, 0
	global_load_dwordx2 v[5:6], v2, s[10:11] offset:24 glc
	s_waitcnt vmcnt(0)
	buffer_wbinvl1_vol
	global_load_dwordx2 v[3:4], v2, s[10:11] offset:40
	global_load_dwordx2 v[7:8], v2, s[10:11]
	s_waitcnt vmcnt(1)
	v_and_b32_e32 v3, v3, v5
	v_and_b32_e32 v4, v4, v6
	v_mul_lo_u32 v4, v4, 24
	v_mul_hi_u32 v9, v3, 24
	v_mul_lo_u32 v3, v3, 24
	v_add_u32_e32 v4, v9, v4
	s_waitcnt vmcnt(0)
	v_add_co_u32_e32 v3, vcc, v7, v3
	v_addc_co_u32_e32 v4, vcc, v8, v4, vcc
	global_load_dwordx2 v[3:4], v[3:4], off glc
	s_waitcnt vmcnt(0)
	global_atomic_cmpswap_x2 v[8:9], v2, v[3:6], s[10:11] offset:24 glc
	s_waitcnt vmcnt(0)
	buffer_wbinvl1_vol
	v_cmp_ne_u64_e32 vcc, v[8:9], v[5:6]
	s_and_saveexec_b64 s[14:15], vcc
	s_cbranch_execz .LBB1_372
; %bb.369:
	s_mov_b64 s[16:17], 0
.LBB1_370:                              ; =>This Inner Loop Header: Depth=1
	s_sleep 1
	global_load_dwordx2 v[3:4], v2, s[10:11] offset:40
	global_load_dwordx2 v[10:11], v2, s[10:11]
	v_mov_b32_e32 v5, v8
	v_mov_b32_e32 v6, v9
	s_waitcnt vmcnt(1)
	v_and_b32_e32 v3, v3, v5
	s_waitcnt vmcnt(0)
	v_mad_u64_u32 v[7:8], s[18:19], v3, 24, v[10:11]
	v_and_b32_e32 v4, v4, v6
	v_mov_b32_e32 v3, v8
	v_mad_u64_u32 v[3:4], s[18:19], v4, 24, v[3:4]
	v_mov_b32_e32 v8, v3
	global_load_dwordx2 v[3:4], v[7:8], off glc
	s_waitcnt vmcnt(0)
	global_atomic_cmpswap_x2 v[8:9], v2, v[3:6], s[10:11] offset:24 glc
	s_waitcnt vmcnt(0)
	buffer_wbinvl1_vol
	v_cmp_eq_u64_e32 vcc, v[8:9], v[5:6]
	s_or_b64 s[16:17], vcc, s[16:17]
	s_andn2_b64 exec, exec, s[16:17]
	s_cbranch_execnz .LBB1_370
; %bb.371:
	s_or_b64 exec, exec, s[16:17]
.LBB1_372:
	s_or_b64 exec, exec, s[14:15]
.LBB1_373:
	s_or_b64 exec, exec, s[12:13]
	v_mov_b32_e32 v2, 0
	global_load_dwordx2 v[10:11], v2, s[10:11] offset:40
	global_load_dwordx4 v[4:7], v2, s[10:11]
	v_readfirstlane_b32 s13, v9
	v_readfirstlane_b32 s12, v8
	s_mov_b64 s[14:15], exec
	s_waitcnt vmcnt(1)
	v_readfirstlane_b32 s16, v10
	v_readfirstlane_b32 s17, v11
	s_and_b64 s[16:17], s[16:17], s[12:13]
	s_mul_i32 s18, s17, 24
	s_mul_hi_u32 s19, s16, 24
	s_mul_i32 s20, s16, 24
	s_add_i32 s18, s19, s18
	v_mov_b32_e32 v3, s18
	s_waitcnt vmcnt(0)
	v_add_co_u32_e32 v8, vcc, s20, v4
	v_addc_co_u32_e32 v9, vcc, v5, v3, vcc
	s_and_saveexec_b64 s[18:19], s[4:5]
	s_cbranch_execz .LBB1_375
; %bb.374:
	v_mov_b32_e32 v10, s14
	v_mov_b32_e32 v11, s15
	;; [unrolled: 1-line block ×4, first 2 shown]
	global_store_dwordx4 v[8:9], v[10:13], off offset:8
.LBB1_375:
	s_or_b64 exec, exec, s[18:19]
	s_lshl_b64 s[14:15], s[16:17], 12
	v_mov_b32_e32 v3, s15
	v_add_co_u32_e32 v10, vcc, s14, v6
	v_addc_co_u32_e32 v11, vcc, v7, v3, vcc
	s_movk_i32 s14, 0xff1f
	v_and_or_b32 v0, v0, s14, 32
	s_mov_b32 s16, 0
	v_mov_b32_e32 v3, v2
	v_readfirstlane_b32 s14, v10
	v_readfirstlane_b32 s15, v11
	v_add_co_u32_e32 v6, vcc, v10, v35
	s_mov_b32 s17, s16
	s_mov_b32 s18, s16
	s_mov_b32 s19, s16
	s_nop 0
	global_store_dwordx4 v35, v[0:3], s[14:15]
	v_addc_co_u32_e32 v7, vcc, 0, v11, vcc
	v_mov_b32_e32 v0, s16
	v_mov_b32_e32 v1, s17
	;; [unrolled: 1-line block ×4, first 2 shown]
	global_store_dwordx4 v35, v[0:3], s[14:15] offset:16
	global_store_dwordx4 v35, v[0:3], s[14:15] offset:32
	;; [unrolled: 1-line block ×3, first 2 shown]
	s_and_saveexec_b64 s[14:15], s[4:5]
	s_cbranch_execz .LBB1_383
; %bb.376:
	v_mov_b32_e32 v10, 0
	global_load_dwordx2 v[13:14], v10, s[10:11] offset:32 glc
	global_load_dwordx2 v[0:1], v10, s[10:11] offset:40
	v_mov_b32_e32 v11, s12
	v_mov_b32_e32 v12, s13
	s_waitcnt vmcnt(0)
	v_readfirstlane_b32 s16, v0
	v_readfirstlane_b32 s17, v1
	s_and_b64 s[16:17], s[16:17], s[12:13]
	s_mul_i32 s17, s17, 24
	s_mul_hi_u32 s18, s16, 24
	s_mul_i32 s16, s16, 24
	s_add_i32 s17, s18, s17
	v_mov_b32_e32 v0, s17
	v_add_co_u32_e32 v4, vcc, s16, v4
	v_addc_co_u32_e32 v5, vcc, v5, v0, vcc
	global_store_dwordx2 v[4:5], v[13:14], off
	s_waitcnt vmcnt(0)
	global_atomic_cmpswap_x2 v[2:3], v10, v[11:14], s[10:11] offset:32 glc
	s_waitcnt vmcnt(0)
	v_cmp_ne_u64_e32 vcc, v[2:3], v[13:14]
	s_and_saveexec_b64 s[16:17], vcc
	s_cbranch_execz .LBB1_379
; %bb.377:
	s_mov_b64 s[18:19], 0
.LBB1_378:                              ; =>This Inner Loop Header: Depth=1
	s_sleep 1
	global_store_dwordx2 v[4:5], v[2:3], off
	v_mov_b32_e32 v0, s12
	v_mov_b32_e32 v1, s13
	s_waitcnt vmcnt(0)
	global_atomic_cmpswap_x2 v[0:1], v10, v[0:3], s[10:11] offset:32 glc
	s_waitcnt vmcnt(0)
	v_cmp_eq_u64_e32 vcc, v[0:1], v[2:3]
	v_mov_b32_e32 v3, v1
	s_or_b64 s[18:19], vcc, s[18:19]
	v_mov_b32_e32 v2, v0
	s_andn2_b64 exec, exec, s[18:19]
	s_cbranch_execnz .LBB1_378
.LBB1_379:
	s_or_b64 exec, exec, s[16:17]
	v_mov_b32_e32 v3, 0
	global_load_dwordx2 v[0:1], v3, s[10:11] offset:16
	s_mov_b64 s[16:17], exec
	v_mbcnt_lo_u32_b32 v2, s16, 0
	v_mbcnt_hi_u32_b32 v2, s17, v2
	v_cmp_eq_u32_e32 vcc, 0, v2
	s_and_saveexec_b64 s[18:19], vcc
	s_cbranch_execz .LBB1_381
; %bb.380:
	s_bcnt1_i32_b64 s16, s[16:17]
	v_mov_b32_e32 v2, s16
	s_waitcnt vmcnt(0)
	global_atomic_add_x2 v[0:1], v[2:3], off offset:8
.LBB1_381:
	s_or_b64 exec, exec, s[18:19]
	s_waitcnt vmcnt(0)
	global_load_dwordx2 v[2:3], v[0:1], off offset:16
	s_waitcnt vmcnt(0)
	v_cmp_eq_u64_e32 vcc, 0, v[2:3]
	s_cbranch_vccnz .LBB1_383
; %bb.382:
	global_load_dword v0, v[0:1], off offset:24
	v_mov_b32_e32 v1, 0
	s_waitcnt vmcnt(0)
	v_readfirstlane_b32 s16, v0
	s_and_b32 m0, s16, 0xffffff
	global_store_dwordx2 v[2:3], v[0:1], off
	s_sendmsg sendmsg(MSG_INTERRUPT)
.LBB1_383:
	s_or_b64 exec, exec, s[14:15]
	s_branch .LBB1_387
.LBB1_384:                              ;   in Loop: Header=BB1_387 Depth=1
	s_or_b64 exec, exec, s[14:15]
	v_readfirstlane_b32 s14, v0
	s_cmp_eq_u32 s14, 0
	s_cbranch_scc1 .LBB1_386
; %bb.385:                              ;   in Loop: Header=BB1_387 Depth=1
	s_sleep 1
	s_cbranch_execnz .LBB1_387
	s_branch .LBB1_389
.LBB1_386:
	s_branch .LBB1_389
.LBB1_387:                              ; =>This Inner Loop Header: Depth=1
	v_mov_b32_e32 v0, 1
	s_and_saveexec_b64 s[14:15], s[4:5]
	s_cbranch_execz .LBB1_384
; %bb.388:                              ;   in Loop: Header=BB1_387 Depth=1
	global_load_dword v0, v[8:9], off offset:20 glc
	s_waitcnt vmcnt(0)
	buffer_wbinvl1_vol
	v_and_b32_e32 v0, 1, v0
	s_branch .LBB1_384
.LBB1_389:
	global_load_dwordx2 v[0:1], v[6:7], off
	s_and_saveexec_b64 s[14:15], s[4:5]
	s_cbranch_execz .LBB1_392
; %bb.390:
	v_mov_b32_e32 v8, 0
	global_load_dwordx2 v[2:3], v8, s[10:11] offset:40
	global_load_dwordx2 v[11:12], v8, s[10:11] offset:24 glc
	global_load_dwordx2 v[4:5], v8, s[10:11]
	s_waitcnt vmcnt(2)
	v_readfirstlane_b32 s16, v2
	v_readfirstlane_b32 s17, v3
	s_add_u32 s18, s16, 1
	s_addc_u32 s19, s17, 0
	s_add_u32 s4, s18, s12
	s_addc_u32 s5, s19, s13
	s_cmp_eq_u64 s[4:5], 0
	s_cselect_b32 s5, s19, s5
	s_cselect_b32 s4, s18, s4
	s_and_b64 s[12:13], s[4:5], s[16:17]
	s_mul_i32 s13, s13, 24
	s_mul_hi_u32 s16, s12, 24
	s_mul_i32 s12, s12, 24
	s_add_i32 s13, s16, s13
	v_mov_b32_e32 v2, s13
	s_waitcnt vmcnt(0)
	v_add_co_u32_e32 v6, vcc, s12, v4
	v_addc_co_u32_e32 v7, vcc, v5, v2, vcc
	v_mov_b32_e32 v9, s4
	global_store_dwordx2 v[6:7], v[11:12], off
	v_mov_b32_e32 v10, s5
	s_waitcnt vmcnt(0)
	global_atomic_cmpswap_x2 v[4:5], v8, v[9:12], s[10:11] offset:24 glc
	s_mov_b64 s[12:13], 0
	s_waitcnt vmcnt(0)
	v_cmp_ne_u64_e32 vcc, v[4:5], v[11:12]
	s_and_b64 exec, exec, vcc
	s_cbranch_execz .LBB1_392
.LBB1_391:                              ; =>This Inner Loop Header: Depth=1
	s_sleep 1
	global_store_dwordx2 v[6:7], v[4:5], off
	v_mov_b32_e32 v2, s4
	v_mov_b32_e32 v3, s5
	s_waitcnt vmcnt(0)
	global_atomic_cmpswap_x2 v[2:3], v8, v[2:5], s[10:11] offset:24 glc
	s_waitcnt vmcnt(0)
	v_cmp_eq_u64_e32 vcc, v[2:3], v[4:5]
	v_mov_b32_e32 v5, v3
	s_or_b64 s[12:13], vcc, s[12:13]
	v_mov_b32_e32 v4, v2
	s_andn2_b64 exec, exec, s[12:13]
	s_cbranch_execnz .LBB1_391
.LBB1_392:
	s_or_b64 exec, exec, s[14:15]
.LBB1_393:
	s_or_b64 exec, exec, s[6:7]
	s_getpc_b64 s[4:5]
	s_add_u32 s4, s4, .str.3@rel32@lo+4
	s_addc_u32 s5, s5, .str.3@rel32@hi+12
	s_getpc_b64 s[6:7]
	s_add_u32 s6, s6, .str.3@rel32@lo+32
	s_addc_u32 s7, s7, .str.3@rel32@hi+40
	s_sub_i32 s10, s6, s4
	s_ashr_i32 s11, s10, 31
	s_getpc_b64 s[6:7]
	s_add_u32 s6, s6, __ockl_fprintf_append_string_n@rel32@lo+4
	s_addc_u32 s7, s7, __ockl_fprintf_append_string_n@rel32@hi+12
	v_mov_b32_e32 v2, s4
	v_mov_b32_e32 v3, s5
	;; [unrolled: 1-line block ×5, first 2 shown]
	s_swappc_b64 s[30:31], s[6:7]
	s_trap 2
.Lfunc_end1:
	.size	__assert_fail, .Lfunc_end1-__assert_fail
                                        ; -- End function
	.set .L__assert_fail.num_vgpr, max(41, .L__ockl_fprintf_append_string_n.num_vgpr)
	.set .L__assert_fail.num_agpr, max(0, .L__ockl_fprintf_append_string_n.num_agpr)
	.set .L__assert_fail.numbered_sgpr, max(34, .L__ockl_fprintf_append_string_n.numbered_sgpr)
	.set .L__assert_fail.num_named_barrier, max(0, .L__ockl_fprintf_append_string_n.num_named_barrier)
	.set .L__assert_fail.private_seg_size, 64+max(.L__ockl_fprintf_append_string_n.private_seg_size)
	.set .L__assert_fail.uses_vcc, or(1, .L__ockl_fprintf_append_string_n.uses_vcc)
	.set .L__assert_fail.uses_flat_scratch, or(0, .L__ockl_fprintf_append_string_n.uses_flat_scratch)
	.set .L__assert_fail.has_dyn_sized_stack, or(0, .L__ockl_fprintf_append_string_n.has_dyn_sized_stack)
	.set .L__assert_fail.has_recursion, or(0, .L__ockl_fprintf_append_string_n.has_recursion)
	.set .L__assert_fail.has_indirect_call, or(0, .L__ockl_fprintf_append_string_n.has_indirect_call)
	.section	.AMDGPU.csdata,"",@progbits
; Function info:
; codeLenInByte = 13844
; TotalNumSgprs: 38
; NumVgprs: 41
; ScratchSize: 64
; MemoryBound: 0
	.text
	.p2align	2                               ; -- Begin function _ZN12_GLOBAL__N_17runRingI12hip_bfloat1613FuncPreMulSumIS1_E11ProtoSimpleILi2ELi2ELi0ELi1ELi0ELi0EELi0ELi0ELi1ELi0EEEviiP15ncclDevWorkColl
	.type	_ZN12_GLOBAL__N_17runRingI12hip_bfloat1613FuncPreMulSumIS1_E11ProtoSimpleILi2ELi2ELi0ELi1ELi0ELi0EELi0ELi0ELi1ELi0EEEviiP15ncclDevWorkColl,@function
_ZN12_GLOBAL__N_17runRingI12hip_bfloat1613FuncPreMulSumIS1_E11ProtoSimpleILi2ELi2ELi0ELi1ELi0ELi0EELi0ELi0ELi1ELi0EEEviiP15ncclDevWorkColl: ; @_ZN12_GLOBAL__N_17runRingI12hip_bfloat1613FuncPreMulSumIS1_E11ProtoSimpleILi2ELi2ELi0ELi1ELi0ELi0EELi0ELi0ELi1ELi0EEEviiP15ncclDevWorkColl
; %bb.0:
	s_waitcnt vmcnt(0) expcnt(0) lgkmcnt(0)
	s_mov_b32 s4, s33
	s_mov_b32 s33, s32
	s_or_saveexec_b64 s[6:7], -1
	buffer_store_dword v63, off, s[0:3], s33 offset:220 ; 4-byte Folded Spill
	s_mov_b64 exec, s[6:7]
	v_writelane_b32 v63, s4, 29
	s_addk_i32 s32, 0x3c00
	buffer_store_dword v40, off, s[0:3], s33 offset:56 ; 4-byte Folded Spill
	buffer_store_dword v41, off, s[0:3], s33 offset:52 ; 4-byte Folded Spill
	;; [unrolled: 1-line block ×14, first 2 shown]
	buffer_store_dword v62, off, s[0:3], s33 ; 4-byte Folded Spill
	v_writelane_b32 v63, s34, 0
	v_writelane_b32 v63, s35, 1
	;; [unrolled: 1-line block ×29, first 2 shown]
	v_mov_b32_e32 v14, v1
	s_trap 2
	flat_load_dword v1, v[2:3]
	ds_read_b32 v4, v0
	v_mov_b32_e32 v56, v0
                                        ; implicit-def: $vgpr28_vgpr29
                                        ; implicit-def: $vgpr5_vgpr6
                                        ; kill: killed $vgpr5_vgpr6
                                        ; implicit-def: $vgpr22_vgpr23
	s_waitcnt lgkmcnt(0)
	v_readfirstlane_b32 s52, v4
	s_waitcnt vmcnt(0)
	v_cmp_ne_u32_sdwa s[4:5], v4, v1 src0_sel:DWORD src1_sel:BYTE_0
	s_and_saveexec_b64 s[6:7], s[4:5]
	s_xor_b64 s[4:5], exec, s[6:7]
	s_cbranch_execz .LBB2_6
; %bb.1:
	v_not_b32_sdwa v0, v1 dst_sel:DWORD dst_unused:UNUSED_PAD src0_sel:BYTE_0
	v_cmp_ne_u32_sdwa s[6:7], v4, v1 src0_sel:DWORD src1_sel:BYTE_1
                                        ; implicit-def: $vgpr28_vgpr29
                                        ; implicit-def: $vgpr5_vgpr6
                                        ; kill: killed $vgpr5_vgpr6
                                        ; implicit-def: $vgpr22_vgpr23
	s_and_saveexec_b64 s[10:11], s[6:7]
	s_xor_b64 s[6:7], exec, s[10:11]
	s_cbranch_execz .LBB2_3
; %bb.2:
	flat_load_dwordx4 v[5:8], v[2:3] offset:72
	flat_load_dwordx2 v[9:10], v[2:3] offset:96
	v_add_u32_e32 v0, v4, v0
	v_ashrrev_i32_e32 v1, 31, v0
	s_waitcnt vmcnt(0) lgkmcnt(0)
	v_mul_lo_u32 v1, v7, v1
	v_mad_u64_u32 v[4:5], s[10:11], v7, v0, v[5:6]
	v_mul_lo_u32 v0, v8, v0
	v_mov_b32_e32 v23, v8
	v_lshrrev_b64 v[28:29], 13, v[9:10]
	v_mov_b32_e32 v22, v7
	v_add3_u32 v5, v0, v5, v1
	buffer_store_dword v4, off, s[0:3], s33 offset:160 ; 4-byte Folded Spill
	s_nop 0
	buffer_store_dword v5, off, s[0:3], s33 offset:164 ; 4-byte Folded Spill
                                        ; implicit-def: $vgpr1
                                        ; implicit-def: $vgpr0
.LBB2_3:
	s_andn2_saveexec_b64 s[6:7], s[6:7]
	s_cbranch_execz .LBB2_5
; %bb.4:
	flat_load_dwordx4 v[4:7], v[2:3] offset:72
	flat_load_dwordx4 v[22:25], v[2:3] offset:88
	v_add_u32_sdwa v0, v1, v0 dst_sel:DWORD dst_unused:UNUSED_PAD src0_sel:BYTE_1 src1_sel:DWORD
	v_ashrrev_i32_e32 v1, 31, v0
	s_waitcnt vmcnt(0) lgkmcnt(0)
	v_mul_lo_u32 v1, v6, v1
	v_mad_u64_u32 v[4:5], s[10:11], v6, v0, v[4:5]
	v_mul_lo_u32 v0, v7, v0
	v_lshrrev_b32_e32 v28, 2, v25
	v_add3_u32 v5, v0, v5, v1
	buffer_store_dword v4, off, s[0:3], s33 offset:160 ; 4-byte Folded Spill
	s_nop 0
	buffer_store_dword v5, off, s[0:3], s33 offset:164 ; 4-byte Folded Spill
.LBB2_5:
	s_or_b64 exec, exec, s[6:7]
.LBB2_6:
	s_andn2_saveexec_b64 s[4:5], s[4:5]
	s_cbranch_execz .LBB2_8
; %bb.7:
	flat_load_dwordx2 v[0:1], v[2:3] offset:96
	flat_load_dwordx2 v[22:23], v[2:3] offset:72
	s_waitcnt vmcnt(0) lgkmcnt(0)
	v_lshlrev_b64 v[28:29], 8, v[0:1]
	v_mov_b32_e32 v0, 0
	v_mov_b32_e32 v1, 0
	buffer_store_dword v0, off, s[0:3], s33 offset:160 ; 4-byte Folded Spill
	s_nop 0
	buffer_store_dword v1, off, s[0:3], s33 offset:164 ; 4-byte Folded Spill
.LBB2_8:
	s_or_b64 exec, exec, s[4:5]
	s_trap 2
	ds_read_b64 v[4:5], v0
	s_waitcnt lgkmcnt(0)
	v_cmp_ne_u32_e32 vcc, -1, v4
	v_cndmask_b32_e64 v1, 0, 1, vcc
	v_cmp_ne_u32_e32 vcc, -1, v5
	v_addc_co_u32_e64 v0, s[4:5], 0, v1, vcc
	v_lshlrev_b32_e32 v4, 1, v0
	v_cmp_le_u32_e64 s[4:5], v4, v14
	s_and_saveexec_b64 s[6:7], s[4:5]
	s_xor_b64 s[44:45], exec, s[6:7]
	s_cbranch_execz .LBB2_1864
; %bb.9:
	flat_load_dwordx4 v[10:13], v[2:3] offset:16
	flat_load_dwordx2 v[29:30], v[2:3] offset:104
	flat_load_ushort v7, v[2:3] offset:8
	flat_load_dword v6, v[2:3] offset:4
	s_trap 2
	s_load_dword s4, s[8:9], 0x0
	v_mov_b32_e32 v4, 0
	v_mov_b32_e32 v60, 4
	s_waitcnt lgkmcnt(0)
	s_cmp_lt_u32 s12, s4
	s_cselect_b32 s4, 12, 18
	s_add_u32 s4, s8, s4
	s_addc_u32 s5, s9, 0
	global_load_ushort v15, v4, s[4:5]
	ds_read_b32 v4, v0
	v_cmp_ge_u32_e64 s[4:5], v56, v1
	s_waitcnt lgkmcnt(0)
	v_readfirstlane_b32 s24, v4
	s_and_saveexec_b64 s[6:7], s[4:5]
	s_cbranch_execz .LBB2_19
; %bb.10:
	v_cmp_ge_u32_e64 s[4:5], v56, v0
                                        ; implicit-def: $vgpr60
	s_and_saveexec_b64 s[10:11], s[4:5]
	s_xor_b64 s[4:5], exec, s[10:11]
	s_cbranch_execz .LBB2_16
; %bb.11:
	v_cndmask_b32_e64 v4, 0, 1, vcc
	v_sub_u32_e32 v4, v14, v4
	v_cmp_ge_u32_e32 vcc, v56, v4
	s_and_saveexec_b64 s[10:11], vcc
	s_xor_b64 s[10:11], exec, s[10:11]
; %bb.12:
                                        ; implicit-def: $vgpr0
; %bb.13:
	s_or_saveexec_b64 s[10:11], s[10:11]
	v_mov_b32_e32 v60, 16
	s_xor_b64 exec, exec, s[10:11]
; %bb.14:
	v_sub_u32_e32 v0, v14, v0
	v_cmp_lt_i32_e32 vcc, v56, v0
	v_cndmask_b32_e64 v60, 32, 0, vcc
; %bb.15:
	s_or_b64 exec, exec, s[10:11]
.LBB2_16:
	s_andn2_saveexec_b64 s[4:5], s[4:5]
; %bb.17:
	v_mov_b32_e32 v60, 8
; %bb.18:
	s_or_b64 exec, exec, s[4:5]
.LBB2_19:
	s_or_b64 exec, exec, s[6:7]
	v_and_b32_e32 v0, 36, v60
	v_cmp_ne_u32_e32 vcc, 0, v0
	v_mov_b32_e32 v8, -1
	s_and_saveexec_b64 s[4:5], vcc
	s_cbranch_execz .LBB2_21
; %bb.20:
	s_trap 2
	ds_read_b32 v8, v0
.LBB2_21:
	s_or_b64 exec, exec, s[4:5]
	v_and_b32_e32 v0, 24, v60
	v_cmp_ne_u32_e64 s[4:5], 0, v0
	s_and_saveexec_b64 s[6:7], s[4:5]
	s_cbranch_execz .LBB2_23
; %bb.22:
	s_trap 2
	s_waitcnt lgkmcnt(0)
	ds_read_b32 v8, v0
.LBB2_23:
	s_or_b64 exec, exec, s[6:7]
	s_waitcnt vmcnt(0)
	v_lshrrev_b64 v[4:5], 31, v[6:7]
	v_mov_b32_e32 v16, 0
	v_and_b32_e32 v0, 3, v4
	v_mov_b32_e32 v4, 0
	v_mov_b32_e32 v5, 0
	;; [unrolled: 1-line block ×3, first 2 shown]
	buffer_store_dword v4, off, s[0:3], s33 offset:60 ; 4-byte Folded Spill
	s_nop 0
	buffer_store_dword v5, off, s[0:3], s33 offset:64 ; 4-byte Folded Spill
	buffer_store_dword v6, off, s[0:3], s33 offset:68 ; 4-byte Folded Spill
	;; [unrolled: 1-line block ×3, first 2 shown]
	s_waitcnt lgkmcnt(0)
	v_ashrrev_i32_e32 v9, 31, v8
                                        ; implicit-def: $vgpr4_vgpr5
                                        ; kill: killed $vgpr4_vgpr5
                                        ; implicit-def: $vgpr61
                                        ; implicit-def: $vgpr38_vgpr39
                                        ; implicit-def: $vgpr6_vgpr7
                                        ; implicit-def: $vgpr26_vgpr27
                                        ; implicit-def: $vgpr20_vgpr21
	s_and_saveexec_b64 s[4:5], vcc
	s_cbranch_execz .LBB2_33
; %bb.24:
	s_trap 2
	ds_read_b64 v[4:5], v0
	v_lshlrev_b64 v[6:7], 3, v[8:9]
	s_movk_i32 s6, 0xa8
	s_waitcnt lgkmcnt(0)
	v_add_co_u32_e32 v4, vcc, v4, v6
	v_addc_co_u32_e32 v5, vcc, v5, v7, vcc
	flat_load_dwordx2 v[4:5], v[4:5]
	v_and_b32_e32 v6, 0xffff, v0
	s_waitcnt vmcnt(0) lgkmcnt(0)
	v_mad_u64_u32 v[24:25], s[6:7], v6, s6, v[4:5]
	flat_load_dword v4, v[24:25] offset:640
	s_waitcnt vmcnt(0) lgkmcnt(0)
	v_cmp_eq_u32_e32 vcc, 1, v4
                                        ; implicit-def: $vgpr4_vgpr5
                                        ; kill: killed $vgpr4_vgpr5
	s_and_saveexec_b64 s[6:7], vcc
	s_cbranch_execz .LBB2_26
; %bb.25:
	flat_load_dwordx2 v[6:7], v[24:25] offset:648
	v_or_b32_e32 v60, 0x2000, v60
	s_waitcnt vmcnt(0) lgkmcnt(0)
	flat_load_dwordx2 v[4:5], v[6:7]
	s_trap 2
	s_waitcnt vmcnt(0) lgkmcnt(0)
	ds_write_b64 v0, v[4:5]
	flat_load_dwordx2 v[4:5], v[6:7] offset:8
	s_waitcnt vmcnt(0) lgkmcnt(0)
	ds_write_b64 v0, v[4:5]
	buffer_store_dword v6, off, s[0:3], s33 offset:212 ; 4-byte Folded Spill
	s_nop 0
	buffer_store_dword v7, off, s[0:3], s33 offset:216 ; 4-byte Folded Spill
	flat_load_dwordx2 v[4:5], v[6:7] offset:16
	s_waitcnt vmcnt(0) lgkmcnt(0)
	ds_write_b64 v0, v[4:5]
.LBB2_26:
	s_or_b64 exec, exec, s[6:7]
	flat_load_dwordx2 v[4:5], v[24:25] offset:608
	v_and_b32_e32 v6, 32, v60
                                        ; implicit-def: $vgpr20_vgpr21
	s_waitcnt vmcnt(0) lgkmcnt(0)
	v_add_co_u32_e32 v4, vcc, 3, v4
	v_addc_co_u32_e32 v39, vcc, 0, v5, vcc
	v_and_b32_e32 v38, -4, v4
	v_cmp_ne_u32_e32 vcc, 0, v6
	s_and_saveexec_b64 s[6:7], vcc
	s_cbranch_execz .LBB2_28
; %bb.27:
	flat_load_dwordx2 v[20:21], v[24:25] offset:560
	s_waitcnt vmcnt(0) lgkmcnt(0)
	flat_store_dwordx2 v[20:21], v[38:39]
.LBB2_28:
	s_or_b64 exec, exec, s[6:7]
	v_add_co_u32_e32 v16, vcc, 0x1f8, v24
	v_mov_b32_e32 v5, 0
	v_addc_co_u32_e32 v17, vcc, 0, v25, vcc
	v_and_b32_e32 v4, 4, v60
	v_mov_b32_e32 v6, 0
	buffer_store_dword v5, off, s[0:3], s33 offset:60 ; 4-byte Folded Spill
	s_nop 0
	buffer_store_dword v6, off, s[0:3], s33 offset:64 ; 4-byte Folded Spill
	buffer_store_dword v7, off, s[0:3], s33 offset:68 ; 4-byte Folded Spill
	;; [unrolled: 1-line block ×3, first 2 shown]
	v_cmp_ne_u32_e32 vcc, 0, v4
                                        ; implicit-def: $vgpr61
                                        ; implicit-def: $vgpr6_vgpr7
                                        ; implicit-def: $vgpr26_vgpr27
	s_and_saveexec_b64 s[6:7], vcc
	s_cbranch_execz .LBB2_32
; %bb.29:
	v_and_b32_e32 v4, 0x800, v60
	v_cmp_eq_u32_e32 vcc, 0, v4
	s_and_saveexec_b64 s[10:11], vcc
	s_cbranch_execz .LBB2_31
; %bb.30:
	s_trap 2
	ds_write_b64 v0, v[16:17]
.LBB2_31:
	s_or_b64 exec, exec, s[10:11]
	flat_load_dwordx2 v[20:21], v[24:25] offset:552
	v_or_b32_e32 v5, 0x100, v60
	s_waitcnt vmcnt(0) lgkmcnt(0)
	flat_load_dwordx2 v[26:27], v[20:21] glc
	flat_load_dword v4, v[24:25] offset:576
	flat_load_dwordx2 v[32:33], v[24:25] offset:600
	flat_load_dwordx2 v[6:7], v[24:25] offset:520
	s_waitcnt vmcnt(0) lgkmcnt(0)
	v_ashrrev_i32_e32 v61, 1, v4
	v_cmp_eq_u64_e32 vcc, 0, v[32:33]
	v_mov_b32_e32 v18, v32
	v_mov_b32_e32 v19, v33
	v_cndmask_b32_e32 v60, v5, v60, vcc
	buffer_store_dword v18, off, s[0:3], s33 offset:60 ; 4-byte Folded Spill
	s_nop 0
	buffer_store_dword v19, off, s[0:3], s33 offset:64 ; 4-byte Folded Spill
	buffer_store_dword v20, off, s[0:3], s33 offset:68 ; 4-byte Folded Spill
	;; [unrolled: 1-line block ×3, first 2 shown]
.LBB2_32:
	s_or_b64 exec, exec, s[6:7]
.LBB2_33:
	s_or_b64 exec, exec, s[4:5]
	v_and_b32_e32 v4, 24, v60
	v_cmp_ne_u32_e32 vcc, 0, v4
                                        ; implicit-def: $vgpr46_vgpr47
	s_and_saveexec_b64 s[4:5], vcc
	s_cbranch_execz .LBB2_41
; %bb.34:
	s_trap 2
	ds_read_b64 v[4:5], v0
	v_lshlrev_b64 v[8:9], 3, v[8:9]
	v_and_b32_e32 v0, 0xffff, v0
	s_movk_i32 s6, 0xa8
                                        ; implicit-def: $vgpr46_vgpr47
	s_waitcnt lgkmcnt(0)
	v_add_co_u32_e32 v4, vcc, v4, v8
	v_addc_co_u32_e32 v5, vcc, v5, v9, vcc
	flat_load_dwordx2 v[4:5], v[4:5]
	s_waitcnt vmcnt(0) lgkmcnt(0)
	v_mad_u64_u32 v[16:17], s[6:7], v0, s6, v[4:5]
	v_or_b32_e32 v0, 0x100, v60
	flat_load_dwordx4 v[32:35], v[16:17] offset:96
	s_waitcnt vmcnt(0) lgkmcnt(0)
	buffer_store_dword v32, off, s[0:3], s33 offset:60 ; 4-byte Folded Spill
	s_nop 0
	buffer_store_dword v33, off, s[0:3], s33 offset:64 ; 4-byte Folded Spill
	buffer_store_dword v34, off, s[0:3], s33 offset:68 ; 4-byte Folded Spill
	;; [unrolled: 1-line block ×3, first 2 shown]
	v_cmp_eq_u64_e32 vcc, 0, v[32:33]
	v_cndmask_b32_e32 v60, v0, v60, vcc
	v_and_b32_e32 v0, 16, v60
	v_cmp_ne_u32_e32 vcc, 0, v0
	s_and_saveexec_b64 s[6:7], vcc
	s_cbranch_execz .LBB2_36
; %bb.35:
	flat_load_dwordx2 v[20:21], v[16:17] offset:48
	flat_load_dwordx2 v[46:47], v[16:17] offset:120
	;; [unrolled: 1-line block ×3, first 2 shown]
.LBB2_36:
	s_or_b64 exec, exec, s[6:7]
	buffer_load_dword v32, off, s[0:3], s33 offset:60 ; 4-byte Folded Reload
	buffer_load_dword v33, off, s[0:3], s33 offset:64 ; 4-byte Folded Reload
	;; [unrolled: 1-line block ×4, first 2 shown]
	s_waitcnt vmcnt(0)
	v_add_co_u32_e32 v0, vcc, 3, v34
	v_addc_co_u32_e32 v39, vcc, 0, v35, vcc
	v_and_b32_e32 v38, -4, v0
	v_and_b32_e32 v0, 8, v60
	v_cmp_ne_u32_e32 vcc, 0, v0
	s_and_saveexec_b64 s[6:7], vcc
	s_cbranch_execz .LBB2_40
; %bb.37:
	v_and_b32_e32 v0, 0x800, v60
	v_cmp_eq_u32_e32 vcc, 0, v0
	s_and_saveexec_b64 s[10:11], vcc
	s_cbranch_execz .LBB2_39
; %bb.38:
	s_trap 2
	ds_write_b64 v0, v[16:17]
.LBB2_39:
	s_or_b64 exec, exec, s[10:11]
	s_waitcnt lgkmcnt(0)
	flat_load_dwordx2 v[20:21], v[16:17] offset:56
	s_waitcnt vmcnt(0) lgkmcnt(0)
	flat_load_dwordx2 v[26:27], v[20:21] glc
	flat_load_dword v0, v[16:17] offset:72
	flat_load_dwordx2 v[6:7], v[16:17] offset:16
	s_waitcnt vmcnt(0) lgkmcnt(0)
	v_ashrrev_i32_e32 v61, 1, v0
.LBB2_40:
	s_or_b64 exec, exec, s[6:7]
.LBB2_41:
	s_or_b64 exec, exec, s[4:5]
	v_cmp_eq_u32_e64 s[4:5], 0, v56
	s_and_saveexec_b64 s[6:7], s[4:5]
	s_cbranch_execz .LBB2_43
; %bb.42:
	flat_load_dwordx2 v[4:5], v[2:3] offset:32
	v_mov_b32_e32 v8, v12
	v_mov_b32_e32 v9, v13
	ds_write2_b64 v0, v[8:9], v[10:11] offset1:1
	s_trap 2
	s_waitcnt vmcnt(0) lgkmcnt(0)
	ds_write_b64 v0, v[4:5]
	ds_write_b64 v0, v[29:30]
.LBB2_43:
	s_or_b64 exec, exec, s[6:7]
	v_mov_b32_e32 v12, 0
	v_cmp_lt_i64_e32 vcc, 0, v[22:23]
	v_mov_b32_e32 v13, 0
	s_and_saveexec_b64 s[46:47], vcc
	s_cbranch_execz .LBB2_1830
; %bb.44:
	buffer_store_dword v16, off, s[0:3], s33 offset:204 ; 4-byte Folded Spill
	s_nop 0
	buffer_store_dword v17, off, s[0:3], s33 offset:208 ; 4-byte Folded Spill
	flat_load_dword v0, v[2:3] offset:4
	v_mov_b32_e32 v2, 0
	v_and_b32_e32 v16, 0x1fffff00, v28
	v_lshlrev_b32_e32 v4, 4, v56
	v_mov_b32_e32 v17, v2
	buffer_store_dword v31, off, s[0:3], s33 offset:196 ; 4-byte Folded Spill
	s_trap 2
	buffer_store_dword v15, off, s[0:3], s33 offset:200 ; 4-byte Folded Spill
	buffer_store_dword v14, off, s[0:3], s33 offset:192 ; 4-byte Folded Spill
	;; [unrolled: 1-line block ×4, first 2 shown]
	s_nop 0
	buffer_store_dword v17, off, s[0:3], s33 offset:132 ; 4-byte Folded Spill
	s_ashr_i32 s18, s24, 31
	v_lshrrev_b32_e32 v62, 6, v14
	s_lshr_b32 s27, s18, 29
	v_lshlrev_b32_e32 v4, 10, v62
	s_movk_i32 s25, 0x400
	s_add_i32 s27, s24, s27
	v_add_u32_e32 v35, 0xfffffc00, v4
	s_ashr_i32 s53, s52, 31
	v_and_b32_e32 v3, 63, v31
	v_and_b32_e32 v9, 63, v56
	s_ashr_i32 s28, s27, 4
	v_ashrrev_i32_e32 v29, 31, v35
	v_add_co_u32_e64 v31, s[24:25], s25, v35
	v_cmp_lt_u32_e64 s[20:21], v9, v1
	v_cmp_le_u32_e64 s[22:23], v9, v1
	s_add_u32 s66, s52, -1
	v_addc_co_u32_e64 v1, s[24:25], 0, v29, s[24:25]
	s_addc_u32 s67, s53, -1
	s_add_i32 s68, s52, s52
	s_not_b32 s24, s52
	s_cmp_gt_i32 s52, 0
	s_cselect_b32 s24, s24, -1
	s_ashr_i32 s25, s27, 31
	s_add_i32 s69, s24, s68
	s_lshr_b32 s24, s25, 28
	s_add_i32 s28, s28, s24
	s_ashr_i32 s70, s69, 31
	s_ashr_i32 s71, s28, 4
	s_cmp_gt_i32 s52, 2
	v_lshlrev_b32_e32 v8, 1, v14
	s_cselect_b64 s[60:61], -1, 0
	s_add_i32 s27, s52, 1
	v_and_b32_e32 v34, 0x7f80, v8
	v_cmp_ge_u32_e32 vcc, v56, v14
	v_lshrrev_b32_e32 v10, 6, v56
	s_movk_i32 s26, 0x80
	v_add_u32_e32 v11, 0xffffff80, v34
	s_waitcnt lgkmcnt(0)
	v_cmp_eq_u64_e64 s[12:13], 0, v[46:47]
	v_cmp_ne_u64_e64 s[14:15], 0, v[46:47]
	v_mov_b32_e32 v32, 0
	v_mov_b32_e32 v12, 0
	v_cmp_eq_u32_e64 s[18:19], 0, v9
	buffer_store_dword v9, off, s[0:3], s33 offset:116 ; 4-byte Folded Spill
	v_cmp_eq_u32_e64 s[6:7], 64, v14
	v_cmp_ne_u32_e64 s[10:11], 64, v14
	v_cmp_ne_u32_sdwa s[56:57], v14, v15 src0_sel:DWORD src1_sel:WORD_0
	s_mov_b64 s[58:59], 0
	v_mov_b32_e32 v18, 1
	s_mov_b32 s54, 0x7f800000
	s_movk_i32 s55, 0x7fff
	s_mov_b32 s64, 0xffff0000
	s_movk_i32 s65, 0x108
	v_mov_b32_e32 v33, 0
	v_mov_b32_e32 v13, 0
	v_lshlrev_b32_e32 v5, 9, v62
	buffer_store_dword v10, off, s[0:3], s33 offset:108 ; 4-byte Folded Spill
	s_waitcnt vmcnt(0)
	v_and_b32_e32 v0, 1, v0
	v_cmp_eq_u32_e64 s[24:25], 1, v0
	s_xor_b64 s[62:63], s[24:25], -1
	s_cmp_ge_i32 s27, s52
	s_cselect_b32 s28, s52, 0
	s_xor_b64 s[72:73], vcc, -1
	s_sub_i32 s81, s27, s28
	v_add_co_u32_e32 v0, vcc, s26, v11
	v_mad_i64_i32 v[36:37], s[16:17], v16, s52, 0
	v_cmp_eq_u32_e64 s[16:17], 0, v3
	v_lshlrev_b32_e32 v3, 4, v9
	v_mov_b32_e32 v9, v2
	v_lshl_or_b32 v8, v10, 11, v3
	v_ashrrev_i32_e32 v3, 31, v11
	buffer_store_dword v8, off, s[0:3], s33 offset:144 ; 4-byte Folded Spill
	s_nop 0
	buffer_store_dword v9, off, s[0:3], s33 offset:148 ; 4-byte Folded Spill
	s_add_i32 s80, s52, -2
	s_ashr_i32 s74, s53, 31
	s_ashr_i32 s82, s81, 31
	buffer_store_dword v0, off, s[0:3], s33 offset:80 ; 4-byte Folded Spill
	buffer_store_dword v3, off, s[0:3], s33 offset:76 ; 4-byte Folded Spill
	v_addc_co_u32_e32 v0, vcc, 0, v3, vcc
	buffer_store_dword v0, off, s[0:3], s33 offset:84 ; 4-byte Folded Spill
	buffer_store_dword v56, off, s[0:3], s33 offset:112 ; 4-byte Folded Spill
	;; [unrolled: 1-line block ×3, first 2 shown]
	s_nop 0
	buffer_store_dword v47, off, s[0:3], s33 offset:92 ; 4-byte Folded Spill
	buffer_store_dword v22, off, s[0:3], s33 offset:168 ; 4-byte Folded Spill
	s_nop 0
	buffer_store_dword v23, off, s[0:3], s33 offset:172 ; 4-byte Folded Spill
	buffer_store_dword v24, off, s[0:3], s33 offset:176 ; 4-byte Folded Spill
	;; [unrolled: 1-line block ×4, first 2 shown]
	s_nop 0
	buffer_store_dword v37, off, s[0:3], s33 offset:188 ; 4-byte Folded Spill
	s_branch .LBB2_47
.LBB2_45:                               ;   in Loop: Header=BB2_47 Depth=1
	s_or_b64 exec, exec, s[40:41]
.LBB2_46:                               ;   in Loop: Header=BB2_47 Depth=1
	s_or_b64 exec, exec, s[28:29]
	buffer_load_dword v32, off, s[0:3], s33 offset:152 ; 4-byte Folded Reload
	buffer_load_dword v33, off, s[0:3], s33 offset:156 ; 4-byte Folded Reload
	;; [unrolled: 1-line block ×8, first 2 shown]
	s_waitcnt vmcnt(0)
	v_add_co_u32_e32 v32, vcc, v32, v36
	v_addc_co_u32_e32 v33, vcc, v33, v37, vcc
	v_cmp_ge_i64_e32 vcc, v[32:33], v[22:23]
	s_or_b64 s[58:59], vcc, s[58:59]
	s_andn2_b64 exec, exec, s[58:59]
	s_cbranch_execz .LBB2_1829
.LBB2_47:                               ; =>This Loop Header: Depth=1
                                        ;     Child Loop BB2_57 Depth 2
                                        ;       Child Loop BB2_65 Depth 3
                                        ;       Child Loop BB2_89 Depth 3
	;; [unrolled: 1-line block ×9, first 2 shown]
                                        ;     Child Loop BB2_313 Depth 2
                                        ;       Child Loop BB2_319 Depth 3
                                        ;       Child Loop BB2_343 Depth 3
                                        ;       Child Loop BB2_367 Depth 3
                                        ;     Child Loop BB2_385 Depth 2
                                        ;       Child Loop BB2_388 Depth 3
                                        ;         Child Loop BB2_396 Depth 4
                                        ;         Child Loop BB2_424 Depth 4
	;; [unrolled: 1-line block ×9, first 2 shown]
                                        ;       Child Loop BB2_700 Depth 3
                                        ;         Child Loop BB2_706 Depth 4
                                        ;         Child Loop BB2_734 Depth 4
	;; [unrolled: 1-line block ×3, first 2 shown]
                                        ;     Child Loop BB2_775 Depth 2
                                        ;       Child Loop BB2_783 Depth 3
                                        ;       Child Loop BB2_811 Depth 3
	;; [unrolled: 1-line block ×4, first 2 shown]
                                        ;         Child Loop BB2_918 Depth 4
                                        ;       Child Loop BB2_924 Depth 3
                                        ;         Child Loop BB2_989 Depth 4
                                        ;       Child Loop BB2_997 Depth 3
                                        ;       Child Loop BB2_1033 Depth 3
                                        ;         Child Loop BB2_1042 Depth 4
                                        ;       Child Loop BB2_1055 Depth 3
                                        ;       Child Loop BB2_1124 Depth 3
	;; [unrolled: 1-line block ×6, first 2 shown]
                                        ;     Child Loop BB2_1289 Depth 2
                                        ;       Child Loop BB2_1295 Depth 3
                                        ;       Child Loop BB2_1323 Depth 3
	;; [unrolled: 1-line block ×3, first 2 shown]
                                        ;     Child Loop BB2_1365 Depth 2
                                        ;       Child Loop BB2_1368 Depth 3
                                        ;         Child Loop BB2_1376 Depth 4
                                        ;         Child Loop BB2_1404 Depth 4
	;; [unrolled: 1-line block ×4, first 2 shown]
                                        ;           Child Loop BB2_1447 Depth 5
                                        ;         Child Loop BB2_1453 Depth 4
                                        ;           Child Loop BB2_1454 Depth 5
                                        ;         Child Loop BB2_1461 Depth 4
                                        ;         Child Loop BB2_1466 Depth 4
                                        ;           Child Loop BB2_1467 Depth 5
                                        ;         Child Loop BB2_1479 Depth 4
                                        ;         Child Loop BB2_1484 Depth 4
	;; [unrolled: 1-line block ×6, first 2 shown]
                                        ;       Child Loop BB2_1547 Depth 3
                                        ;         Child Loop BB2_1553 Depth 4
                                        ;         Child Loop BB2_1581 Depth 4
                                        ;         Child Loop BB2_1604 Depth 4
                                        ;     Child Loop BB2_1625 Depth 2
                                        ;       Child Loop BB2_1633 Depth 3
                                        ;       Child Loop BB2_1657 Depth 3
	;; [unrolled: 1-line block ×9, first 2 shown]
                                        ;     Child Loop BB2_1763 Depth 2
                                        ;       Child Loop BB2_1769 Depth 3
                                        ;       Child Loop BB2_1793 Depth 3
	;; [unrolled: 1-line block ×3, first 2 shown]
	v_sub_co_u32_e32 v8, vcc, v22, v32
	v_subb_co_u32_e32 v9, vcc, v23, v33, vcc
	buffer_store_dword v8, off, s[0:3], s33 offset:120 ; 4-byte Folded Spill
	s_nop 0
	buffer_store_dword v9, off, s[0:3], s33 offset:124 ; 4-byte Folded Spill
	v_cmp_lt_i64_e32 vcc, v[8:9], v[36:37]
	s_and_saveexec_b64 s[28:29], vcc
	s_cbranch_execz .LBB2_53
; %bb.48:                               ;   in Loop: Header=BB2_47 Depth=1
	buffer_load_dword v8, off, s[0:3], s33 offset:120 ; 4-byte Folded Reload
	buffer_load_dword v9, off, s[0:3], s33 offset:124 ; 4-byte Folded Reload
	v_mov_b32_e32 v3, s67
	s_waitcnt vmcnt(0)
	v_add_co_u32_e32 v0, vcc, s66, v8
	s_waitcnt vmcnt(0)
	v_addc_co_u32_e32 v10, vcc, v3, v9, vcc
	v_or_b32_e32 v3, s53, v10
	v_cmp_ne_u64_e32 vcc, 0, v[2:3]
                                        ; implicit-def: $vgpr8_vgpr9
	s_and_saveexec_b64 s[26:27], vcc
	s_xor_b64 s[40:41], exec, s[26:27]
	s_cbranch_execz .LBB2_50
; %bb.49:                               ;   in Loop: Header=BB2_47 Depth=1
	s_add_u32 s26, s52, s74
	s_mov_b32 s75, s74
	s_addc_u32 s27, s53, s74
	s_xor_b64 s[42:43], s[26:27], s[74:75]
	v_cvt_f32_u32_e32 v3, s42
	v_cvt_f32_u32_e32 v8, s43
	s_sub_u32 s75, 0, s42
	s_subb_u32 s76, 0, s43
	v_mac_f32_e32 v3, 0x4f800000, v8
	v_rcp_f32_e32 v3, v3
	v_mul_f32_e32 v3, 0x5f7ffffc, v3
	v_mul_f32_e32 v8, 0x2f800000, v3
	v_trunc_f32_e32 v8, v8
	v_mac_f32_e32 v3, 0xcf800000, v8
	v_cvt_u32_f32_e32 v8, v8
	v_cvt_u32_f32_e32 v3, v3
	v_readfirstlane_b32 s77, v8
	v_readfirstlane_b32 s26, v3
	s_mul_i32 s27, s75, s77
	s_mul_hi_u32 s79, s75, s26
	s_mul_i32 s78, s76, s26
	s_add_i32 s27, s79, s27
	s_add_i32 s27, s27, s78
	s_mul_i32 s88, s75, s26
	s_mul_i32 s79, s26, s27
	s_mul_hi_u32 s89, s26, s88
	s_mul_hi_u32 s78, s26, s27
	s_add_u32 s79, s89, s79
	s_addc_u32 s78, 0, s78
	s_mul_hi_u32 s90, s77, s88
	s_mul_i32 s88, s77, s88
	s_add_u32 s79, s79, s88
	s_mul_hi_u32 s89, s77, s27
	s_addc_u32 s78, s78, s90
	s_addc_u32 s79, s89, 0
	s_mul_i32 s27, s77, s27
	s_add_u32 s27, s78, s27
	s_addc_u32 s78, 0, s79
	s_add_u32 s79, s26, s27
	s_cselect_b64 s[26:27], -1, 0
	s_cmp_lg_u64 s[26:27], 0
	s_addc_u32 s77, s77, s78
	s_mul_i32 s26, s75, s77
	s_mul_hi_u32 s27, s75, s79
	s_add_i32 s26, s27, s26
	s_mul_i32 s76, s76, s79
	s_add_i32 s26, s26, s76
	s_mul_i32 s75, s75, s79
	s_mul_hi_u32 s76, s77, s75
	s_mul_i32 s78, s77, s75
	s_mul_i32 s89, s79, s26
	s_mul_hi_u32 s75, s79, s75
	s_mul_hi_u32 s88, s79, s26
	s_add_u32 s75, s75, s89
	s_addc_u32 s88, 0, s88
	s_add_u32 s75, s75, s78
	s_mul_hi_u32 s27, s77, s26
	s_addc_u32 s75, s88, s76
	s_addc_u32 s27, s27, 0
	s_mul_i32 s26, s77, s26
	s_add_u32 s26, s75, s26
	s_addc_u32 s75, 0, s27
	s_add_u32 s76, s79, s26
	s_cselect_b64 s[26:27], -1, 0
	v_ashrrev_i32_e32 v3, 31, v10
	s_cmp_lg_u64 s[26:27], 0
	v_add_co_u32_e32 v0, vcc, v0, v3
	s_addc_u32 s75, s77, s75
	v_xor_b32_e32 v0, v0, v3
	v_mad_u64_u32 v[8:9], s[26:27], v0, s75, 0
	v_mul_hi_u32 v11, v0, s76
	v_addc_co_u32_e32 v10, vcc, v10, v3, vcc
	v_xor_b32_e32 v14, v10, v3
	v_add_co_u32_e32 v15, vcc, v11, v8
	v_addc_co_u32_e32 v16, vcc, 0, v9, vcc
	v_mad_u64_u32 v[8:9], s[26:27], v14, s76, 0
	v_mad_u64_u32 v[10:11], s[26:27], v14, s75, 0
	v_add_co_u32_e32 v8, vcc, v15, v8
	v_addc_co_u32_e32 v8, vcc, v16, v9, vcc
	v_addc_co_u32_e32 v9, vcc, 0, v11, vcc
	v_add_co_u32_e32 v10, vcc, v8, v10
	v_addc_co_u32_e32 v11, vcc, 0, v9, vcc
	v_mul_lo_u32 v15, s43, v10
	v_mul_lo_u32 v16, s42, v11
	v_mad_u64_u32 v[8:9], s[26:27], s42, v10, 0
	v_xor_b32_e32 v3, s74, v3
	v_add3_u32 v9, v9, v16, v15
	v_sub_u32_e32 v15, v14, v9
	v_mov_b32_e32 v16, s43
	v_sub_co_u32_e32 v0, vcc, v0, v8
	v_subb_co_u32_e64 v8, s[26:27], v15, v16, vcc
	v_subrev_co_u32_e64 v15, s[26:27], s42, v0
	v_subbrev_co_u32_e64 v8, s[26:27], 0, v8, s[26:27]
	v_cmp_le_u32_e64 s[26:27], s43, v8
	v_cndmask_b32_e64 v16, 0, -1, s[26:27]
	v_cmp_le_u32_e64 s[26:27], s42, v15
	v_cndmask_b32_e64 v15, 0, -1, s[26:27]
	v_cmp_eq_u32_e64 s[26:27], s43, v8
	v_cndmask_b32_e64 v8, v16, v15, s[26:27]
	v_add_co_u32_e64 v15, s[26:27], 2, v10
	v_subb_co_u32_e32 v9, vcc, v14, v9, vcc
	v_addc_co_u32_e64 v16, s[26:27], 0, v11, s[26:27]
	v_cmp_le_u32_e32 vcc, s43, v9
	v_add_co_u32_e64 v17, s[26:27], 1, v10
	v_cndmask_b32_e64 v14, 0, -1, vcc
	v_cmp_le_u32_e32 vcc, s42, v0
	v_addc_co_u32_e64 v19, s[26:27], 0, v11, s[26:27]
	v_cndmask_b32_e64 v0, 0, -1, vcc
	v_cmp_eq_u32_e32 vcc, s43, v9
	v_cmp_ne_u32_e64 s[26:27], 0, v8
	v_cndmask_b32_e32 v0, v14, v0, vcc
	v_cndmask_b32_e64 v8, v19, v16, s[26:27]
	v_cmp_ne_u32_e32 vcc, 0, v0
	v_cndmask_b32_e32 v0, v11, v8, vcc
	v_cndmask_b32_e64 v8, v17, v15, s[26:27]
	v_cndmask_b32_e32 v8, v10, v8, vcc
	v_xor_b32_e32 v8, v8, v3
	v_xor_b32_e32 v0, v0, v3
	v_sub_co_u32_e32 v8, vcc, v8, v3
	v_subb_co_u32_e32 v9, vcc, v0, v3, vcc
                                        ; implicit-def: $vgpr0
.LBB2_50:                               ;   in Loop: Header=BB2_47 Depth=1
	s_andn2_saveexec_b64 s[26:27], s[40:41]
	s_cbranch_execz .LBB2_52
; %bb.51:                               ;   in Loop: Header=BB2_47 Depth=1
	v_cvt_f32_u32_e32 v3, s52
	s_sub_i32 s40, 0, s52
	v_rcp_iflag_f32_e32 v3, v3
	v_mul_f32_e32 v3, 0x4f7ffffe, v3
	v_cvt_u32_f32_e32 v3, v3
	v_mul_lo_u32 v8, s40, v3
	v_mul_hi_u32 v8, v3, v8
	v_add_u32_e32 v3, v3, v8
	v_mul_hi_u32 v3, v0, v3
	v_mul_lo_u32 v8, v3, s52
	v_add_u32_e32 v9, 1, v3
	v_sub_u32_e32 v0, v0, v8
	v_subrev_u32_e32 v8, s52, v0
	v_cmp_le_u32_e32 vcc, s52, v0
	v_cndmask_b32_e32 v0, v0, v8, vcc
	v_cndmask_b32_e32 v3, v3, v9, vcc
	v_add_u32_e32 v8, 1, v3
	v_cmp_le_u32_e32 vcc, s52, v0
	v_cndmask_b32_e32 v8, v3, v8, vcc
	v_mov_b32_e32 v9, v2
.LBB2_52:                               ;   in Loop: Header=BB2_47 Depth=1
	s_or_b64 exec, exec, s[26:27]
	v_add_co_u32_e32 v0, vcc, 7, v8
	v_addc_co_u32_e32 v9, vcc, 0, v9, vcc
	v_and_b32_e32 v8, -8, v0
	buffer_store_dword v8, off, s[0:3], s33 offset:128 ; 4-byte Folded Spill
	s_nop 0
	buffer_store_dword v9, off, s[0:3], s33 offset:132 ; 4-byte Folded Spill
.LBB2_53:                               ;   in Loop: Header=BB2_47 Depth=1
	s_or_b64 exec, exec, s[28:29]
	buffer_load_dword v14, off, s[0:3], s33 offset:128 ; 4-byte Folded Reload
	buffer_load_dword v15, off, s[0:3], s33 offset:132 ; 4-byte Folded Reload
	;; [unrolled: 1-line block ×4, first 2 shown]
	v_mov_b32_e32 v54, 0
	s_waitcnt vmcnt(0)
	v_mul_lo_u32 v3, v14, s70
	s_waitcnt vmcnt(1)
	v_add_co_u32_e32 v10, vcc, v32, v10
	buffer_store_dword v32, off, s[0:3], s33 offset:152 ; 4-byte Folded Spill
	s_nop 0
	buffer_store_dword v33, off, s[0:3], s33 offset:156 ; 4-byte Folded Spill
	v_mul_lo_u32 v0, v15, s69
	v_mad_u64_u32 v[8:9], s[26:27], v14, s69, 0
	v_add3_u32 v9, v9, v3, v0
	v_mov_b32_e32 v0, 0
	s_waitcnt vmcnt(2)
	v_addc_co_u32_e32 v11, vcc, v33, v11, vcc
	buffer_store_dword v10, off, s[0:3], s33 offset:96 ; 4-byte Folded Spill
	s_nop 0
	buffer_store_dword v11, off, s[0:3], s33 offset:100 ; 4-byte Folded Spill
	buffer_load_dword v10, off, s[0:3], s33 offset:120 ; 4-byte Folded Reload
	s_nop 0
	buffer_load_dword v11, off, s[0:3], s33 offset:124 ; 4-byte Folded Reload
	s_waitcnt vmcnt(0)
	v_sub_co_u32_e32 v10, vcc, v10, v8
	s_waitcnt vmcnt(0)
	v_subb_co_u32_e32 v11, vcc, v11, v9, vcc
	v_cmp_lt_i64_e32 vcc, v[14:15], v[10:11]
	v_cndmask_b32_e32 v3, v10, v14, vcc
	v_max_i32_e32 v41, 0, v3
	v_add_u32_e32 v10, 31, v41
	v_lshrrev_b32_e32 v10, 1, v10
	v_and_b32_e32 v10, 0x3ffffff0, v10
	v_cmp_lt_i32_e32 vcc, 0, v3
	v_max_i32_e32 v52, s71, v10
	s_and_b64 s[26:27], s[72:73], vcc
	s_and_saveexec_b64 s[28:29], s[26:27]
	s_cbranch_execz .LBB2_309
; %bb.54:                               ;   in Loop: Header=BB2_47 Depth=1
	v_lshlrev_b64 v[24:25], 1, v[8:9]
	s_mov_b32 s75, 1
	s_mov_b64 s[42:43], -1
	v_mov_b32_e32 v54, 0
	s_mov_b64 s[40:41], 0
	s_branch .LBB2_57
.LBB2_55:                               ;   in Loop: Header=BB2_57 Depth=2
	s_or_b64 exec, exec, s[76:77]
	v_add_co_u32_e32 v38, vcc, 2, v38
	v_addc_co_u32_e32 v39, vcc, 0, v39, vcc
	flat_store_dwordx2 v[20:21], v[38:39]
.LBB2_56:                               ;   in Loop: Header=BB2_57 Depth=2
	s_or_b64 exec, exec, s[26:27]
	v_add_u32_e32 v54, v52, v54
	v_cmp_ge_i32_e32 vcc, v54, v41
	s_xor_b64 s[26:27], s[42:43], -1
	s_or_b64 s[26:27], s[26:27], vcc
	s_and_b64 s[26:27], exec, s[26:27]
	s_or_b64 s[40:41], s[26:27], s[40:41]
	s_mov_b64 s[42:43], 0
	v_mov_b32_e32 v0, s75
	s_mov_b32 s75, 2
	s_andn2_b64 exec, exec, s[40:41]
	s_cbranch_execz .LBB2_308
.LBB2_57:                               ;   Parent Loop BB2_47 Depth=1
                                        ; =>  This Loop Header: Depth=2
                                        ;       Child Loop BB2_65 Depth 3
                                        ;       Child Loop BB2_89 Depth 3
	;; [unrolled: 1-line block ×9, first 2 shown]
	s_and_saveexec_b64 s[26:27], s[4:5]
	s_cbranch_execz .LBB2_59
; %bb.58:                               ;   in Loop: Header=BB2_57 Depth=2
	s_trap 2
	ds_read_b64 v[8:9], v0
	buffer_load_dword v10, off, s[0:3], s33 offset:96 ; 4-byte Folded Reload
	buffer_load_dword v11, off, s[0:3], s33 offset:100 ; 4-byte Folded Reload
	v_ashrrev_i32_e32 v55, 31, v54
	s_waitcnt vmcnt(0)
	v_lshlrev_b64 v[10:11], 1, v[10:11]
	s_waitcnt lgkmcnt(0)
	v_add_co_u32_e32 v0, vcc, v8, v10
	v_addc_co_u32_e32 v3, vcc, v9, v11, vcc
	v_add_co_u32_e32 v0, vcc, v0, v24
	v_lshlrev_b64 v[8:9], 1, v[54:55]
	v_addc_co_u32_e32 v3, vcc, v3, v25, vcc
	v_add_co_u32_e32 v8, vcc, v0, v8
	v_addc_co_u32_e32 v9, vcc, v3, v9, vcc
	v_mov_b32_e32 v3, v2
	ds_write_b64 v0, v[8:9]
	ds_write_b64 v0, v[2:3]
.LBB2_59:                               ;   in Loop: Header=BB2_57 Depth=2
	s_or_b64 exec, exec, s[26:27]
	v_sub_u32_e32 v0, v41, v54
	v_min_i32_e32 v52, v52, v0
	v_and_b32_e32 v0, 8, v60
	v_cmp_ne_u32_e32 vcc, 0, v0
	s_and_saveexec_b64 s[76:77], vcc
	s_cbranch_execz .LBB2_81
; %bb.60:                               ;   in Loop: Header=BB2_57 Depth=2
	s_waitcnt vmcnt(0) lgkmcnt(0)
	v_add_co_u32_e32 v10, vcc, 8, v26
	v_addc_co_u32_e32 v11, vcc, 0, v27, vcc
	v_add_co_u32_e32 v8, vcc, 2, v38
	v_addc_co_u32_e32 v9, vcc, 0, v39, vcc
	v_cmp_lt_u64_e32 vcc, v[10:11], v[8:9]
	s_and_saveexec_b64 s[78:79], vcc
	s_cbranch_execz .LBB2_72
; %bb.61:                               ;   in Loop: Header=BB2_57 Depth=2
	v_and_b32_e32 v0, 64, v60
	s_mov_b32 s50, 0
	v_cmp_eq_u32_e32 vcc, 0, v0
	s_mov_b64 s[88:89], 0
                                        ; implicit-def: $sgpr90_sgpr91
                                        ; implicit-def: $sgpr92_sgpr93
                                        ; implicit-def: $sgpr94_sgpr95
	s_branch .LBB2_65
.LBB2_62:                               ;   in Loop: Header=BB2_65 Depth=3
	s_waitcnt vmcnt(0) lgkmcnt(0)
	v_add_co_u32_e64 v10, s[26:27], 8, v26
	v_addc_co_u32_e64 v11, s[26:27], 0, v27, s[26:27]
	v_cmp_ge_u64_e64 s[26:27], v[10:11], v[8:9]
	s_or_b64 s[36:37], s[36:37], exec
	s_orn2_b64 s[34:35], s[26:27], exec
.LBB2_63:                               ;   in Loop: Header=BB2_65 Depth=3
	s_or_b64 exec, exec, s[48:49]
	s_andn2_b64 s[26:27], s[94:95], exec
	s_and_b64 s[94:95], s[36:37], exec
	s_or_b64 s[94:95], s[26:27], s[94:95]
	s_andn2_b64 s[26:27], s[92:93], exec
	s_and_b64 s[92:93], s[34:35], exec
	s_or_b64 s[92:93], s[26:27], s[92:93]
.LBB2_64:                               ;   in Loop: Header=BB2_65 Depth=3
	s_or_b64 exec, exec, s[30:31]
	s_and_b64 s[26:27], exec, s[92:93]
	s_or_b64 s[88:89], s[26:27], s[88:89]
	s_andn2_b64 s[26:27], s[90:91], exec
	s_and_b64 s[90:91], s[94:95], exec
	s_or_b64 s[90:91], s[26:27], s[90:91]
	s_andn2_b64 exec, exec, s[88:89]
	s_cbranch_execz .LBB2_69
.LBB2_65:                               ;   Parent Loop BB2_47 Depth=1
                                        ;     Parent Loop BB2_57 Depth=2
                                        ; =>    This Inner Loop Header: Depth=3
	s_sleep 1
	s_waitcnt vmcnt(0) lgkmcnt(0)
	flat_load_dwordx2 v[26:27], v[20:21] glc
	s_or_b64 s[94:95], s[94:95], exec
	s_or_b64 s[92:93], s[92:93], exec
                                        ; implicit-def: $vgpr0
	s_and_saveexec_b64 s[30:31], vcc
	s_cbranch_execz .LBB2_64
; %bb.66:                               ;   in Loop: Header=BB2_65 Depth=3
	s_cmpk_lt_i32 s50, 0x270f
	s_cselect_b64 s[38:39], -1, 0
	s_cmpk_gt_i32 s50, 0x270e
	s_mov_b64 s[34:35], -1
	s_cbranch_scc0 .LBB2_68
; %bb.67:                               ;   in Loop: Header=BB2_65 Depth=3
	s_trap 2
	ds_read_b64 v[10:11], v0
	s_andn2_b64 s[38:39], s[38:39], exec
	s_mov_b32 s50, 0
	s_mov_b64 s[36:37], 0
	s_waitcnt vmcnt(0) lgkmcnt(0)
	flat_load_dword v0, v[10:11] glc
	s_waitcnt vmcnt(0) lgkmcnt(0)
	buffer_wbinvl1_vol
	v_cmp_eq_u32_e64 s[26:27], 0, v0
	s_and_b64 s[26:27], s[26:27], exec
	s_or_b64 s[38:39], s[38:39], s[26:27]
	s_and_saveexec_b64 s[48:49], s[38:39]
	s_cbranch_execz .LBB2_63
	s_branch .LBB2_62
.LBB2_68:                               ;   in Loop: Header=BB2_65 Depth=3
	s_add_i32 s50, s50, 1
	s_mov_b64 s[36:37], -1
                                        ; implicit-def: $vgpr0
	s_and_saveexec_b64 s[48:49], s[38:39]
	s_cbranch_execz .LBB2_63
	s_branch .LBB2_62
.LBB2_69:                               ;   in Loop: Header=BB2_57 Depth=2
	s_or_b64 exec, exec, s[88:89]
	s_xor_b64 s[26:27], s[90:91], -1
	s_and_saveexec_b64 s[88:89], s[26:27]
	s_xor_b64 s[26:27], exec, s[88:89]
	s_cbranch_execz .LBB2_71
; %bb.70:                               ;   in Loop: Header=BB2_57 Depth=2
	v_or_b32_e32 v60, 64, v60
	s_waitcnt lgkmcnt(0)
	ds_write_b32 v0, v0
	s_trap 2
.LBB2_71:                               ;   in Loop: Header=BB2_57 Depth=2
	s_or_b64 exec, exec, s[26:27]
.LBB2_72:                               ;   in Loop: Header=BB2_57 Depth=2
	s_or_b64 exec, exec, s[78:79]
	v_and_b32_e32 v0, 0x100, v60
	v_cmp_ne_u32_e32 vcc, 0, v0
	v_and_b32_e32 v0, 7, v38
	s_mov_b64 s[26:27], -1
	;;#ASMSTART
	s_wakeup
	;;#ASMEND
                                        ; implicit-def: $vgpr10_vgpr11
	s_and_saveexec_b64 s[78:79], vcc
	s_cbranch_execz .LBB2_76
; %bb.73:                               ;   in Loop: Header=BB2_57 Depth=2
	buffer_load_dword v14, off, s[0:3], s33 offset:60 ; 4-byte Folded Reload
	buffer_load_dword v15, off, s[0:3], s33 offset:64 ; 4-byte Folded Reload
	;; [unrolled: 1-line block ×4, first 2 shown]
	v_ashrrev_i32_e32 v53, 31, v52
	v_lshlrev_b64 v[10:11], 1, v[52:53]
	s_waitcnt vmcnt(0)
	v_mad_u64_u32 v[38:39], s[26:27], v0, 24, v[14:15]
	flat_load_dword v3, v[38:39]
	s_nop 0
	flat_store_dwordx2 v[38:39], v[10:11] offset:8
                                        ; implicit-def: $vgpr10_vgpr11
	s_waitcnt vmcnt(0) lgkmcnt(0)
	v_cmp_ne_u32_e32 vcc, 1, v3
	v_cmp_eq_u32_e64 s[26:27], 1, v3
	s_and_saveexec_b64 s[88:89], s[26:27]
	s_cbranch_execz .LBB2_75
; %bb.74:                               ;   in Loop: Header=BB2_57 Depth=2
	flat_load_dword v10, v[38:39] offset:4 glc
	s_waitcnt vmcnt(0) lgkmcnt(0)
	v_ashrrev_i32_e32 v11, 31, v10
	v_lshrrev_b64 v[10:11], 1, v[10:11]
.LBB2_75:                               ;   in Loop: Header=BB2_57 Depth=2
	s_or_b64 exec, exec, s[88:89]
	s_orn2_b64 s[26:27], vcc, exec
.LBB2_76:                               ;   in Loop: Header=BB2_57 Depth=2
	s_or_b64 exec, exec, s[78:79]
	s_and_saveexec_b64 s[78:79], s[26:27]
; %bb.77:                               ;   in Loop: Header=BB2_57 Depth=2
	v_mad_i64_i32 v[10:11], s[26:27], v0, v61, 0
; %bb.78:                               ;   in Loop: Header=BB2_57 Depth=2
	s_or_b64 exec, exec, s[78:79]
	v_lshlrev_b64 v[10:11], 1, v[10:11]
	v_add_co_u32_e32 v10, vcc, v6, v10
	v_addc_co_u32_e32 v11, vcc, v7, v11, vcc
	ds_write_b64 v0, v[10:11] offset:784
	v_and_b32_e32 v0, 0x2000, v60
	v_cmp_ne_u32_e32 vcc, 0, v0
	s_and_saveexec_b64 s[26:27], vcc
	s_cbranch_execz .LBB2_80
; %bb.79:                               ;   in Loop: Header=BB2_57 Depth=2
	ds_read_b64 v[10:11], v0 offset:872
	s_waitcnt lgkmcnt(0)
	v_add_co_u32_e32 v10, vcc, 1, v10
	v_addc_co_u32_e32 v11, vcc, 0, v11, vcc
	ds_write_b64 v0, v[10:11] offset:872
.LBB2_80:                               ;   in Loop: Header=BB2_57 Depth=2
	s_or_b64 exec, exec, s[26:27]
	v_mov_b32_e32 v39, v9
	v_mov_b32_e32 v38, v8
.LBB2_81:                               ;   in Loop: Header=BB2_57 Depth=2
	s_or_b64 exec, exec, s[76:77]
	s_and_saveexec_b64 s[26:27], s[10:11]
	s_cbranch_execz .LBB2_100
; %bb.82:                               ;   in Loop: Header=BB2_57 Depth=2
	s_and_saveexec_b64 s[76:77], s[56:57]
	s_xor_b64 s[76:77], exec, s[76:77]
	s_cbranch_execz .LBB2_97
; %bb.83:                               ;   in Loop: Header=BB2_57 Depth=2
	s_and_saveexec_b64 s[78:79], s[16:17]
	s_cbranch_execz .LBB2_96
; %bb.84:                               ;   in Loop: Header=BB2_57 Depth=2
	s_mov_b64 s[90:91], exec
	v_mbcnt_lo_u32_b32 v0, s90, 0
	v_mbcnt_hi_u32_b32 v0, s91, v0
	v_cmp_eq_u32_e32 vcc, 0, v0
	s_waitcnt vmcnt(0) lgkmcnt(0)
	buffer_wbinvl1_vol
	s_and_saveexec_b64 s[88:89], vcc
	s_cbranch_execz .LBB2_86
; %bb.85:                               ;   in Loop: Header=BB2_57 Depth=2
	s_bcnt1_i32_b64 s90, s[90:91]
	v_mov_b32_e32 v8, s90
	v_mov_b32_e32 v9, v2
	ds_add_u64 v0, v[8:9]
	s_trap 2
.LBB2_86:                               ;   in Loop: Header=BB2_57 Depth=2
	s_or_b64 exec, exec, s[88:89]
	s_trap 2
	ds_read_b64 v[8:9], v0
	s_waitcnt lgkmcnt(0)
	v_add_co_u32_e32 v12, vcc, v12, v62
	v_addc_co_u32_e32 v13, vcc, 0, v13, vcc
	v_cmp_lt_u64_e32 vcc, v[8:9], v[12:13]
	s_and_saveexec_b64 s[88:89], vcc
	s_cbranch_execz .LBB2_95
; %bb.87:                               ;   in Loop: Header=BB2_57 Depth=2
	s_mov_b32 s36, 0
	s_mov_b64 s[90:91], 0
                                        ; implicit-def: $sgpr92_sgpr93
                                        ; implicit-def: $sgpr94_sgpr95
	s_branch .LBB2_89
.LBB2_88:                               ;   in Loop: Header=BB2_89 Depth=3
	s_or_b64 exec, exec, s[34:35]
	s_and_b64 vcc, exec, vcc
	s_or_b64 s[90:91], vcc, s[90:91]
	s_andn2_b64 s[92:93], s[92:93], exec
	s_and_b64 vcc, s[94:95], exec
	s_or_b64 s[92:93], s[92:93], vcc
	s_andn2_b64 exec, exec, s[90:91]
	s_cbranch_execz .LBB2_93
.LBB2_89:                               ;   Parent Loop BB2_47 Depth=1
                                        ;     Parent Loop BB2_57 Depth=2
                                        ; =>    This Inner Loop Header: Depth=3
	s_add_i32 s36, s36, 1
	s_cmpk_lg_i32 s36, 0x2710
	s_cselect_b64 s[30:31], -1, 0
	s_and_b64 vcc, exec, s[30:31]
	s_cbranch_vccz .LBB2_91
; %bb.90:                               ;   in Loop: Header=BB2_89 Depth=3
	s_mov_b64 vcc, -1
	s_or_b64 s[94:95], s[94:95], exec
	s_and_saveexec_b64 s[34:35], s[30:31]
	s_cbranch_execz .LBB2_88
	s_branch .LBB2_92
.LBB2_91:                               ;   in Loop: Header=BB2_89 Depth=3
	s_trap 2
	ds_read_b64 v[8:9], v0
	s_andn2_b64 s[30:31], s[30:31], exec
	s_mov_b32 s36, 0
	s_waitcnt lgkmcnt(0)
	flat_load_dword v0, v[8:9] glc
	s_waitcnt vmcnt(0) lgkmcnt(0)
	buffer_wbinvl1_vol
	v_cmp_eq_u32_e32 vcc, 0, v0
	s_and_b64 vcc, vcc, exec
	s_or_b64 s[30:31], s[30:31], vcc
	s_mov_b64 vcc, -1
	s_or_b64 s[94:95], s[94:95], exec
	s_and_saveexec_b64 s[34:35], s[30:31]
	s_cbranch_execz .LBB2_88
.LBB2_92:                               ;   in Loop: Header=BB2_89 Depth=3
	s_sleep 1
	s_trap 2
	ds_read_b64 v[8:9], v0
	s_waitcnt lgkmcnt(0)
	s_andn2_b64 s[94:95], s[94:95], exec
	v_cmp_ge_u64_e32 vcc, v[8:9], v[12:13]
	s_orn2_b64 vcc, vcc, exec
	s_branch .LBB2_88
.LBB2_93:                               ;   in Loop: Header=BB2_57 Depth=2
	s_or_b64 exec, exec, s[90:91]
	s_and_saveexec_b64 s[90:91], s[92:93]
	s_xor_b64 s[90:91], exec, s[90:91]
	s_cbranch_execz .LBB2_95
; %bb.94:                               ;   in Loop: Header=BB2_57 Depth=2
	ds_write_b32 v0, v18
	s_trap 2
.LBB2_95:                               ;   in Loop: Header=BB2_57 Depth=2
	s_or_b64 exec, exec, s[88:89]
	;;#ASMSTART
	s_wakeup
	;;#ASMEND
.LBB2_96:                               ;   in Loop: Header=BB2_57 Depth=2
	s_or_b64 exec, exec, s[78:79]
.LBB2_97:                               ;   in Loop: Header=BB2_57 Depth=2
	s_andn2_saveexec_b64 s[76:77], s[76:77]
	s_cbranch_execz .LBB2_99
; %bb.98:                               ;   in Loop: Header=BB2_57 Depth=2
	s_waitcnt vmcnt(0) lgkmcnt(0)
	buffer_wbinvl1_vol
	s_barrier
.LBB2_99:                               ;   in Loop: Header=BB2_57 Depth=2
	s_or_b64 exec, exec, s[76:77]
.LBB2_100:                              ;   in Loop: Header=BB2_57 Depth=2
	s_or_b64 exec, exec, s[26:27]
	s_trap 2
	ds_read_b32 v0, v0
	v_and_b32_e32 v3, 0x4000, v60
	v_cmp_ne_u32_e32 vcc, 0, v3
	s_xor_b64 s[26:27], s[6:7], -1
	s_and_b64 s[76:77], s[26:27], vcc
	s_and_saveexec_b64 s[26:27], s[76:77]
	s_cbranch_execz .LBB2_119
; %bb.101:                              ;   in Loop: Header=BB2_57 Depth=2
	s_and_saveexec_b64 s[76:77], s[56:57]
	s_xor_b64 s[76:77], exec, s[76:77]
	s_cbranch_execz .LBB2_116
; %bb.102:                              ;   in Loop: Header=BB2_57 Depth=2
	s_and_saveexec_b64 s[78:79], s[16:17]
	s_cbranch_execz .LBB2_115
; %bb.103:                              ;   in Loop: Header=BB2_57 Depth=2
	s_mov_b64 s[90:91], exec
	v_mbcnt_lo_u32_b32 v3, s90, 0
	v_mbcnt_hi_u32_b32 v3, s91, v3
	v_cmp_eq_u32_e32 vcc, 0, v3
	s_waitcnt vmcnt(0) lgkmcnt(0)
	buffer_wbinvl1_vol
	s_and_saveexec_b64 s[88:89], vcc
	s_cbranch_execz .LBB2_105
; %bb.104:                              ;   in Loop: Header=BB2_57 Depth=2
	s_bcnt1_i32_b64 s90, s[90:91]
	v_mov_b32_e32 v8, s90
	v_mov_b32_e32 v9, v2
	ds_add_u64 v0, v[8:9]
	s_trap 2
.LBB2_105:                              ;   in Loop: Header=BB2_57 Depth=2
	s_or_b64 exec, exec, s[88:89]
	s_trap 2
	ds_read_b64 v[8:9], v0
	s_waitcnt lgkmcnt(0)
	v_add_co_u32_e32 v12, vcc, v12, v62
	v_addc_co_u32_e32 v13, vcc, 0, v13, vcc
	v_cmp_lt_u64_e32 vcc, v[8:9], v[12:13]
	s_and_saveexec_b64 s[88:89], vcc
	s_cbranch_execz .LBB2_114
; %bb.106:                              ;   in Loop: Header=BB2_57 Depth=2
	s_mov_b32 s36, 0
	s_mov_b64 s[90:91], 0
                                        ; implicit-def: $sgpr92_sgpr93
                                        ; implicit-def: $sgpr94_sgpr95
	s_branch .LBB2_108
.LBB2_107:                              ;   in Loop: Header=BB2_108 Depth=3
	s_or_b64 exec, exec, s[34:35]
	s_and_b64 vcc, exec, vcc
	s_or_b64 s[90:91], vcc, s[90:91]
	s_andn2_b64 s[92:93], s[92:93], exec
	s_and_b64 vcc, s[94:95], exec
	s_or_b64 s[92:93], s[92:93], vcc
	s_andn2_b64 exec, exec, s[90:91]
	s_cbranch_execz .LBB2_112
.LBB2_108:                              ;   Parent Loop BB2_47 Depth=1
                                        ;     Parent Loop BB2_57 Depth=2
                                        ; =>    This Inner Loop Header: Depth=3
	s_add_i32 s36, s36, 1
	s_cmpk_lg_i32 s36, 0x2710
	s_cselect_b64 s[30:31], -1, 0
	s_and_b64 vcc, exec, s[30:31]
	s_cbranch_vccz .LBB2_110
; %bb.109:                              ;   in Loop: Header=BB2_108 Depth=3
	s_mov_b64 vcc, -1
	s_or_b64 s[94:95], s[94:95], exec
	s_and_saveexec_b64 s[34:35], s[30:31]
	s_cbranch_execz .LBB2_107
	s_branch .LBB2_111
.LBB2_110:                              ;   in Loop: Header=BB2_108 Depth=3
	s_trap 2
	ds_read_b64 v[8:9], v0
	s_andn2_b64 s[30:31], s[30:31], exec
	s_mov_b32 s36, 0
	s_waitcnt lgkmcnt(0)
	flat_load_dword v3, v[8:9] glc
	s_waitcnt vmcnt(0) lgkmcnt(0)
	buffer_wbinvl1_vol
	v_cmp_eq_u32_e32 vcc, 0, v3
	s_and_b64 vcc, vcc, exec
	s_or_b64 s[30:31], s[30:31], vcc
	s_mov_b64 vcc, -1
	s_or_b64 s[94:95], s[94:95], exec
	s_and_saveexec_b64 s[34:35], s[30:31]
	s_cbranch_execz .LBB2_107
.LBB2_111:                              ;   in Loop: Header=BB2_108 Depth=3
	s_sleep 1
	s_trap 2
	ds_read_b64 v[8:9], v0
	s_waitcnt lgkmcnt(0)
	s_andn2_b64 s[94:95], s[94:95], exec
	v_cmp_ge_u64_e32 vcc, v[8:9], v[12:13]
	s_orn2_b64 vcc, vcc, exec
	s_branch .LBB2_107
.LBB2_112:                              ;   in Loop: Header=BB2_57 Depth=2
	s_or_b64 exec, exec, s[90:91]
	s_and_saveexec_b64 s[90:91], s[92:93]
	s_xor_b64 s[90:91], exec, s[90:91]
	s_cbranch_execz .LBB2_114
; %bb.113:                              ;   in Loop: Header=BB2_57 Depth=2
	ds_write_b32 v0, v18
	s_trap 2
.LBB2_114:                              ;   in Loop: Header=BB2_57 Depth=2
	s_or_b64 exec, exec, s[88:89]
	;;#ASMSTART
	s_wakeup
	;;#ASMEND
.LBB2_115:                              ;   in Loop: Header=BB2_57 Depth=2
	s_or_b64 exec, exec, s[78:79]
.LBB2_116:                              ;   in Loop: Header=BB2_57 Depth=2
	s_andn2_saveexec_b64 s[76:77], s[76:77]
	s_cbranch_execz .LBB2_118
; %bb.117:                              ;   in Loop: Header=BB2_57 Depth=2
	s_waitcnt vmcnt(0) lgkmcnt(0)
	buffer_wbinvl1_vol
	s_barrier
.LBB2_118:                              ;   in Loop: Header=BB2_57 Depth=2
	s_or_b64 exec, exec, s[76:77]
.LBB2_119:                              ;   in Loop: Header=BB2_57 Depth=2
	s_or_b64 exec, exec, s[26:27]
	s_trap 2
	s_waitcnt lgkmcnt(0)
	ds_read_b64 v[42:43], v0
	s_waitcnt lgkmcnt(0)
	v_cmp_eq_u64_e32 vcc, 0, v[42:43]
	s_cbranch_vccnz .LBB2_127
; %bb.120:                              ;   in Loop: Header=BB2_57 Depth=2
	s_trap 2
	ds_read_b64 v[44:45], v0
	s_waitcnt lgkmcnt(0)
	v_cmp_eq_u64_e32 vcc, 0, v[44:45]
	s_cbranch_vccnz .LBB2_127
; %bb.121:                              ;   in Loop: Header=BB2_57 Depth=2
	s_mov_b64 s[26:27], -1
	s_and_saveexec_b64 s[76:77], s[18:19]
	s_cbranch_execz .LBB2_123
; %bb.122:                              ;   in Loop: Header=BB2_57 Depth=2
	ds_read_b32 v3, v0 offset:720
	s_waitcnt lgkmcnt(0)
	v_and_b32_e32 v3, 15, v3
	v_cmp_eq_u32_e32 vcc, 0, v3
	s_orn2_b64 s[26:27], vcc, exec
.LBB2_123:                              ;   in Loop: Header=BB2_57 Depth=2
	s_or_b64 exec, exec, s[76:77]
	s_and_saveexec_b64 s[76:77], s[20:21]
	s_cbranch_execz .LBB2_125
; %bb.124:                              ;   in Loop: Header=BB2_57 Depth=2
	ds_read_b32 v3, v0 offset:784
	s_waitcnt lgkmcnt(0)
	v_and_b32_e32 v3, 15, v3
	v_cmp_eq_u32_e32 vcc, 0, v3
	s_and_b64 s[78:79], s[26:27], vcc
	s_andn2_b64 s[26:27], s[26:27], exec
	s_and_b64 s[78:79], s[78:79], exec
	s_or_b64 s[26:27], s[26:27], s[78:79]
.LBB2_125:                              ;   in Loop: Header=BB2_57 Depth=2
	s_or_b64 exec, exec, s[76:77]
	v_cmp_eq_u32_e32 vcc, 0, v0
	s_xor_b64 s[26:27], s[26:27], -1
	v_cndmask_b32_e32 v3, 0, v52, vcc
	v_cndmask_b32_e64 v0, 0, 1, s[26:27]
	v_lshlrev_b32_e32 v59, 1, v3
	s_mov_b64 s[78:79], -1
	v_cmp_ne_u32_e32 vcc, 0, v0
	v_mov_b32_e32 v19, 0
	s_cbranch_vccz .LBB2_128
; %bb.126:                              ;   in Loop: Header=BB2_57 Depth=2
	s_waitcnt vmcnt(0)
	v_mov_b32_e32 v30, v56
	s_and_saveexec_b64 s[26:27], s[78:79]
	s_cbranch_execnz .LBB2_235
	s_branch .LBB2_263
.LBB2_127:                              ;   in Loop: Header=BB2_57 Depth=2
	s_mov_b64 s[26:27], 0
	s_and_saveexec_b64 s[76:77], s[10:11]
	s_cbranch_execnz .LBB2_264
	s_branch .LBB2_282
.LBB2_128:                              ;   in Loop: Header=BB2_57 Depth=2
	v_ashrrev_i32_e32 v0, 31, v59
	v_lshrrev_b32_e32 v0, 21, v0
	v_add_u32_e32 v0, v59, v0
	v_ashrrev_i32_e32 v15, 11, v0
	buffer_load_dword v0, off, s[0:3], s33 offset:108 ; 4-byte Folded Reload
	s_waitcnt vmcnt(0)
	v_sub_u32_e32 v14, v15, v0
	v_cmp_lt_i32_e32 vcc, 0, v14
	s_and_saveexec_b64 s[26:27], vcc
	s_cbranch_execz .LBB2_196
; %bb.129:                              ;   in Loop: Header=BB2_57 Depth=2
	s_trap 2
	ds_read_b32 v0, v0
	buffer_load_dword v46, off, s[0:3], s33 offset:144 ; 4-byte Folded Reload
	buffer_load_dword v47, off, s[0:3], s33 offset:148 ; 4-byte Folded Reload
	s_mov_b64 s[76:77], 0
	s_waitcnt lgkmcnt(0)
	v_lshlrev_b32_e32 v19, 16, v0
	s_branch .LBB2_131
.LBB2_130:                              ;   in Loop: Header=BB2_131 Depth=3
	s_or_b64 exec, exec, s[78:79]
	v_lshrrev_b32_e32 v22, 16, v36
	v_and_or_b32 v49, v37, s64, v22
	v_lshrrev_b32_e32 v22, 16, v30
	v_and_or_b32 v48, v32, s64, v22
	v_lshrrev_b32_e32 v22, 16, v53
	v_lshrrev_b32_e32 v8, 16, v8
	v_and_or_b32 v50, v57, s64, v22
	v_lshrrev_b32_e32 v22, 16, v58
	v_and_or_b32 v9, v9, s64, v8
	;; [unrolled: 2-line block ×3, first 2 shown]
	v_add_co_u32_e32 v22, vcc, v44, v46
	v_and_or_b32 v8, v0, s64, v8
	v_lshrrev_b32_e32 v0, 16, v16
	v_addc_co_u32_e32 v23, vcc, v45, v47, vcc
	v_and_or_b32 v10, v10, s64, v0
	v_lshrrev_b32_e32 v0, 16, v17
	v_sub_u32_e32 v14, v14, v62
	v_and_or_b32 v11, v11, s64, v0
	v_cmp_gt_i32_e32 vcc, 1, v14
	v_lshlrev_b32_e32 v0, 11, v62
	s_or_b64 s[76:77], vcc, s[76:77]
	v_add_co_u32_e32 v46, vcc, v46, v0
	v_addc_co_u32_e32 v47, vcc, 0, v47, vcc
	global_store_dwordx4 v[22:23], v[48:51], off glc slc
	global_store_dwordx4 v[22:23], v[8:11], off offset:1024 glc slc
	s_andn2_b64 exec, exec, s[76:77]
	s_cbranch_execz .LBB2_195
.LBB2_131:                              ;   Parent Loop BB2_47 Depth=1
                                        ;     Parent Loop BB2_57 Depth=2
                                        ; =>    This Inner Loop Header: Depth=3
	s_waitcnt vmcnt(1)
	v_add_co_u32_e32 v55, vcc, v42, v46
	s_waitcnt vmcnt(0)
	v_addc_co_u32_e32 v56, vcc, v43, v47, vcc
	global_load_dwordx4 v[8:11], v[55:56], off glc slc
                                        ; implicit-def: $vgpr30
	s_waitcnt vmcnt(0)
	v_lshlrev_b32_e32 v0, 16, v8
	v_mul_f32_e32 v0, v19, v0
	v_and_b32_e32 v16, 0x7f800000, v0
	v_cmp_ne_u32_e32 vcc, s54, v16
	s_and_saveexec_b64 s[78:79], vcc
	s_xor_b64 s[78:79], exec, s[78:79]
; %bb.132:                              ;   in Loop: Header=BB2_131 Depth=3
	v_bfe_u32 v16, v0, 16, 1
	v_add3_u32 v30, v0, v16, s55
                                        ; implicit-def: $vgpr0
; %bb.133:                              ;   in Loop: Header=BB2_131 Depth=3
	s_andn2_saveexec_b64 s[78:79], s[78:79]
; %bb.134:                              ;   in Loop: Header=BB2_131 Depth=3
	v_or_b32_e32 v16, 0x10000, v0
	v_cmp_eq_u32_sdwa vcc, v0, v2 src0_sel:WORD_0 src1_sel:DWORD
	v_cndmask_b32_e32 v30, v16, v0, vcc
; %bb.135:                              ;   in Loop: Header=BB2_131 Depth=3
	s_or_b64 exec, exec, s[78:79]
	v_and_b32_e32 v0, 0xffff0000, v8
	v_mul_f32_e32 v0, v19, v0
	v_and_b32_e32 v8, 0x7f800000, v0
	v_cmp_ne_u32_e32 vcc, s54, v8
                                        ; implicit-def: $vgpr32
	s_and_saveexec_b64 s[78:79], vcc
	s_xor_b64 s[78:79], exec, s[78:79]
; %bb.136:                              ;   in Loop: Header=BB2_131 Depth=3
	v_bfe_u32 v8, v0, 16, 1
	v_add3_u32 v32, v0, v8, s55
                                        ; implicit-def: $vgpr0
; %bb.137:                              ;   in Loop: Header=BB2_131 Depth=3
	s_andn2_saveexec_b64 s[78:79], s[78:79]
; %bb.138:                              ;   in Loop: Header=BB2_131 Depth=3
	v_or_b32_e32 v8, 0x10000, v0
	v_cmp_eq_u32_sdwa vcc, v0, v2 src0_sel:WORD_0 src1_sel:DWORD
	v_cndmask_b32_e32 v32, v8, v0, vcc
; %bb.139:                              ;   in Loop: Header=BB2_131 Depth=3
	s_or_b64 exec, exec, s[78:79]
	v_lshlrev_b32_e32 v0, 16, v9
	v_mul_f32_e32 v0, v19, v0
	v_and_b32_e32 v8, 0x7f800000, v0
	v_cmp_ne_u32_e32 vcc, s54, v8
                                        ; implicit-def: $vgpr36
	s_and_saveexec_b64 s[78:79], vcc
	s_xor_b64 s[78:79], exec, s[78:79]
; %bb.140:                              ;   in Loop: Header=BB2_131 Depth=3
	v_bfe_u32 v8, v0, 16, 1
	v_add3_u32 v36, v0, v8, s55
                                        ; implicit-def: $vgpr0
; %bb.141:                              ;   in Loop: Header=BB2_131 Depth=3
	s_andn2_saveexec_b64 s[78:79], s[78:79]
; %bb.142:                              ;   in Loop: Header=BB2_131 Depth=3
	v_or_b32_e32 v8, 0x10000, v0
	v_cmp_eq_u32_sdwa vcc, v0, v2 src0_sel:WORD_0 src1_sel:DWORD
	v_cndmask_b32_e32 v36, v8, v0, vcc
; %bb.143:                              ;   in Loop: Header=BB2_131 Depth=3
	s_or_b64 exec, exec, s[78:79]
	v_and_b32_e32 v0, 0xffff0000, v9
	v_mul_f32_e32 v0, v19, v0
	v_and_b32_e32 v8, 0x7f800000, v0
	v_cmp_ne_u32_e32 vcc, s54, v8
                                        ; implicit-def: $vgpr37
	s_and_saveexec_b64 s[78:79], vcc
	s_xor_b64 s[78:79], exec, s[78:79]
; %bb.144:                              ;   in Loop: Header=BB2_131 Depth=3
	v_bfe_u32 v8, v0, 16, 1
	v_add3_u32 v37, v0, v8, s55
                                        ; implicit-def: $vgpr0
; %bb.145:                              ;   in Loop: Header=BB2_131 Depth=3
	s_andn2_saveexec_b64 s[78:79], s[78:79]
; %bb.146:                              ;   in Loop: Header=BB2_131 Depth=3
	v_or_b32_e32 v8, 0x10000, v0
	v_cmp_eq_u32_sdwa vcc, v0, v2 src0_sel:WORD_0 src1_sel:DWORD
	v_cndmask_b32_e32 v37, v8, v0, vcc
; %bb.147:                              ;   in Loop: Header=BB2_131 Depth=3
	s_or_b64 exec, exec, s[78:79]
	v_lshlrev_b32_e32 v0, 16, v10
	v_mul_f32_e32 v0, v19, v0
	v_and_b32_e32 v8, 0x7f800000, v0
	v_cmp_ne_u32_e32 vcc, s54, v8
                                        ; implicit-def: $vgpr53
	s_and_saveexec_b64 s[78:79], vcc
	s_xor_b64 s[78:79], exec, s[78:79]
; %bb.148:                              ;   in Loop: Header=BB2_131 Depth=3
	v_bfe_u32 v8, v0, 16, 1
	v_add3_u32 v53, v0, v8, s55
                                        ; implicit-def: $vgpr0
; %bb.149:                              ;   in Loop: Header=BB2_131 Depth=3
	s_andn2_saveexec_b64 s[78:79], s[78:79]
; %bb.150:                              ;   in Loop: Header=BB2_131 Depth=3
	v_or_b32_e32 v8, 0x10000, v0
	v_cmp_eq_u32_sdwa vcc, v0, v2 src0_sel:WORD_0 src1_sel:DWORD
	v_cndmask_b32_e32 v53, v8, v0, vcc
; %bb.151:                              ;   in Loop: Header=BB2_131 Depth=3
	s_or_b64 exec, exec, s[78:79]
	v_and_b32_e32 v0, 0xffff0000, v10
	v_mul_f32_e32 v0, v19, v0
	v_and_b32_e32 v8, 0x7f800000, v0
	v_cmp_ne_u32_e32 vcc, s54, v8
                                        ; implicit-def: $vgpr57
	s_and_saveexec_b64 s[78:79], vcc
	s_xor_b64 s[78:79], exec, s[78:79]
; %bb.152:                              ;   in Loop: Header=BB2_131 Depth=3
	v_bfe_u32 v8, v0, 16, 1
	v_add3_u32 v57, v0, v8, s55
                                        ; implicit-def: $vgpr0
; %bb.153:                              ;   in Loop: Header=BB2_131 Depth=3
	s_andn2_saveexec_b64 s[78:79], s[78:79]
; %bb.154:                              ;   in Loop: Header=BB2_131 Depth=3
	v_or_b32_e32 v8, 0x10000, v0
	v_cmp_eq_u32_sdwa vcc, v0, v2 src0_sel:WORD_0 src1_sel:DWORD
	v_cndmask_b32_e32 v57, v8, v0, vcc
; %bb.155:                              ;   in Loop: Header=BB2_131 Depth=3
	s_or_b64 exec, exec, s[78:79]
	v_lshlrev_b32_e32 v0, 16, v11
	v_mul_f32_e32 v0, v19, v0
	v_and_b32_e32 v8, 0x7f800000, v0
	v_cmp_ne_u32_e32 vcc, s54, v8
                                        ; implicit-def: $vgpr58
	s_and_saveexec_b64 s[78:79], vcc
	s_xor_b64 s[78:79], exec, s[78:79]
; %bb.156:                              ;   in Loop: Header=BB2_131 Depth=3
	v_bfe_u32 v8, v0, 16, 1
	v_add3_u32 v58, v0, v8, s55
                                        ; implicit-def: $vgpr0
; %bb.157:                              ;   in Loop: Header=BB2_131 Depth=3
	s_andn2_saveexec_b64 s[78:79], s[78:79]
; %bb.158:                              ;   in Loop: Header=BB2_131 Depth=3
	v_or_b32_e32 v8, 0x10000, v0
	v_cmp_eq_u32_sdwa vcc, v0, v2 src0_sel:WORD_0 src1_sel:DWORD
	v_cndmask_b32_e32 v58, v8, v0, vcc
; %bb.159:                              ;   in Loop: Header=BB2_131 Depth=3
	s_or_b64 exec, exec, s[78:79]
	v_and_b32_e32 v0, 0xffff0000, v11
	v_mul_f32_e32 v0, v19, v0
	v_and_b32_e32 v8, 0x7f800000, v0
	v_cmp_ne_u32_e32 vcc, s54, v8
                                        ; implicit-def: $vgpr40
	s_and_saveexec_b64 s[78:79], vcc
	s_xor_b64 s[78:79], exec, s[78:79]
; %bb.160:                              ;   in Loop: Header=BB2_131 Depth=3
	v_bfe_u32 v8, v0, 16, 1
	v_add3_u32 v40, v0, v8, s55
                                        ; implicit-def: $vgpr0
; %bb.161:                              ;   in Loop: Header=BB2_131 Depth=3
	s_andn2_saveexec_b64 s[78:79], s[78:79]
; %bb.162:                              ;   in Loop: Header=BB2_131 Depth=3
	v_or_b32_e32 v8, 0x10000, v0
	v_cmp_eq_u32_sdwa vcc, v0, v2 src0_sel:WORD_0 src1_sel:DWORD
	v_cndmask_b32_e32 v40, v8, v0, vcc
; %bb.163:                              ;   in Loop: Header=BB2_131 Depth=3
	s_or_b64 exec, exec, s[78:79]
	global_load_dwordx4 v[8:11], v[55:56], off offset:1024 glc slc
                                        ; implicit-def: $vgpr55
	s_waitcnt vmcnt(0)
	v_lshlrev_b32_e32 v0, 16, v8
	v_mul_f32_e32 v0, v19, v0
	v_and_b32_e32 v16, 0x7f800000, v0
	v_cmp_ne_u32_e32 vcc, s54, v16
	s_and_saveexec_b64 s[78:79], vcc
	s_xor_b64 s[78:79], exec, s[78:79]
; %bb.164:                              ;   in Loop: Header=BB2_131 Depth=3
	v_bfe_u32 v16, v0, 16, 1
	v_add3_u32 v55, v0, v16, s55
                                        ; implicit-def: $vgpr0
; %bb.165:                              ;   in Loop: Header=BB2_131 Depth=3
	s_andn2_saveexec_b64 s[78:79], s[78:79]
; %bb.166:                              ;   in Loop: Header=BB2_131 Depth=3
	v_or_b32_e32 v16, 0x10000, v0
	v_cmp_eq_u32_sdwa vcc, v0, v2 src0_sel:WORD_0 src1_sel:DWORD
	v_cndmask_b32_e32 v55, v16, v0, vcc
; %bb.167:                              ;   in Loop: Header=BB2_131 Depth=3
	s_or_b64 exec, exec, s[78:79]
	v_and_b32_e32 v0, 0xffff0000, v8
	v_mul_f32_e32 v8, v19, v0
	v_and_b32_e32 v0, 0x7f800000, v8
	v_cmp_ne_u32_e32 vcc, s54, v0
                                        ; implicit-def: $vgpr0
	s_and_saveexec_b64 s[78:79], vcc
	s_xor_b64 s[78:79], exec, s[78:79]
; %bb.168:                              ;   in Loop: Header=BB2_131 Depth=3
	v_bfe_u32 v0, v8, 16, 1
	v_add3_u32 v0, v8, v0, s55
                                        ; implicit-def: $vgpr8
; %bb.169:                              ;   in Loop: Header=BB2_131 Depth=3
	s_andn2_saveexec_b64 s[78:79], s[78:79]
; %bb.170:                              ;   in Loop: Header=BB2_131 Depth=3
	v_or_b32_e32 v0, 0x10000, v8
	v_cmp_eq_u32_sdwa vcc, v8, v2 src0_sel:WORD_0 src1_sel:DWORD
	v_cndmask_b32_e32 v0, v0, v8, vcc
; %bb.171:                              ;   in Loop: Header=BB2_131 Depth=3
	s_or_b64 exec, exec, s[78:79]
	v_lshlrev_b32_e32 v8, 16, v9
	v_mul_f32_e32 v16, v19, v8
	v_and_b32_e32 v8, 0x7f800000, v16
	v_cmp_ne_u32_e32 vcc, s54, v8
                                        ; implicit-def: $vgpr8
	s_and_saveexec_b64 s[78:79], vcc
	s_xor_b64 s[78:79], exec, s[78:79]
; %bb.172:                              ;   in Loop: Header=BB2_131 Depth=3
	v_bfe_u32 v8, v16, 16, 1
	v_add3_u32 v8, v16, v8, s55
                                        ; implicit-def: $vgpr16
; %bb.173:                              ;   in Loop: Header=BB2_131 Depth=3
	s_andn2_saveexec_b64 s[78:79], s[78:79]
; %bb.174:                              ;   in Loop: Header=BB2_131 Depth=3
	v_or_b32_e32 v8, 0x10000, v16
	v_cmp_eq_u32_sdwa vcc, v16, v2 src0_sel:WORD_0 src1_sel:DWORD
	v_cndmask_b32_e32 v8, v8, v16, vcc
; %bb.175:                              ;   in Loop: Header=BB2_131 Depth=3
	s_or_b64 exec, exec, s[78:79]
	v_and_b32_e32 v9, 0xffff0000, v9
	v_mul_f32_e32 v16, v19, v9
	v_and_b32_e32 v9, 0x7f800000, v16
	v_cmp_ne_u32_e32 vcc, s54, v9
                                        ; implicit-def: $vgpr9
	s_and_saveexec_b64 s[78:79], vcc
	s_xor_b64 s[78:79], exec, s[78:79]
; %bb.176:                              ;   in Loop: Header=BB2_131 Depth=3
	v_bfe_u32 v9, v16, 16, 1
	v_add3_u32 v9, v16, v9, s55
                                        ; implicit-def: $vgpr16
; %bb.177:                              ;   in Loop: Header=BB2_131 Depth=3
	s_andn2_saveexec_b64 s[78:79], s[78:79]
; %bb.178:                              ;   in Loop: Header=BB2_131 Depth=3
	v_or_b32_e32 v9, 0x10000, v16
	v_cmp_eq_u32_sdwa vcc, v16, v2 src0_sel:WORD_0 src1_sel:DWORD
	v_cndmask_b32_e32 v9, v9, v16, vcc
; %bb.179:                              ;   in Loop: Header=BB2_131 Depth=3
	s_or_b64 exec, exec, s[78:79]
	v_lshlrev_b32_e32 v16, 16, v10
	v_mul_f32_e32 v17, v19, v16
	v_and_b32_e32 v16, 0x7f800000, v17
	v_cmp_ne_u32_e32 vcc, s54, v16
                                        ; implicit-def: $vgpr16
	s_and_saveexec_b64 s[78:79], vcc
	s_xor_b64 s[78:79], exec, s[78:79]
; %bb.180:                              ;   in Loop: Header=BB2_131 Depth=3
	v_bfe_u32 v16, v17, 16, 1
	v_add3_u32 v16, v17, v16, s55
                                        ; implicit-def: $vgpr17
; %bb.181:                              ;   in Loop: Header=BB2_131 Depth=3
	s_andn2_saveexec_b64 s[78:79], s[78:79]
; %bb.182:                              ;   in Loop: Header=BB2_131 Depth=3
	v_or_b32_e32 v16, 0x10000, v17
	v_cmp_eq_u32_sdwa vcc, v17, v2 src0_sel:WORD_0 src1_sel:DWORD
	v_cndmask_b32_e32 v16, v16, v17, vcc
; %bb.183:                              ;   in Loop: Header=BB2_131 Depth=3
	s_or_b64 exec, exec, s[78:79]
	v_and_b32_e32 v10, 0xffff0000, v10
	v_mul_f32_e32 v17, v19, v10
	v_and_b32_e32 v10, 0x7f800000, v17
	v_cmp_ne_u32_e32 vcc, s54, v10
                                        ; implicit-def: $vgpr10
	s_and_saveexec_b64 s[78:79], vcc
	s_xor_b64 s[78:79], exec, s[78:79]
; %bb.184:                              ;   in Loop: Header=BB2_131 Depth=3
	v_bfe_u32 v10, v17, 16, 1
	v_add3_u32 v10, v17, v10, s55
                                        ; implicit-def: $vgpr17
; %bb.185:                              ;   in Loop: Header=BB2_131 Depth=3
	s_andn2_saveexec_b64 s[78:79], s[78:79]
; %bb.186:                              ;   in Loop: Header=BB2_131 Depth=3
	v_or_b32_e32 v10, 0x10000, v17
	v_cmp_eq_u32_sdwa vcc, v17, v2 src0_sel:WORD_0 src1_sel:DWORD
	v_cndmask_b32_e32 v10, v10, v17, vcc
; %bb.187:                              ;   in Loop: Header=BB2_131 Depth=3
	s_or_b64 exec, exec, s[78:79]
	v_lshlrev_b32_e32 v17, 16, v11
	v_mul_f32_e32 v28, v19, v17
	v_and_b32_e32 v17, 0x7f800000, v28
	v_cmp_ne_u32_e32 vcc, s54, v17
                                        ; implicit-def: $vgpr17
	s_and_saveexec_b64 s[78:79], vcc
	s_xor_b64 s[78:79], exec, s[78:79]
; %bb.188:                              ;   in Loop: Header=BB2_131 Depth=3
	v_bfe_u32 v17, v28, 16, 1
	v_add3_u32 v17, v28, v17, s55
                                        ; implicit-def: $vgpr28
; %bb.189:                              ;   in Loop: Header=BB2_131 Depth=3
	s_andn2_saveexec_b64 s[78:79], s[78:79]
; %bb.190:                              ;   in Loop: Header=BB2_131 Depth=3
	v_or_b32_e32 v17, 0x10000, v28
	v_cmp_eq_u32_sdwa vcc, v28, v2 src0_sel:WORD_0 src1_sel:DWORD
	v_cndmask_b32_e32 v17, v17, v28, vcc
; %bb.191:                              ;   in Loop: Header=BB2_131 Depth=3
	s_or_b64 exec, exec, s[78:79]
	v_and_b32_e32 v11, 0xffff0000, v11
	v_mul_f32_e32 v28, v19, v11
	v_and_b32_e32 v11, 0x7f800000, v28
	v_cmp_ne_u32_e32 vcc, s54, v11
                                        ; implicit-def: $vgpr11
	s_and_saveexec_b64 s[78:79], vcc
	s_xor_b64 s[78:79], exec, s[78:79]
; %bb.192:                              ;   in Loop: Header=BB2_131 Depth=3
	v_bfe_u32 v11, v28, 16, 1
	v_add3_u32 v11, v28, v11, s55
                                        ; implicit-def: $vgpr28
; %bb.193:                              ;   in Loop: Header=BB2_131 Depth=3
	s_andn2_saveexec_b64 s[78:79], s[78:79]
	s_cbranch_execz .LBB2_130
; %bb.194:                              ;   in Loop: Header=BB2_131 Depth=3
	v_or_b32_e32 v11, 0x10000, v28
	v_cmp_eq_u32_sdwa vcc, v28, v2 src0_sel:WORD_0 src1_sel:DWORD
	v_cndmask_b32_e32 v11, v11, v28, vcc
	s_branch .LBB2_130
.LBB2_195:                              ;   in Loop: Header=BB2_57 Depth=2
	s_or_b64 exec, exec, s[76:77]
	buffer_load_dword v56, off, s[0:3], s33 offset:112 ; 4-byte Folded Reload
	buffer_load_dword v46, off, s[0:3], s33 offset:88 ; 4-byte Folded Reload
	;; [unrolled: 1-line block ×3, first 2 shown]
.LBB2_196:                              ;   in Loop: Header=BB2_57 Depth=2
	s_or_b64 exec, exec, s[26:27]
	v_lshlrev_b32_e32 v15, 11, v15
	v_cmp_ne_u32_e32 vcc, v59, v15
	s_mov_b64 s[78:79], 0
	v_mov_b32_e32 v19, 0
                                        ; implicit-def: $vgpr30
	s_and_saveexec_b64 s[76:77], vcc
	s_cbranch_execz .LBB2_234
; %bb.197:                              ;   in Loop: Header=BB2_57 Depth=2
	buffer_load_dword v9, off, s[0:3], s33 offset:116 ; 4-byte Folded Reload
	v_lshlrev_b32_e32 v0, 6, v14
	v_sub_u32_e32 v8, v59, v15
	s_waitcnt vmcnt(0)
	v_sub_u32_e32 v0, v9, v0
	v_ashrrev_i32_e32 v9, 31, v0
	v_lshrrev_b32_e32 v9, 26, v9
	v_add_u32_e32 v9, v0, v9
	v_ashrrev_i32_e32 v10, 6, v9
	v_and_b32_e32 v9, 0xffffffc0, v9
	v_sub_u32_e32 v14, v0, v9
	v_ashrrev_i32_e32 v9, 31, v8
	v_lshrrev_b32_e32 v9, 22, v9
	v_add_u32_e32 v9, v8, v9
	v_and_b32_e32 v19, 0xfffffc00, v9
	v_lshlrev_b32_e32 v0, 4, v14
	v_sub_u32_e32 v30, v8, v19
	v_lshl_add_u32 v0, v10, 10, v0
	v_ashrrev_i32_e32 v11, 10, v9
	v_cmp_lt_i32_e32 vcc, 15, v30
	v_sub_u32_e32 v36, v8, v0
	v_addc_co_u32_e64 v8, s[26:27], 0, v11, vcc
	v_sub_u32_e32 v32, v8, v10
	v_cmp_lt_i32_e64 s[26:27], 15, v36
	s_and_saveexec_b64 s[78:79], s[26:27]
	s_cbranch_execz .LBB2_233
; %bb.198:                              ;   in Loop: Header=BB2_57 Depth=2
	s_trap 2
	ds_read_b32 v8, v0
	v_add_u32_e32 v37, v0, v15
	v_ashrrev_i32_e32 v53, 31, v37
	s_mov_b64 s[88:89], 0
	s_waitcnt lgkmcnt(0)
	v_lshlrev_b32_e32 v55, 16, v8
	s_branch .LBB2_200
.LBB2_199:                              ;   in Loop: Header=BB2_200 Depth=3
	s_or_b64 exec, exec, s[90:91]
	v_add_co_u32_e64 v22, s[26:27], v44, v37
	v_lshrrev_b32_e32 v8, 16, v8
	v_addc_co_u32_e64 v23, s[26:27], v45, v53, s[26:27]
	v_and_or_b32 v9, v9, s64, v8
	v_lshrrev_b32_e32 v8, 16, v33
	v_sub_u32_e32 v36, v36, v4
	v_and_or_b32 v8, v0, s64, v8
	v_lshrrev_b32_e32 v0, 16, v16
	v_cmp_gt_i32_e64 s[26:27], 16, v36
	v_and_or_b32 v10, v10, s64, v0
	v_lshrrev_b32_e32 v0, 16, v17
	s_or_b64 s[88:89], s[26:27], s[88:89]
	v_add_co_u32_e64 v37, s[26:27], v37, v4
	v_and_or_b32 v11, v11, s64, v0
	v_sub_u32_e32 v32, v32, v62
	v_addc_co_u32_e64 v53, s[26:27], 0, v53, s[26:27]
	global_store_dwordx4 v[22:23], v[8:11], off glc slc
	s_andn2_b64 exec, exec, s[88:89]
	s_cbranch_execz .LBB2_232
.LBB2_200:                              ;   Parent Loop BB2_47 Depth=1
                                        ;     Parent Loop BB2_57 Depth=2
                                        ; =>    This Inner Loop Header: Depth=3
	v_add_co_u32_e64 v8, s[26:27], v42, v37
	v_addc_co_u32_e64 v9, s[26:27], v43, v53, s[26:27]
	global_load_dwordx4 v[8:11], v[8:9], off glc slc
                                        ; implicit-def: $vgpr33
	s_waitcnt vmcnt(0)
	v_lshlrev_b32_e32 v0, 16, v8
	v_mul_f32_e32 v0, v55, v0
	v_and_b32_e32 v16, 0x7f800000, v0
	v_cmp_ne_u32_e64 s[26:27], s54, v16
	s_and_saveexec_b64 s[90:91], s[26:27]
	s_xor_b64 s[26:27], exec, s[90:91]
; %bb.201:                              ;   in Loop: Header=BB2_200 Depth=3
	v_bfe_u32 v16, v0, 16, 1
	v_add3_u32 v33, v0, v16, s55
                                        ; implicit-def: $vgpr0
; %bb.202:                              ;   in Loop: Header=BB2_200 Depth=3
	s_andn2_saveexec_b64 s[90:91], s[26:27]
; %bb.203:                              ;   in Loop: Header=BB2_200 Depth=3
	v_or_b32_e32 v16, 0x10000, v0
	v_cmp_eq_u32_sdwa s[26:27], v0, v2 src0_sel:WORD_0 src1_sel:DWORD
	v_cndmask_b32_e64 v33, v16, v0, s[26:27]
; %bb.204:                              ;   in Loop: Header=BB2_200 Depth=3
	s_or_b64 exec, exec, s[90:91]
	v_and_b32_e32 v0, 0xffff0000, v8
	v_mul_f32_e32 v8, v55, v0
	v_and_b32_e32 v0, 0x7f800000, v8
	v_cmp_ne_u32_e64 s[26:27], s54, v0
                                        ; implicit-def: $vgpr0
	s_and_saveexec_b64 s[90:91], s[26:27]
	s_xor_b64 s[26:27], exec, s[90:91]
; %bb.205:                              ;   in Loop: Header=BB2_200 Depth=3
	v_bfe_u32 v0, v8, 16, 1
	v_add3_u32 v0, v8, v0, s55
                                        ; implicit-def: $vgpr8
; %bb.206:                              ;   in Loop: Header=BB2_200 Depth=3
	s_andn2_saveexec_b64 s[90:91], s[26:27]
; %bb.207:                              ;   in Loop: Header=BB2_200 Depth=3
	v_or_b32_e32 v0, 0x10000, v8
	v_cmp_eq_u32_sdwa s[26:27], v8, v2 src0_sel:WORD_0 src1_sel:DWORD
	v_cndmask_b32_e64 v0, v0, v8, s[26:27]
; %bb.208:                              ;   in Loop: Header=BB2_200 Depth=3
	s_or_b64 exec, exec, s[90:91]
	v_lshlrev_b32_e32 v8, 16, v9
	v_mul_f32_e32 v16, v55, v8
	v_and_b32_e32 v8, 0x7f800000, v16
	v_cmp_ne_u32_e64 s[26:27], s54, v8
                                        ; implicit-def: $vgpr8
	s_and_saveexec_b64 s[90:91], s[26:27]
	s_xor_b64 s[26:27], exec, s[90:91]
; %bb.209:                              ;   in Loop: Header=BB2_200 Depth=3
	v_bfe_u32 v8, v16, 16, 1
	v_add3_u32 v8, v16, v8, s55
                                        ; implicit-def: $vgpr16
; %bb.210:                              ;   in Loop: Header=BB2_200 Depth=3
	s_andn2_saveexec_b64 s[90:91], s[26:27]
; %bb.211:                              ;   in Loop: Header=BB2_200 Depth=3
	v_or_b32_e32 v8, 0x10000, v16
	v_cmp_eq_u32_sdwa s[26:27], v16, v2 src0_sel:WORD_0 src1_sel:DWORD
	v_cndmask_b32_e64 v8, v8, v16, s[26:27]
; %bb.212:                              ;   in Loop: Header=BB2_200 Depth=3
	s_or_b64 exec, exec, s[90:91]
	v_and_b32_e32 v9, 0xffff0000, v9
	v_mul_f32_e32 v16, v55, v9
	v_and_b32_e32 v9, 0x7f800000, v16
	v_cmp_ne_u32_e64 s[26:27], s54, v9
                                        ; implicit-def: $vgpr9
	s_and_saveexec_b64 s[90:91], s[26:27]
	s_xor_b64 s[26:27], exec, s[90:91]
; %bb.213:                              ;   in Loop: Header=BB2_200 Depth=3
	v_bfe_u32 v9, v16, 16, 1
	v_add3_u32 v9, v16, v9, s55
                                        ; implicit-def: $vgpr16
; %bb.214:                              ;   in Loop: Header=BB2_200 Depth=3
	s_andn2_saveexec_b64 s[90:91], s[26:27]
; %bb.215:                              ;   in Loop: Header=BB2_200 Depth=3
	v_or_b32_e32 v9, 0x10000, v16
	v_cmp_eq_u32_sdwa s[26:27], v16, v2 src0_sel:WORD_0 src1_sel:DWORD
	v_cndmask_b32_e64 v9, v9, v16, s[26:27]
; %bb.216:                              ;   in Loop: Header=BB2_200 Depth=3
	s_or_b64 exec, exec, s[90:91]
	v_lshlrev_b32_e32 v16, 16, v10
	v_mul_f32_e32 v17, v55, v16
	v_and_b32_e32 v16, 0x7f800000, v17
	v_cmp_ne_u32_e64 s[26:27], s54, v16
                                        ; implicit-def: $vgpr16
	s_and_saveexec_b64 s[90:91], s[26:27]
	s_xor_b64 s[26:27], exec, s[90:91]
; %bb.217:                              ;   in Loop: Header=BB2_200 Depth=3
	v_bfe_u32 v16, v17, 16, 1
	v_add3_u32 v16, v17, v16, s55
                                        ; implicit-def: $vgpr17
; %bb.218:                              ;   in Loop: Header=BB2_200 Depth=3
	s_andn2_saveexec_b64 s[90:91], s[26:27]
; %bb.219:                              ;   in Loop: Header=BB2_200 Depth=3
	v_or_b32_e32 v16, 0x10000, v17
	v_cmp_eq_u32_sdwa s[26:27], v17, v2 src0_sel:WORD_0 src1_sel:DWORD
	v_cndmask_b32_e64 v16, v16, v17, s[26:27]
; %bb.220:                              ;   in Loop: Header=BB2_200 Depth=3
	s_or_b64 exec, exec, s[90:91]
	v_and_b32_e32 v10, 0xffff0000, v10
	v_mul_f32_e32 v17, v55, v10
	v_and_b32_e32 v10, 0x7f800000, v17
	v_cmp_ne_u32_e64 s[26:27], s54, v10
                                        ; implicit-def: $vgpr10
	s_and_saveexec_b64 s[90:91], s[26:27]
	s_xor_b64 s[26:27], exec, s[90:91]
; %bb.221:                              ;   in Loop: Header=BB2_200 Depth=3
	v_bfe_u32 v10, v17, 16, 1
	v_add3_u32 v10, v17, v10, s55
                                        ; implicit-def: $vgpr17
; %bb.222:                              ;   in Loop: Header=BB2_200 Depth=3
	s_andn2_saveexec_b64 s[90:91], s[26:27]
; %bb.223:                              ;   in Loop: Header=BB2_200 Depth=3
	v_or_b32_e32 v10, 0x10000, v17
	v_cmp_eq_u32_sdwa s[26:27], v17, v2 src0_sel:WORD_0 src1_sel:DWORD
	v_cndmask_b32_e64 v10, v10, v17, s[26:27]
; %bb.224:                              ;   in Loop: Header=BB2_200 Depth=3
	s_or_b64 exec, exec, s[90:91]
	v_lshlrev_b32_e32 v17, 16, v11
	v_mul_f32_e32 v28, v55, v17
	v_and_b32_e32 v17, 0x7f800000, v28
	v_cmp_ne_u32_e64 s[26:27], s54, v17
                                        ; implicit-def: $vgpr17
	s_and_saveexec_b64 s[90:91], s[26:27]
	s_xor_b64 s[26:27], exec, s[90:91]
; %bb.225:                              ;   in Loop: Header=BB2_200 Depth=3
	v_bfe_u32 v17, v28, 16, 1
	v_add3_u32 v17, v28, v17, s55
                                        ; implicit-def: $vgpr28
; %bb.226:                              ;   in Loop: Header=BB2_200 Depth=3
	s_andn2_saveexec_b64 s[90:91], s[26:27]
; %bb.227:                              ;   in Loop: Header=BB2_200 Depth=3
	v_or_b32_e32 v17, 0x10000, v28
	v_cmp_eq_u32_sdwa s[26:27], v28, v2 src0_sel:WORD_0 src1_sel:DWORD
	v_cndmask_b32_e64 v17, v17, v28, s[26:27]
; %bb.228:                              ;   in Loop: Header=BB2_200 Depth=3
	s_or_b64 exec, exec, s[90:91]
	v_and_b32_e32 v11, 0xffff0000, v11
	v_mul_f32_e32 v28, v55, v11
	v_and_b32_e32 v11, 0x7f800000, v28
	v_cmp_ne_u32_e64 s[26:27], s54, v11
                                        ; implicit-def: $vgpr11
	s_and_saveexec_b64 s[90:91], s[26:27]
	s_xor_b64 s[26:27], exec, s[90:91]
; %bb.229:                              ;   in Loop: Header=BB2_200 Depth=3
	v_bfe_u32 v11, v28, 16, 1
	v_add3_u32 v11, v28, v11, s55
                                        ; implicit-def: $vgpr28
; %bb.230:                              ;   in Loop: Header=BB2_200 Depth=3
	s_andn2_saveexec_b64 s[90:91], s[26:27]
	s_cbranch_execz .LBB2_199
; %bb.231:                              ;   in Loop: Header=BB2_200 Depth=3
	v_or_b32_e32 v11, 0x10000, v28
	v_cmp_eq_u32_sdwa s[26:27], v28, v2 src0_sel:WORD_0 src1_sel:DWORD
	v_cndmask_b32_e64 v11, v11, v28, s[26:27]
	s_branch .LBB2_199
.LBB2_232:                              ;   in Loop: Header=BB2_57 Depth=2
	s_or_b64 exec, exec, s[88:89]
.LBB2_233:                              ;   in Loop: Header=BB2_57 Depth=2
	s_or_b64 exec, exec, s[78:79]
	v_and_b32_e32 v0, 14, v59
	v_sub_u32_e32 v8, v30, v0
	v_cndmask_b32_e32 v8, 0, v8, vcc
	v_cndmask_b32_e32 v59, v30, v0, vcc
	v_cmp_lt_i32_e32 vcc, 0, v32
	v_cndmask_b32_e32 v0, 0, v62, vcc
	v_sub_u32_e32 v0, v0, v32
	v_cmp_ne_u32_e32 vcc, 0, v59
	v_add3_u32 v19, v19, v15, v8
	v_lshl_add_u32 v30, v0, 6, v14
	s_and_b64 s[78:79], vcc, exec
.LBB2_234:                              ;   in Loop: Header=BB2_57 Depth=2
	s_or_b64 exec, exec, s[76:77]
	s_and_saveexec_b64 s[26:27], s[78:79]
	s_cbranch_execz .LBB2_263
.LBB2_235:                              ;   in Loop: Header=BB2_57 Depth=2
	v_ashrrev_i32_e32 v0, 31, v30
	v_ashrrev_i32_e32 v9, 31, v59
	v_lshrrev_b32_e32 v0, 26, v0
	v_lshrrev_b32_e32 v9, 23, v9
	v_add_u32_e32 v8, v30, v0
	v_add_u32_e32 v9, v59, v9
	v_ashrrev_i32_e32 v0, 6, v8
	v_ashrrev_i32_e32 v15, 9, v9
	v_sub_u32_e32 v14, v15, v0
	v_cmp_lt_i32_e32 vcc, 0, v14
	s_and_saveexec_b64 s[76:77], vcc
	s_cbranch_execz .LBB2_255
; %bb.236:                              ;   in Loop: Header=BB2_57 Depth=2
	s_trap 2
	ds_read_b32 v9, v0
	v_and_b32_e32 v8, 0x7fffffc0, v8
	v_sub_u32_e32 v8, v30, v8
	v_lshlrev_b32_e32 v8, 1, v8
	v_lshlrev_b32_e32 v10, 9, v0
	v_add3_u32 v16, v8, v19, v10
	s_waitcnt lgkmcnt(0)
	v_lshlrev_b32_e32 v28, 16, v9
	v_mov_b32_e32 v8, v44
	v_mov_b32_e32 v10, v42
	v_ashrrev_i32_e32 v17, 31, v16
	s_mov_b64 s[78:79], 0
	v_mov_b32_e32 v9, v45
	v_mov_b32_e32 v11, v43
	s_branch .LBB2_238
.LBB2_237:                              ;   in Loop: Header=BB2_238 Depth=3
	s_or_b64 exec, exec, s[88:89]
	v_add_co_u32_e32 v22, vcc, v16, v8
	v_addc_co_u32_e32 v23, vcc, v17, v9, vcc
	v_add_co_u32_e32 v10, vcc, v10, v5
	v_sub_u32_e32 v14, v14, v62
	v_addc_co_u32_e32 v11, vcc, 0, v11, vcc
	v_cmp_gt_i32_e32 vcc, 1, v14
	s_or_b64 s[78:79], vcc, s[78:79]
	v_add_co_u32_e32 v8, vcc, v8, v5
	v_addc_co_u32_e32 v9, vcc, 0, v9, vcc
	flat_store_short_d16_hi v[22:23], v32 glc slc
	flat_store_short_d16_hi v[22:23], v33 offset:128 glc slc
	flat_store_short_d16_hi v[22:23], v36 offset:256 glc slc
	;; [unrolled: 1-line block ×3, first 2 shown]
	s_andn2_b64 exec, exec, s[78:79]
	s_cbranch_execz .LBB2_254
.LBB2_238:                              ;   Parent Loop BB2_47 Depth=1
                                        ;     Parent Loop BB2_57 Depth=2
                                        ; =>    This Inner Loop Header: Depth=3
	s_waitcnt vmcnt(0)
	v_add_co_u32_e32 v46, vcc, v16, v10
	v_addc_co_u32_e32 v47, vcc, v17, v11, vcc
	flat_load_ushort v22, v[46:47] glc slc
                                        ; implicit-def: $vgpr32
	s_waitcnt vmcnt(0) lgkmcnt(0)
	v_lshlrev_b32_e32 v22, 16, v22
	v_mul_f32_e32 v33, v28, v22
	v_and_b32_e32 v22, 0x7f800000, v33
	v_cmp_ne_u32_e32 vcc, s54, v22
	s_and_saveexec_b64 s[88:89], vcc
	s_xor_b64 s[88:89], exec, s[88:89]
; %bb.239:                              ;   in Loop: Header=BB2_238 Depth=3
	v_bfe_u32 v22, v33, 16, 1
	v_add3_u32 v32, v33, v22, s55
                                        ; implicit-def: $vgpr33
; %bb.240:                              ;   in Loop: Header=BB2_238 Depth=3
	s_andn2_saveexec_b64 s[88:89], s[88:89]
; %bb.241:                              ;   in Loop: Header=BB2_238 Depth=3
	v_or_b32_e32 v22, 0x10000, v33
	v_cmp_eq_u32_sdwa vcc, v33, v2 src0_sel:WORD_0 src1_sel:DWORD
	v_cndmask_b32_e32 v32, v22, v33, vcc
; %bb.242:                              ;   in Loop: Header=BB2_238 Depth=3
	s_or_b64 exec, exec, s[88:89]
	flat_load_ushort v22, v[46:47] offset:128 glc slc
                                        ; implicit-def: $vgpr33
	s_waitcnt vmcnt(0) lgkmcnt(0)
	v_lshlrev_b32_e32 v22, 16, v22
	v_mul_f32_e32 v36, v28, v22
	v_and_b32_e32 v22, 0x7f800000, v36
	v_cmp_ne_u32_e32 vcc, s54, v22
	s_and_saveexec_b64 s[88:89], vcc
	s_xor_b64 s[88:89], exec, s[88:89]
; %bb.243:                              ;   in Loop: Header=BB2_238 Depth=3
	v_bfe_u32 v22, v36, 16, 1
	v_add3_u32 v33, v36, v22, s55
                                        ; implicit-def: $vgpr36
; %bb.244:                              ;   in Loop: Header=BB2_238 Depth=3
	s_andn2_saveexec_b64 s[88:89], s[88:89]
; %bb.245:                              ;   in Loop: Header=BB2_238 Depth=3
	v_or_b32_e32 v22, 0x10000, v36
	v_cmp_eq_u32_sdwa vcc, v36, v2 src0_sel:WORD_0 src1_sel:DWORD
	v_cndmask_b32_e32 v33, v22, v36, vcc
; %bb.246:                              ;   in Loop: Header=BB2_238 Depth=3
	s_or_b64 exec, exec, s[88:89]
	flat_load_ushort v22, v[46:47] offset:256 glc slc
                                        ; implicit-def: $vgpr36
	s_waitcnt vmcnt(0) lgkmcnt(0)
	v_lshlrev_b32_e32 v22, 16, v22
	v_mul_f32_e32 v37, v28, v22
	v_and_b32_e32 v22, 0x7f800000, v37
	v_cmp_ne_u32_e32 vcc, s54, v22
	s_and_saveexec_b64 s[88:89], vcc
	s_xor_b64 s[88:89], exec, s[88:89]
; %bb.247:                              ;   in Loop: Header=BB2_238 Depth=3
	v_bfe_u32 v22, v37, 16, 1
	v_add3_u32 v36, v37, v22, s55
                                        ; implicit-def: $vgpr37
; %bb.248:                              ;   in Loop: Header=BB2_238 Depth=3
	s_andn2_saveexec_b64 s[88:89], s[88:89]
; %bb.249:                              ;   in Loop: Header=BB2_238 Depth=3
	v_or_b32_e32 v22, 0x10000, v37
	v_cmp_eq_u32_sdwa vcc, v37, v2 src0_sel:WORD_0 src1_sel:DWORD
	v_cndmask_b32_e32 v36, v22, v37, vcc
; %bb.250:                              ;   in Loop: Header=BB2_238 Depth=3
	s_or_b64 exec, exec, s[88:89]
	flat_load_ushort v22, v[46:47] offset:384 glc slc
                                        ; implicit-def: $vgpr37
	s_waitcnt vmcnt(0) lgkmcnt(0)
	v_lshlrev_b32_e32 v22, 16, v22
	v_mul_f32_e32 v50, v28, v22
	v_and_b32_e32 v22, 0x7f800000, v50
	v_cmp_ne_u32_e32 vcc, s54, v22
	s_and_saveexec_b64 s[88:89], vcc
	s_xor_b64 s[88:89], exec, s[88:89]
; %bb.251:                              ;   in Loop: Header=BB2_238 Depth=3
	v_bfe_u32 v22, v50, 16, 1
	v_add3_u32 v37, v50, v22, s55
                                        ; implicit-def: $vgpr50
; %bb.252:                              ;   in Loop: Header=BB2_238 Depth=3
	s_andn2_saveexec_b64 s[88:89], s[88:89]
	s_cbranch_execz .LBB2_237
; %bb.253:                              ;   in Loop: Header=BB2_238 Depth=3
	v_or_b32_e32 v22, 0x10000, v50
	v_cmp_eq_u32_sdwa vcc, v50, v2 src0_sel:WORD_0 src1_sel:DWORD
	v_cndmask_b32_e32 v37, v22, v50, vcc
	s_branch .LBB2_237
.LBB2_254:                              ;   in Loop: Header=BB2_57 Depth=2
	s_or_b64 exec, exec, s[78:79]
	buffer_load_dword v46, off, s[0:3], s33 offset:88 ; 4-byte Folded Reload
	buffer_load_dword v47, off, s[0:3], s33 offset:92 ; 4-byte Folded Reload
.LBB2_255:                              ;   in Loop: Header=BB2_57 Depth=2
	s_or_b64 exec, exec, s[76:77]
	v_lshlrev_b32_e32 v8, 9, v15
	v_cmp_ne_u32_e32 vcc, v59, v8
	s_and_b64 exec, exec, vcc
	s_cbranch_execz .LBB2_263
; %bb.256:                              ;   in Loop: Header=BB2_57 Depth=2
	v_lshlrev_b32_e32 v0, 6, v0
	v_sub_u32_e32 v0, v30, v0
	v_lshlrev_b32_e32 v9, 6, v14
	v_sub_u32_e32 v0, v0, v9
	v_ashrrev_i32_e32 v9, 31, v0
	v_lshrrev_b32_e32 v9, 26, v9
	v_add_u32_e32 v9, v0, v9
	v_and_b32_e32 v10, 0x7fffffc0, v9
	v_sub_u32_e32 v0, v0, v10
	v_lshlrev_b32_e32 v9, 1, v9
	v_and_b32_e32 v9, 0xffffff80, v9
	v_lshlrev_b32_e32 v0, 1, v0
	v_add3_u32 v8, v9, v0, v8
	v_sub_u32_e32 v0, v59, v8
	v_cmp_lt_i32_e32 vcc, 1, v0
	s_and_b64 exec, exec, vcc
	s_cbranch_execz .LBB2_263
; %bb.257:                              ;   in Loop: Header=BB2_57 Depth=2
	s_trap 2
	ds_read_b32 v10, v0
	v_add_u32_e32 v8, v8, v19
	v_ashrrev_i32_e32 v9, 31, v8
	s_mov_b64 s[76:77], 0
	s_waitcnt lgkmcnt(0)
	v_lshlrev_b32_e32 v10, 16, v10
	s_branch .LBB2_259
.LBB2_258:                              ;   in Loop: Header=BB2_259 Depth=3
	s_or_b64 exec, exec, s[78:79]
	v_add_co_u32_e32 v14, vcc, v44, v8
	v_addc_co_u32_e32 v15, vcc, v45, v9, vcc
	v_sub_u32_e32 v0, v0, v34
	v_cmp_gt_i32_e32 vcc, 2, v0
	s_or_b64 s[76:77], vcc, s[76:77]
	v_add_co_u32_e32 v8, vcc, v8, v34
	v_addc_co_u32_e32 v9, vcc, 0, v9, vcc
	flat_store_short_d16_hi v[14:15], v11 glc slc
	s_andn2_b64 exec, exec, s[76:77]
	s_cbranch_execz .LBB2_263
.LBB2_259:                              ;   Parent Loop BB2_47 Depth=1
                                        ;     Parent Loop BB2_57 Depth=2
                                        ; =>    This Inner Loop Header: Depth=3
	v_add_co_u32_e32 v14, vcc, v42, v8
	v_addc_co_u32_e32 v15, vcc, v43, v9, vcc
	flat_load_ushort v11, v[14:15] glc slc
	s_waitcnt vmcnt(0) lgkmcnt(0)
	v_lshlrev_b32_e32 v11, 16, v11
	v_mul_f32_e32 v14, v10, v11
	v_and_b32_e32 v11, 0x7f800000, v14
	v_cmp_ne_u32_e32 vcc, s54, v11
                                        ; implicit-def: $vgpr11
	s_and_saveexec_b64 s[78:79], vcc
	s_xor_b64 s[78:79], exec, s[78:79]
; %bb.260:                              ;   in Loop: Header=BB2_259 Depth=3
	v_bfe_u32 v11, v14, 16, 1
	v_add3_u32 v11, v14, v11, s55
                                        ; implicit-def: $vgpr14
; %bb.261:                              ;   in Loop: Header=BB2_259 Depth=3
	s_andn2_saveexec_b64 s[78:79], s[78:79]
	s_cbranch_execz .LBB2_258
; %bb.262:                              ;   in Loop: Header=BB2_259 Depth=3
	v_or_b32_e32 v11, 0x10000, v14
	v_cmp_eq_u32_sdwa vcc, v14, v2 src0_sel:WORD_0 src1_sel:DWORD
	v_cndmask_b32_e32 v11, v11, v14, vcc
	s_branch .LBB2_258
.LBB2_263:                              ;   in Loop: Header=BB2_57 Depth=2
	s_or_b64 exec, exec, s[26:27]
	v_cmp_lt_i32_e64 s[26:27], 0, v3
	s_and_saveexec_b64 s[76:77], s[10:11]
	s_cbranch_execz .LBB2_282
.LBB2_264:                              ;   in Loop: Header=BB2_57 Depth=2
	s_and_saveexec_b64 s[78:79], s[56:57]
	s_xor_b64 s[78:79], exec, s[78:79]
	s_cbranch_execz .LBB2_279
; %bb.265:                              ;   in Loop: Header=BB2_57 Depth=2
	s_and_saveexec_b64 s[88:89], s[16:17]
	s_cbranch_execz .LBB2_278
; %bb.266:                              ;   in Loop: Header=BB2_57 Depth=2
	s_mov_b64 s[92:93], exec
	v_mbcnt_lo_u32_b32 v0, s92, 0
	v_mbcnt_hi_u32_b32 v0, s93, v0
	v_cmp_eq_u32_e32 vcc, 0, v0
	s_waitcnt vmcnt(0) lgkmcnt(0)
	buffer_wbinvl1_vol
	s_and_saveexec_b64 s[90:91], vcc
	s_cbranch_execz .LBB2_268
; %bb.267:                              ;   in Loop: Header=BB2_57 Depth=2
	s_bcnt1_i32_b64 s92, s[92:93]
	v_mov_b32_e32 v8, s92
	v_mov_b32_e32 v9, v2
	ds_add_u64 v0, v[8:9]
	s_trap 2
.LBB2_268:                              ;   in Loop: Header=BB2_57 Depth=2
	s_or_b64 exec, exec, s[90:91]
	s_trap 2
	ds_read_b64 v[8:9], v0
	s_waitcnt lgkmcnt(0)
	v_add_co_u32_e32 v12, vcc, v12, v62
	v_addc_co_u32_e32 v13, vcc, 0, v13, vcc
	v_cmp_lt_u64_e32 vcc, v[8:9], v[12:13]
	s_and_saveexec_b64 s[90:91], vcc
	s_cbranch_execz .LBB2_277
; %bb.269:                              ;   in Loop: Header=BB2_57 Depth=2
	s_mov_b32 s38, 0
	s_mov_b64 s[92:93], 0
                                        ; implicit-def: $sgpr94_sgpr95
                                        ; implicit-def: $sgpr30_sgpr31
	s_branch .LBB2_271
.LBB2_270:                              ;   in Loop: Header=BB2_271 Depth=3
	s_or_b64 exec, exec, s[36:37]
	s_and_b64 vcc, exec, vcc
	s_or_b64 s[92:93], vcc, s[92:93]
	s_andn2_b64 s[94:95], s[94:95], exec
	s_and_b64 vcc, s[30:31], exec
	s_or_b64 s[94:95], s[94:95], vcc
	s_andn2_b64 exec, exec, s[92:93]
	s_cbranch_execz .LBB2_275
.LBB2_271:                              ;   Parent Loop BB2_47 Depth=1
                                        ;     Parent Loop BB2_57 Depth=2
                                        ; =>    This Inner Loop Header: Depth=3
	s_add_i32 s38, s38, 1
	s_cmpk_lg_i32 s38, 0x2710
	s_cselect_b64 s[34:35], -1, 0
	s_and_b64 vcc, exec, s[34:35]
	s_cbranch_vccz .LBB2_273
; %bb.272:                              ;   in Loop: Header=BB2_271 Depth=3
	s_mov_b64 vcc, -1
	s_or_b64 s[30:31], s[30:31], exec
	s_and_saveexec_b64 s[36:37], s[34:35]
	s_cbranch_execz .LBB2_270
	s_branch .LBB2_274
.LBB2_273:                              ;   in Loop: Header=BB2_271 Depth=3
	s_trap 2
	ds_read_b64 v[8:9], v0
	s_andn2_b64 s[34:35], s[34:35], exec
	s_mov_b32 s38, 0
	s_waitcnt lgkmcnt(0)
	flat_load_dword v0, v[8:9] glc
	s_waitcnt vmcnt(0) lgkmcnt(0)
	buffer_wbinvl1_vol
	v_cmp_eq_u32_e32 vcc, 0, v0
	s_and_b64 vcc, vcc, exec
	s_or_b64 s[34:35], s[34:35], vcc
	s_mov_b64 vcc, -1
	s_or_b64 s[30:31], s[30:31], exec
	s_and_saveexec_b64 s[36:37], s[34:35]
	s_cbranch_execz .LBB2_270
.LBB2_274:                              ;   in Loop: Header=BB2_271 Depth=3
	s_sleep 1
	s_trap 2
	ds_read_b64 v[8:9], v0
	s_waitcnt lgkmcnt(0)
	s_andn2_b64 s[30:31], s[30:31], exec
	v_cmp_ge_u64_e32 vcc, v[8:9], v[12:13]
	s_orn2_b64 vcc, vcc, exec
	s_branch .LBB2_270
.LBB2_275:                              ;   in Loop: Header=BB2_57 Depth=2
	s_or_b64 exec, exec, s[92:93]
	s_and_saveexec_b64 s[92:93], s[94:95]
	s_xor_b64 s[92:93], exec, s[92:93]
	s_cbranch_execz .LBB2_277
; %bb.276:                              ;   in Loop: Header=BB2_57 Depth=2
	ds_write_b32 v0, v18
	s_trap 2
.LBB2_277:                              ;   in Loop: Header=BB2_57 Depth=2
	s_or_b64 exec, exec, s[90:91]
	;;#ASMSTART
	s_wakeup
	;;#ASMEND
.LBB2_278:                              ;   in Loop: Header=BB2_57 Depth=2
	s_or_b64 exec, exec, s[88:89]
.LBB2_279:                              ;   in Loop: Header=BB2_57 Depth=2
	s_andn2_saveexec_b64 s[78:79], s[78:79]
	s_cbranch_execz .LBB2_281
; %bb.280:                              ;   in Loop: Header=BB2_57 Depth=2
	s_waitcnt vmcnt(0) lgkmcnt(0)
	buffer_wbinvl1_vol
	s_barrier
.LBB2_281:                              ;   in Loop: Header=BB2_57 Depth=2
	s_or_b64 exec, exec, s[78:79]
.LBB2_282:                              ;   in Loop: Header=BB2_57 Depth=2
	s_or_b64 exec, exec, s[76:77]
	v_and_b32_e32 v0, 16, v60
	s_and_saveexec_b64 s[76:77], s[24:25]
	s_xor_b64 s[76:77], exec, s[76:77]
	s_cbranch_execz .LBB2_287
; %bb.283:                              ;   in Loop: Header=BB2_57 Depth=2
	v_and_b32_e32 v3, 16, v60
	v_cmp_ne_u32_e32 vcc, 0, v3
	v_and_b32_e32 v0, 16, v60
	s_and_b64 s[78:79], vcc, s[26:27]
	s_and_saveexec_b64 s[26:27], s[78:79]
	s_cbranch_execz .LBB2_285
; %bb.284:                              ;   in Loop: Header=BB2_57 Depth=2
	v_mov_b32_e32 v0, 1
	s_waitcnt vmcnt(0) lgkmcnt(0)
	buffer_wbinvl1_vol
.LBB2_285:                              ;   in Loop: Header=BB2_57 Depth=2
	s_or_b64 exec, exec, s[26:27]
	s_andn2_saveexec_b64 s[26:27], s[76:77]
	s_cbranch_execnz .LBB2_288
.LBB2_286:                              ;   in Loop: Header=BB2_57 Depth=2
	s_or_b64 exec, exec, s[26:27]
	v_cmp_ne_u32_e32 vcc, 0, v0
	s_and_saveexec_b64 s[26:27], vcc
	s_cbranch_execz .LBB2_56
	s_branch .LBB2_306
.LBB2_287:                              ;   in Loop: Header=BB2_57 Depth=2
	s_andn2_saveexec_b64 s[26:27], s[76:77]
	s_cbranch_execz .LBB2_286
.LBB2_288:                              ;   in Loop: Header=BB2_57 Depth=2
	s_and_saveexec_b64 s[76:77], s[56:57]
	s_xor_b64 s[76:77], exec, s[76:77]
	s_cbranch_execz .LBB2_303
; %bb.289:                              ;   in Loop: Header=BB2_57 Depth=2
	s_and_saveexec_b64 s[78:79], s[16:17]
	s_cbranch_execz .LBB2_302
; %bb.290:                              ;   in Loop: Header=BB2_57 Depth=2
	s_mov_b64 s[90:91], exec
	v_mbcnt_lo_u32_b32 v3, s90, 0
	v_mbcnt_hi_u32_b32 v3, s91, v3
	v_cmp_eq_u32_e32 vcc, 0, v3
	;;#ASMSTART
	s_waitcnt lgkmcnt(0) vmcnt(0)
	;;#ASMEND
	s_and_saveexec_b64 s[88:89], vcc
	s_cbranch_execz .LBB2_292
; %bb.291:                              ;   in Loop: Header=BB2_57 Depth=2
	s_bcnt1_i32_b64 s90, s[90:91]
	v_mov_b32_e32 v8, s90
	v_mov_b32_e32 v9, v2
	s_waitcnt lgkmcnt(0)
	ds_add_u64 v0, v[8:9]
	s_trap 2
.LBB2_292:                              ;   in Loop: Header=BB2_57 Depth=2
	s_or_b64 exec, exec, s[88:89]
	s_trap 2
	ds_read_b64 v[8:9], v0
	s_waitcnt lgkmcnt(0)
	v_add_co_u32_e32 v12, vcc, v12, v62
	v_addc_co_u32_e32 v13, vcc, 0, v13, vcc
	v_cmp_lt_u64_e32 vcc, v[8:9], v[12:13]
	s_and_saveexec_b64 s[88:89], vcc
	s_cbranch_execz .LBB2_301
; %bb.293:                              ;   in Loop: Header=BB2_57 Depth=2
	s_mov_b32 s36, 0
	s_mov_b64 s[90:91], 0
                                        ; implicit-def: $sgpr92_sgpr93
                                        ; implicit-def: $sgpr94_sgpr95
	s_branch .LBB2_295
.LBB2_294:                              ;   in Loop: Header=BB2_295 Depth=3
	s_or_b64 exec, exec, s[34:35]
	s_and_b64 vcc, exec, vcc
	s_or_b64 s[90:91], vcc, s[90:91]
	s_andn2_b64 s[92:93], s[92:93], exec
	s_and_b64 vcc, s[94:95], exec
	s_or_b64 s[92:93], s[92:93], vcc
	s_andn2_b64 exec, exec, s[90:91]
	s_cbranch_execz .LBB2_299
.LBB2_295:                              ;   Parent Loop BB2_47 Depth=1
                                        ;     Parent Loop BB2_57 Depth=2
                                        ; =>    This Inner Loop Header: Depth=3
	s_add_i32 s36, s36, 1
	s_cmpk_lg_i32 s36, 0x2710
	s_cselect_b64 s[30:31], -1, 0
	s_and_b64 vcc, exec, s[30:31]
	s_cbranch_vccz .LBB2_297
; %bb.296:                              ;   in Loop: Header=BB2_295 Depth=3
	s_mov_b64 vcc, -1
	s_or_b64 s[94:95], s[94:95], exec
	s_and_saveexec_b64 s[34:35], s[30:31]
	s_cbranch_execz .LBB2_294
	s_branch .LBB2_298
.LBB2_297:                              ;   in Loop: Header=BB2_295 Depth=3
	s_trap 2
	ds_read_b64 v[8:9], v0
	s_andn2_b64 s[30:31], s[30:31], exec
	s_mov_b32 s36, 0
	s_waitcnt vmcnt(0) lgkmcnt(0)
	flat_load_dword v3, v[8:9] glc
	s_waitcnt vmcnt(0) lgkmcnt(0)
	buffer_wbinvl1_vol
	v_cmp_eq_u32_e32 vcc, 0, v3
	s_and_b64 vcc, vcc, exec
	s_or_b64 s[30:31], s[30:31], vcc
	s_mov_b64 vcc, -1
	s_or_b64 s[94:95], s[94:95], exec
	s_and_saveexec_b64 s[34:35], s[30:31]
	s_cbranch_execz .LBB2_294
.LBB2_298:                              ;   in Loop: Header=BB2_295 Depth=3
	s_sleep 1
	s_trap 2
	ds_read_b64 v[8:9], v0
	s_waitcnt lgkmcnt(0)
	s_andn2_b64 s[94:95], s[94:95], exec
	v_cmp_ge_u64_e32 vcc, v[8:9], v[12:13]
	s_orn2_b64 vcc, vcc, exec
	s_branch .LBB2_294
.LBB2_299:                              ;   in Loop: Header=BB2_57 Depth=2
	s_or_b64 exec, exec, s[90:91]
	s_and_saveexec_b64 s[90:91], s[92:93]
	s_xor_b64 s[90:91], exec, s[90:91]
	s_cbranch_execz .LBB2_301
; %bb.300:                              ;   in Loop: Header=BB2_57 Depth=2
	ds_write_b32 v0, v18
	s_trap 2
.LBB2_301:                              ;   in Loop: Header=BB2_57 Depth=2
	s_or_b64 exec, exec, s[88:89]
	;;#ASMSTART
	s_wakeup
	;;#ASMEND
.LBB2_302:                              ;   in Loop: Header=BB2_57 Depth=2
	s_or_b64 exec, exec, s[78:79]
.LBB2_303:                              ;   in Loop: Header=BB2_57 Depth=2
	s_andn2_saveexec_b64 s[76:77], s[76:77]
	s_cbranch_execz .LBB2_305
; %bb.304:                              ;   in Loop: Header=BB2_57 Depth=2
	;;#ASMSTART
	s_waitcnt lgkmcnt(0) vmcnt(0)
	;;#ASMEND
	s_waitcnt vmcnt(0) lgkmcnt(0)
	s_barrier
.LBB2_305:                              ;   in Loop: Header=BB2_57 Depth=2
	s_or_b64 exec, exec, s[76:77]
	s_or_b64 exec, exec, s[26:27]
	v_cmp_ne_u32_e32 vcc, 0, v0
	s_and_saveexec_b64 s[26:27], vcc
	s_cbranch_execz .LBB2_56
.LBB2_306:                              ;   in Loop: Header=BB2_57 Depth=2
	s_and_saveexec_b64 s[76:77], s[14:15]
	s_cbranch_execz .LBB2_55
; %bb.307:                              ;   in Loop: Header=BB2_57 Depth=2
	s_waitcnt vmcnt(0)
	flat_store_dword v[46:47], v18
	s_branch .LBB2_55
.LBB2_308:                              ;   in Loop: Header=BB2_47 Depth=1
	s_or_b64 exec, exec, s[40:41]
.LBB2_309:                              ;   in Loop: Header=BB2_47 Depth=1
	s_or_b64 exec, exec, s[28:29]
	v_cmp_gt_i32_e32 vcc, 2, v0
	s_and_saveexec_b64 s[28:29], vcc
	s_cbranch_execz .LBB2_381
; %bb.310:                              ;   in Loop: Header=BB2_47 Depth=1
	v_cmp_eq_u32_e64 s[42:43], 0, v0
	s_mov_b64 s[40:41], 0
	s_branch .LBB2_313
.LBB2_311:                              ;   in Loop: Header=BB2_313 Depth=2
	s_or_b64 exec, exec, s[42:43]
	v_add_co_u32_e32 v38, vcc, 2, v38
	v_addc_co_u32_e32 v39, vcc, 0, v39, vcc
	flat_store_dwordx2 v[20:21], v[38:39]
.LBB2_312:                              ;   in Loop: Header=BB2_313 Depth=2
	s_or_b64 exec, exec, s[26:27]
	v_add_u32_e32 v54, v52, v54
	s_mov_b64 s[42:43], 0
	s_andn2_b64 exec, exec, s[40:41]
	s_cbranch_execz .LBB2_380
.LBB2_313:                              ;   Parent Loop BB2_47 Depth=1
                                        ; =>  This Loop Header: Depth=2
                                        ;       Child Loop BB2_319 Depth 3
                                        ;       Child Loop BB2_343 Depth 3
	;; [unrolled: 1-line block ×3, first 2 shown]
	v_sub_u32_e32 v0, v41, v54
	v_min_i32_e32 v52, v52, v0
	v_and_b32_e32 v0, 8, v60
	v_cmp_ne_u32_e32 vcc, 0, v0
	s_and_saveexec_b64 s[76:77], vcc
	s_cbranch_execz .LBB2_335
; %bb.314:                              ;   in Loop: Header=BB2_313 Depth=2
	s_waitcnt vmcnt(0) lgkmcnt(0)
	v_add_co_u32_e32 v10, vcc, 8, v26
	v_addc_co_u32_e32 v11, vcc, 0, v27, vcc
	v_add_co_u32_e32 v8, vcc, 2, v38
	v_addc_co_u32_e32 v9, vcc, 0, v39, vcc
	v_cmp_lt_u64_e32 vcc, v[10:11], v[8:9]
	s_and_saveexec_b64 s[78:79], vcc
	s_cbranch_execz .LBB2_326
; %bb.315:                              ;   in Loop: Header=BB2_313 Depth=2
	v_and_b32_e32 v0, 64, v60
	s_mov_b32 s75, 0
	v_cmp_eq_u32_e32 vcc, 0, v0
	s_mov_b64 s[88:89], 0
                                        ; implicit-def: $sgpr90_sgpr91
                                        ; implicit-def: $sgpr92_sgpr93
                                        ; implicit-def: $sgpr94_sgpr95
	s_branch .LBB2_319
.LBB2_316:                              ;   in Loop: Header=BB2_319 Depth=3
	s_waitcnt vmcnt(0) lgkmcnt(0)
	v_add_co_u32_e64 v10, s[26:27], 8, v26
	v_addc_co_u32_e64 v11, s[26:27], 0, v27, s[26:27]
	v_cmp_ge_u64_e64 s[26:27], v[10:11], v[8:9]
	s_or_b64 s[36:37], s[36:37], exec
	s_orn2_b64 s[34:35], s[26:27], exec
.LBB2_317:                              ;   in Loop: Header=BB2_319 Depth=3
	s_or_b64 exec, exec, s[48:49]
	s_andn2_b64 s[26:27], s[94:95], exec
	s_and_b64 s[94:95], s[36:37], exec
	s_or_b64 s[94:95], s[26:27], s[94:95]
	s_andn2_b64 s[26:27], s[92:93], exec
	s_and_b64 s[92:93], s[34:35], exec
	s_or_b64 s[92:93], s[26:27], s[92:93]
.LBB2_318:                              ;   in Loop: Header=BB2_319 Depth=3
	s_or_b64 exec, exec, s[30:31]
	s_and_b64 s[26:27], exec, s[92:93]
	s_or_b64 s[88:89], s[26:27], s[88:89]
	s_andn2_b64 s[26:27], s[90:91], exec
	s_and_b64 s[90:91], s[94:95], exec
	s_or_b64 s[90:91], s[26:27], s[90:91]
	s_andn2_b64 exec, exec, s[88:89]
	s_cbranch_execz .LBB2_323
.LBB2_319:                              ;   Parent Loop BB2_47 Depth=1
                                        ;     Parent Loop BB2_313 Depth=2
                                        ; =>    This Inner Loop Header: Depth=3
	s_sleep 1
	s_waitcnt vmcnt(0) lgkmcnt(0)
	flat_load_dwordx2 v[26:27], v[20:21] glc
	s_or_b64 s[94:95], s[94:95], exec
	s_or_b64 s[92:93], s[92:93], exec
                                        ; implicit-def: $vgpr0
	s_and_saveexec_b64 s[30:31], vcc
	s_cbranch_execz .LBB2_318
; %bb.320:                              ;   in Loop: Header=BB2_319 Depth=3
	s_cmpk_lt_i32 s75, 0x270f
	s_cselect_b64 s[38:39], -1, 0
	s_cmpk_gt_i32 s75, 0x270e
	s_mov_b64 s[34:35], -1
	s_cbranch_scc0 .LBB2_322
; %bb.321:                              ;   in Loop: Header=BB2_319 Depth=3
	s_trap 2
	ds_read_b64 v[10:11], v0
	s_andn2_b64 s[38:39], s[38:39], exec
	s_mov_b32 s75, 0
	s_mov_b64 s[36:37], 0
	s_waitcnt vmcnt(0) lgkmcnt(0)
	flat_load_dword v0, v[10:11] glc
	s_waitcnt vmcnt(0) lgkmcnt(0)
	buffer_wbinvl1_vol
	v_cmp_eq_u32_e64 s[26:27], 0, v0
	s_and_b64 s[26:27], s[26:27], exec
	s_or_b64 s[38:39], s[38:39], s[26:27]
	s_and_saveexec_b64 s[48:49], s[38:39]
	s_cbranch_execz .LBB2_317
	s_branch .LBB2_316
.LBB2_322:                              ;   in Loop: Header=BB2_319 Depth=3
	s_add_i32 s75, s75, 1
	s_mov_b64 s[36:37], -1
                                        ; implicit-def: $vgpr0
	s_and_saveexec_b64 s[48:49], s[38:39]
	s_cbranch_execz .LBB2_317
	s_branch .LBB2_316
.LBB2_323:                              ;   in Loop: Header=BB2_313 Depth=2
	s_or_b64 exec, exec, s[88:89]
	s_xor_b64 s[26:27], s[90:91], -1
	s_and_saveexec_b64 s[88:89], s[26:27]
	s_xor_b64 s[26:27], exec, s[88:89]
	s_cbranch_execz .LBB2_325
; %bb.324:                              ;   in Loop: Header=BB2_313 Depth=2
	v_or_b32_e32 v60, 64, v60
	s_waitcnt lgkmcnt(0)
	ds_write_b32 v0, v0
	s_trap 2
.LBB2_325:                              ;   in Loop: Header=BB2_313 Depth=2
	s_or_b64 exec, exec, s[26:27]
.LBB2_326:                              ;   in Loop: Header=BB2_313 Depth=2
	s_or_b64 exec, exec, s[78:79]
	v_and_b32_e32 v0, 0x100, v60
	v_cmp_ne_u32_e32 vcc, 0, v0
	v_and_b32_e32 v0, 7, v38
	s_mov_b64 s[26:27], -1
	;;#ASMSTART
	s_wakeup
	;;#ASMEND
                                        ; implicit-def: $vgpr10_vgpr11
	s_and_saveexec_b64 s[78:79], vcc
	s_cbranch_execz .LBB2_330
; %bb.327:                              ;   in Loop: Header=BB2_313 Depth=2
	buffer_load_dword v14, off, s[0:3], s33 offset:60 ; 4-byte Folded Reload
	buffer_load_dword v15, off, s[0:3], s33 offset:64 ; 4-byte Folded Reload
	buffer_load_dword v16, off, s[0:3], s33 offset:68 ; 4-byte Folded Reload
	buffer_load_dword v17, off, s[0:3], s33 offset:72 ; 4-byte Folded Reload
	v_ashrrev_i32_e32 v53, 31, v52
	v_lshlrev_b64 v[10:11], 1, v[52:53]
	s_waitcnt vmcnt(0)
	v_mad_u64_u32 v[38:39], s[26:27], v0, 24, v[14:15]
	flat_load_dword v3, v[38:39]
	s_nop 0
	flat_store_dwordx2 v[38:39], v[10:11] offset:8
                                        ; implicit-def: $vgpr10_vgpr11
	s_waitcnt vmcnt(0) lgkmcnt(0)
	v_cmp_ne_u32_e32 vcc, 1, v3
	v_cmp_eq_u32_e64 s[26:27], 1, v3
	s_and_saveexec_b64 s[88:89], s[26:27]
	s_cbranch_execz .LBB2_329
; %bb.328:                              ;   in Loop: Header=BB2_313 Depth=2
	flat_load_dword v10, v[38:39] offset:4 glc
	s_waitcnt vmcnt(0) lgkmcnt(0)
	v_ashrrev_i32_e32 v11, 31, v10
	v_lshrrev_b64 v[10:11], 1, v[10:11]
.LBB2_329:                              ;   in Loop: Header=BB2_313 Depth=2
	s_or_b64 exec, exec, s[88:89]
	s_orn2_b64 s[26:27], vcc, exec
.LBB2_330:                              ;   in Loop: Header=BB2_313 Depth=2
	s_or_b64 exec, exec, s[78:79]
	s_and_saveexec_b64 s[78:79], s[26:27]
; %bb.331:                              ;   in Loop: Header=BB2_313 Depth=2
	v_mad_i64_i32 v[10:11], s[26:27], v0, v61, 0
; %bb.332:                              ;   in Loop: Header=BB2_313 Depth=2
	s_or_b64 exec, exec, s[78:79]
	v_lshlrev_b64 v[10:11], 1, v[10:11]
	v_add_co_u32_e32 v10, vcc, v6, v10
	v_addc_co_u32_e32 v11, vcc, v7, v11, vcc
	ds_write_b64 v0, v[10:11] offset:784
	v_and_b32_e32 v0, 0x2000, v60
	v_cmp_ne_u32_e32 vcc, 0, v0
	s_and_saveexec_b64 s[26:27], vcc
	s_cbranch_execz .LBB2_334
; %bb.333:                              ;   in Loop: Header=BB2_313 Depth=2
	ds_read_b64 v[10:11], v0 offset:872
	s_waitcnt lgkmcnt(0)
	v_add_co_u32_e32 v10, vcc, 1, v10
	v_addc_co_u32_e32 v11, vcc, 0, v11, vcc
	ds_write_b64 v0, v[10:11] offset:872
.LBB2_334:                              ;   in Loop: Header=BB2_313 Depth=2
	s_or_b64 exec, exec, s[26:27]
	v_mov_b32_e32 v39, v9
	v_mov_b32_e32 v38, v8
.LBB2_335:                              ;   in Loop: Header=BB2_313 Depth=2
	s_or_b64 exec, exec, s[76:77]
	s_xor_b64 s[26:27], s[42:43], -1
	s_and_b64 s[26:27], exec, s[26:27]
	s_or_b64 s[40:41], s[26:27], s[40:41]
	s_and_saveexec_b64 s[26:27], s[10:11]
	s_cbranch_execz .LBB2_354
; %bb.336:                              ;   in Loop: Header=BB2_313 Depth=2
	s_and_saveexec_b64 s[42:43], s[56:57]
	s_xor_b64 s[42:43], exec, s[42:43]
	s_cbranch_execz .LBB2_351
; %bb.337:                              ;   in Loop: Header=BB2_313 Depth=2
	s_and_saveexec_b64 s[76:77], s[16:17]
	s_cbranch_execz .LBB2_350
; %bb.338:                              ;   in Loop: Header=BB2_313 Depth=2
	s_mov_b64 s[88:89], exec
	v_mbcnt_lo_u32_b32 v0, s88, 0
	v_mbcnt_hi_u32_b32 v0, s89, v0
	v_cmp_eq_u32_e32 vcc, 0, v0
	s_waitcnt vmcnt(0) lgkmcnt(0)
	buffer_wbinvl1_vol
	s_and_saveexec_b64 s[78:79], vcc
	s_cbranch_execz .LBB2_340
; %bb.339:                              ;   in Loop: Header=BB2_313 Depth=2
	s_bcnt1_i32_b64 s75, s[88:89]
	v_mov_b32_e32 v8, s75
	v_mov_b32_e32 v9, v2
	ds_add_u64 v0, v[8:9]
	s_trap 2
.LBB2_340:                              ;   in Loop: Header=BB2_313 Depth=2
	s_or_b64 exec, exec, s[78:79]
	s_trap 2
	ds_read_b64 v[8:9], v0
	s_waitcnt lgkmcnt(0)
	v_add_co_u32_e32 v12, vcc, v12, v62
	v_addc_co_u32_e32 v13, vcc, 0, v13, vcc
	v_cmp_lt_u64_e32 vcc, v[8:9], v[12:13]
	s_and_saveexec_b64 s[78:79], vcc
	s_cbranch_execz .LBB2_349
; %bb.341:                              ;   in Loop: Header=BB2_313 Depth=2
	s_mov_b32 s75, 0
	s_mov_b64 s[88:89], 0
                                        ; implicit-def: $sgpr90_sgpr91
                                        ; implicit-def: $sgpr92_sgpr93
	s_branch .LBB2_343
.LBB2_342:                              ;   in Loop: Header=BB2_343 Depth=3
	s_or_b64 exec, exec, s[30:31]
	s_and_b64 s[94:95], exec, vcc
	s_or_b64 s[88:89], s[94:95], s[88:89]
	s_andn2_b64 s[90:91], s[90:91], exec
	s_and_b64 s[94:95], s[92:93], exec
	s_or_b64 s[90:91], s[90:91], s[94:95]
	s_andn2_b64 exec, exec, s[88:89]
	s_cbranch_execz .LBB2_347
.LBB2_343:                              ;   Parent Loop BB2_47 Depth=1
                                        ;     Parent Loop BB2_313 Depth=2
                                        ; =>    This Inner Loop Header: Depth=3
	s_add_i32 s75, s75, 1
	s_cmpk_lg_i32 s75, 0x2710
	s_cselect_b64 s[94:95], -1, 0
	s_and_b64 vcc, exec, s[94:95]
	s_cbranch_vccz .LBB2_345
; %bb.344:                              ;   in Loop: Header=BB2_343 Depth=3
	s_mov_b64 vcc, -1
	s_or_b64 s[92:93], s[92:93], exec
	s_and_saveexec_b64 s[30:31], s[94:95]
	s_cbranch_execz .LBB2_342
	s_branch .LBB2_346
.LBB2_345:                              ;   in Loop: Header=BB2_343 Depth=3
	s_trap 2
	ds_read_b64 v[8:9], v0
	s_andn2_b64 s[94:95], s[94:95], exec
	s_mov_b32 s75, 0
	s_waitcnt lgkmcnt(0)
	flat_load_dword v0, v[8:9] glc
	s_waitcnt vmcnt(0) lgkmcnt(0)
	buffer_wbinvl1_vol
	v_cmp_eq_u32_e32 vcc, 0, v0
	s_and_b64 vcc, vcc, exec
	s_or_b64 s[94:95], s[94:95], vcc
	s_mov_b64 vcc, -1
	s_or_b64 s[92:93], s[92:93], exec
	s_and_saveexec_b64 s[30:31], s[94:95]
	s_cbranch_execz .LBB2_342
.LBB2_346:                              ;   in Loop: Header=BB2_343 Depth=3
	s_sleep 1
	s_trap 2
	ds_read_b64 v[8:9], v0
	s_waitcnt lgkmcnt(0)
	s_andn2_b64 s[92:93], s[92:93], exec
	v_cmp_ge_u64_e32 vcc, v[8:9], v[12:13]
	s_orn2_b64 vcc, vcc, exec
	s_branch .LBB2_342
.LBB2_347:                              ;   in Loop: Header=BB2_313 Depth=2
	s_or_b64 exec, exec, s[88:89]
	s_and_saveexec_b64 s[88:89], s[90:91]
	s_xor_b64 s[88:89], exec, s[88:89]
	s_cbranch_execz .LBB2_349
; %bb.348:                              ;   in Loop: Header=BB2_313 Depth=2
	ds_write_b32 v0, v18
	s_trap 2
.LBB2_349:                              ;   in Loop: Header=BB2_313 Depth=2
	s_or_b64 exec, exec, s[78:79]
	;;#ASMSTART
	s_wakeup
	;;#ASMEND
.LBB2_350:                              ;   in Loop: Header=BB2_313 Depth=2
	s_or_b64 exec, exec, s[76:77]
.LBB2_351:                              ;   in Loop: Header=BB2_313 Depth=2
	s_andn2_saveexec_b64 s[42:43], s[42:43]
	s_cbranch_execz .LBB2_353
; %bb.352:                              ;   in Loop: Header=BB2_313 Depth=2
	s_waitcnt vmcnt(0) lgkmcnt(0)
	buffer_wbinvl1_vol
	s_barrier
.LBB2_353:                              ;   in Loop: Header=BB2_313 Depth=2
	s_or_b64 exec, exec, s[42:43]
.LBB2_354:                              ;   in Loop: Header=BB2_313 Depth=2
	s_or_b64 exec, exec, s[26:27]
	v_and_b32_e32 v0, 16, v60
	s_and_saveexec_b64 s[26:27], s[24:25]
	s_xor_b64 s[26:27], exec, s[26:27]
	s_cbranch_execz .LBB2_359
; %bb.355:                              ;   in Loop: Header=BB2_313 Depth=2
	s_trap 2
	ds_read_b32 v0, v0
	v_cmp_lt_i32_e32 vcc, 0, v52
	v_and_b32_e32 v3, 16, v60
	s_waitcnt lgkmcnt(0)
	v_readfirstlane_b32 s42, v0
	s_cmp_eq_u32 s42, 0
	s_cselect_b64 s[42:43], -1, 0
	s_and_b64 s[42:43], vcc, s[42:43]
	v_cmp_ne_u32_e32 vcc, 0, v3
	v_and_b32_e32 v0, 16, v60
	s_and_b64 s[76:77], vcc, s[42:43]
	s_and_saveexec_b64 s[42:43], s[76:77]
	s_cbranch_execz .LBB2_357
; %bb.356:                              ;   in Loop: Header=BB2_313 Depth=2
	v_mov_b32_e32 v0, 1
	s_waitcnt vmcnt(0)
	buffer_wbinvl1_vol
.LBB2_357:                              ;   in Loop: Header=BB2_313 Depth=2
	s_or_b64 exec, exec, s[42:43]
	s_andn2_saveexec_b64 s[26:27], s[26:27]
	s_cbranch_execnz .LBB2_360
.LBB2_358:                              ;   in Loop: Header=BB2_313 Depth=2
	s_or_b64 exec, exec, s[26:27]
	v_cmp_ne_u32_e32 vcc, 0, v0
	s_and_saveexec_b64 s[26:27], vcc
	s_cbranch_execz .LBB2_312
	s_branch .LBB2_378
.LBB2_359:                              ;   in Loop: Header=BB2_313 Depth=2
	s_andn2_saveexec_b64 s[26:27], s[26:27]
	s_cbranch_execz .LBB2_358
.LBB2_360:                              ;   in Loop: Header=BB2_313 Depth=2
	s_and_saveexec_b64 s[42:43], s[56:57]
	s_xor_b64 s[42:43], exec, s[42:43]
	s_cbranch_execz .LBB2_375
; %bb.361:                              ;   in Loop: Header=BB2_313 Depth=2
	s_and_saveexec_b64 s[76:77], s[16:17]
	s_cbranch_execz .LBB2_374
; %bb.362:                              ;   in Loop: Header=BB2_313 Depth=2
	s_mov_b64 s[88:89], exec
	v_mbcnt_lo_u32_b32 v3, s88, 0
	v_mbcnt_hi_u32_b32 v3, s89, v3
	v_cmp_eq_u32_e32 vcc, 0, v3
	;;#ASMSTART
	s_waitcnt lgkmcnt(0) vmcnt(0)
	;;#ASMEND
	s_and_saveexec_b64 s[78:79], vcc
	s_cbranch_execz .LBB2_364
; %bb.363:                              ;   in Loop: Header=BB2_313 Depth=2
	s_bcnt1_i32_b64 s75, s[88:89]
	v_mov_b32_e32 v8, s75
	v_mov_b32_e32 v9, v2
	s_waitcnt lgkmcnt(0)
	ds_add_u64 v0, v[8:9]
	s_trap 2
.LBB2_364:                              ;   in Loop: Header=BB2_313 Depth=2
	s_or_b64 exec, exec, s[78:79]
	s_trap 2
	ds_read_b64 v[8:9], v0
	s_waitcnt lgkmcnt(0)
	v_add_co_u32_e32 v12, vcc, v12, v62
	v_addc_co_u32_e32 v13, vcc, 0, v13, vcc
	v_cmp_lt_u64_e32 vcc, v[8:9], v[12:13]
	s_and_saveexec_b64 s[78:79], vcc
	s_cbranch_execz .LBB2_373
; %bb.365:                              ;   in Loop: Header=BB2_313 Depth=2
	s_mov_b32 s75, 0
	s_mov_b64 s[88:89], 0
                                        ; implicit-def: $sgpr90_sgpr91
                                        ; implicit-def: $sgpr92_sgpr93
	s_branch .LBB2_367
.LBB2_366:                              ;   in Loop: Header=BB2_367 Depth=3
	s_or_b64 exec, exec, s[30:31]
	s_and_b64 s[94:95], exec, vcc
	s_or_b64 s[88:89], s[94:95], s[88:89]
	s_andn2_b64 s[90:91], s[90:91], exec
	s_and_b64 s[94:95], s[92:93], exec
	s_or_b64 s[90:91], s[90:91], s[94:95]
	s_andn2_b64 exec, exec, s[88:89]
	s_cbranch_execz .LBB2_371
.LBB2_367:                              ;   Parent Loop BB2_47 Depth=1
                                        ;     Parent Loop BB2_313 Depth=2
                                        ; =>    This Inner Loop Header: Depth=3
	s_add_i32 s75, s75, 1
	s_cmpk_lg_i32 s75, 0x2710
	s_cselect_b64 s[94:95], -1, 0
	s_and_b64 vcc, exec, s[94:95]
	s_cbranch_vccz .LBB2_369
; %bb.368:                              ;   in Loop: Header=BB2_367 Depth=3
	s_mov_b64 vcc, -1
	s_or_b64 s[92:93], s[92:93], exec
	s_and_saveexec_b64 s[30:31], s[94:95]
	s_cbranch_execz .LBB2_366
	s_branch .LBB2_370
.LBB2_369:                              ;   in Loop: Header=BB2_367 Depth=3
	s_trap 2
	ds_read_b64 v[8:9], v0
	s_andn2_b64 s[94:95], s[94:95], exec
	s_mov_b32 s75, 0
	s_waitcnt vmcnt(0) lgkmcnt(0)
	flat_load_dword v3, v[8:9] glc
	s_waitcnt vmcnt(0) lgkmcnt(0)
	buffer_wbinvl1_vol
	v_cmp_eq_u32_e32 vcc, 0, v3
	s_and_b64 vcc, vcc, exec
	s_or_b64 s[94:95], s[94:95], vcc
	s_mov_b64 vcc, -1
	s_or_b64 s[92:93], s[92:93], exec
	s_and_saveexec_b64 s[30:31], s[94:95]
	s_cbranch_execz .LBB2_366
.LBB2_370:                              ;   in Loop: Header=BB2_367 Depth=3
	s_sleep 1
	s_trap 2
	ds_read_b64 v[8:9], v0
	s_waitcnt lgkmcnt(0)
	s_andn2_b64 s[92:93], s[92:93], exec
	v_cmp_ge_u64_e32 vcc, v[8:9], v[12:13]
	s_orn2_b64 vcc, vcc, exec
	s_branch .LBB2_366
.LBB2_371:                              ;   in Loop: Header=BB2_313 Depth=2
	s_or_b64 exec, exec, s[88:89]
	s_and_saveexec_b64 s[88:89], s[90:91]
	s_xor_b64 s[88:89], exec, s[88:89]
	s_cbranch_execz .LBB2_373
; %bb.372:                              ;   in Loop: Header=BB2_313 Depth=2
	ds_write_b32 v0, v18
	s_trap 2
.LBB2_373:                              ;   in Loop: Header=BB2_313 Depth=2
	s_or_b64 exec, exec, s[78:79]
	;;#ASMSTART
	s_wakeup
	;;#ASMEND
.LBB2_374:                              ;   in Loop: Header=BB2_313 Depth=2
	s_or_b64 exec, exec, s[76:77]
.LBB2_375:                              ;   in Loop: Header=BB2_313 Depth=2
	s_andn2_saveexec_b64 s[42:43], s[42:43]
	s_cbranch_execz .LBB2_377
; %bb.376:                              ;   in Loop: Header=BB2_313 Depth=2
	;;#ASMSTART
	s_waitcnt lgkmcnt(0) vmcnt(0)
	;;#ASMEND
	s_waitcnt vmcnt(0) lgkmcnt(0)
	s_barrier
.LBB2_377:                              ;   in Loop: Header=BB2_313 Depth=2
	s_or_b64 exec, exec, s[42:43]
	s_or_b64 exec, exec, s[26:27]
	v_cmp_ne_u32_e32 vcc, 0, v0
	s_and_saveexec_b64 s[26:27], vcc
	s_cbranch_execz .LBB2_312
.LBB2_378:                              ;   in Loop: Header=BB2_313 Depth=2
	s_and_saveexec_b64 s[42:43], s[14:15]
	s_cbranch_execz .LBB2_311
; %bb.379:                              ;   in Loop: Header=BB2_313 Depth=2
	s_waitcnt vmcnt(0)
	flat_store_dword v[46:47], v18
	s_branch .LBB2_311
.LBB2_380:                              ;   in Loop: Header=BB2_47 Depth=1
	s_or_b64 exec, exec, s[40:41]
.LBB2_381:                              ;   in Loop: Header=BB2_47 Depth=1
	s_or_b64 exec, exec, s[28:29]
	v_cndmask_b32_e64 v0, 0, 1, s[60:61]
	v_cmp_ne_u32_e64 s[26:27], 1, v0
	s_andn2_b64 vcc, exec, s[60:61]
	s_cbranch_vccnz .LBB2_772
; %bb.382:                              ;   in Loop: Header=BB2_47 Depth=1
	s_mov_b32 s75, 2
	s_branch .LBB2_385
.LBB2_383:                              ;   in Loop: Header=BB2_385 Depth=2
	s_or_b64 exec, exec, s[42:43]
.LBB2_384:                              ;   in Loop: Header=BB2_385 Depth=2
	s_or_b64 exec, exec, s[40:41]
	s_add_i32 s75, s75, 1
	s_cmp_eq_u32 s75, s52
	s_cbranch_scc1 .LBB2_772
.LBB2_385:                              ;   Parent Loop BB2_47 Depth=1
                                        ; =>  This Loop Header: Depth=2
                                        ;       Child Loop BB2_388 Depth 3
                                        ;         Child Loop BB2_396 Depth 4
                                        ;         Child Loop BB2_424 Depth 4
	;; [unrolled: 1-line block ×9, first 2 shown]
                                        ;       Child Loop BB2_700 Depth 3
                                        ;         Child Loop BB2_706 Depth 4
                                        ;         Child Loop BB2_734 Depth 4
	;; [unrolled: 1-line block ×3, first 2 shown]
	buffer_load_dword v14, off, s[0:3], s33 offset:128 ; 4-byte Folded Reload
	buffer_load_dword v15, off, s[0:3], s33 offset:132 ; 4-byte Folded Reload
	;; [unrolled: 1-line block ×4, first 2 shown]
	s_sub_i32 s28, s68, s75
	s_cmp_ge_i32 s28, s52
	s_cselect_b32 s29, s52, 0
	s_sub_i32 s28, s28, s29
	s_ashr_i32 s40, s28, 31
	v_mov_b32_e32 v54, 0
	s_waitcnt vmcnt(0)
	v_mul_lo_u32 v3, v14, s40
	v_mul_lo_u32 v0, v15, s28
	v_mad_u64_u32 v[8:9], s[28:29], v14, s28, 0
	v_add3_u32 v9, v9, v3, v0
	v_sub_co_u32_e32 v10, vcc, v10, v8
	v_subb_co_u32_e32 v11, vcc, v11, v9, vcc
	v_cmp_lt_i64_e32 vcc, v[14:15], v[10:11]
	v_cndmask_b32_e32 v0, v10, v14, vcc
	v_max_i32_e32 v48, 0, v0
	v_add_u32_e32 v3, 31, v48
	v_lshrrev_b32_e32 v3, 1, v3
	v_and_b32_e32 v3, 0x3ffffff0, v3
	v_cmp_lt_i32_e32 vcc, 0, v0
	v_max_i32_e32 v52, s71, v3
	s_and_b64 s[28:29], s[72:73], vcc
	v_mov_b32_e32 v0, 0
	s_and_saveexec_b64 s[40:41], s[28:29]
	s_cbranch_execz .LBB2_697
; %bb.386:                              ;   in Loop: Header=BB2_385 Depth=2
	v_lshlrev_b64 v[40:41], 1, v[8:9]
	s_mov_b32 s83, 1
	s_mov_b64 s[76:77], -1
	v_mov_b32_e32 v54, 0
	s_mov_b64 s[42:43], 0
	s_branch .LBB2_388
.LBB2_387:                              ;   in Loop: Header=BB2_388 Depth=3
	s_or_b64 exec, exec, s[28:29]
	v_add_u32_e32 v54, v52, v54
	v_cmp_ge_i32_e32 vcc, v54, v48
	s_xor_b64 s[28:29], s[76:77], -1
	s_or_b64 s[28:29], s[28:29], vcc
	s_and_b64 s[28:29], exec, s[28:29]
	s_or_b64 s[42:43], s[28:29], s[42:43]
	s_mov_b64 s[76:77], 0
	v_mov_b32_e32 v0, s83
	s_mov_b32 s83, 2
	s_andn2_b64 exec, exec, s[42:43]
	s_cbranch_execz .LBB2_696
.LBB2_388:                              ;   Parent Loop BB2_47 Depth=1
                                        ;     Parent Loop BB2_385 Depth=2
                                        ; =>    This Loop Header: Depth=3
                                        ;         Child Loop BB2_396 Depth 4
                                        ;         Child Loop BB2_424 Depth 4
	;; [unrolled: 1-line block ×9, first 2 shown]
	s_and_saveexec_b64 s[28:29], s[4:5]
	s_cbranch_execz .LBB2_390
; %bb.389:                              ;   in Loop: Header=BB2_388 Depth=3
	s_trap 2
	ds_read_b64 v[8:9], v0
	buffer_load_dword v10, off, s[0:3], s33 offset:96 ; 4-byte Folded Reload
	buffer_load_dword v11, off, s[0:3], s33 offset:100 ; 4-byte Folded Reload
	v_ashrrev_i32_e32 v55, 31, v54
	s_waitcnt vmcnt(0)
	v_lshlrev_b64 v[10:11], 1, v[10:11]
	s_waitcnt lgkmcnt(0)
	v_add_co_u32_e32 v0, vcc, v8, v10
	v_addc_co_u32_e32 v3, vcc, v9, v11, vcc
	v_add_co_u32_e32 v0, vcc, v0, v40
	v_lshlrev_b64 v[8:9], 1, v[54:55]
	v_addc_co_u32_e32 v3, vcc, v3, v41, vcc
	v_add_co_u32_e32 v8, vcc, v0, v8
	v_addc_co_u32_e32 v9, vcc, v3, v9, vcc
	v_mov_b32_e32 v3, v2
	ds_write_b64 v0, v[8:9]
	ds_write_b64 v0, v[2:3]
.LBB2_390:                              ;   in Loop: Header=BB2_388 Depth=3
	s_or_b64 exec, exec, s[28:29]
	v_sub_u32_e32 v0, v48, v54
	v_min_i32_e32 v52, v52, v0
	v_and_b32_e32 v0, 12, v60
	v_cmp_ne_u32_e32 vcc, 0, v0
	s_and_saveexec_b64 s[78:79], vcc
	s_cbranch_execz .LBB2_416
; %bb.391:                              ;   in Loop: Header=BB2_388 Depth=3
	v_and_b32_e32 v0, 8, v60
	s_waitcnt vmcnt(0) lgkmcnt(0)
	v_add_co_u32_e32 v10, vcc, v26, v0
	v_addc_co_u32_e32 v11, vcc, 0, v27, vcc
	v_add_co_u32_e32 v8, vcc, 2, v38
	v_addc_co_u32_e32 v9, vcc, 0, v39, vcc
	v_cmp_lt_u64_e32 vcc, v[10:11], v[8:9]
	s_and_saveexec_b64 s[88:89], vcc
	s_cbranch_execz .LBB2_403
; %bb.392:                              ;   in Loop: Header=BB2_388 Depth=3
	v_and_b32_e32 v3, 64, v60
	s_mov_b32 s84, 0
	v_cmp_eq_u32_e32 vcc, 0, v3
	s_mov_b64 s[90:91], 0
                                        ; implicit-def: $sgpr92_sgpr93
                                        ; implicit-def: $sgpr94_sgpr95
                                        ; implicit-def: $sgpr30_sgpr31
	s_branch .LBB2_396
.LBB2_393:                              ;   in Loop: Header=BB2_396 Depth=4
	s_waitcnt vmcnt(0) lgkmcnt(0)
	v_add_co_u32_e64 v10, s[28:29], v26, v0
	v_addc_co_u32_e64 v11, s[28:29], 0, v27, s[28:29]
	v_cmp_ge_u64_e64 s[28:29], v[10:11], v[8:9]
	s_or_b64 s[38:39], s[38:39], exec
	s_orn2_b64 s[36:37], s[28:29], exec
.LBB2_394:                              ;   in Loop: Header=BB2_396 Depth=4
	s_or_b64 exec, exec, s[50:51]
	s_andn2_b64 s[28:29], s[30:31], exec
	s_and_b64 s[30:31], s[38:39], exec
	s_or_b64 s[30:31], s[28:29], s[30:31]
	s_andn2_b64 s[28:29], s[94:95], exec
	s_and_b64 s[94:95], s[36:37], exec
	s_or_b64 s[94:95], s[28:29], s[94:95]
.LBB2_395:                              ;   in Loop: Header=BB2_396 Depth=4
	s_or_b64 exec, exec, s[34:35]
	s_and_b64 s[28:29], exec, s[94:95]
	s_or_b64 s[90:91], s[28:29], s[90:91]
	s_andn2_b64 s[28:29], s[92:93], exec
	s_and_b64 s[92:93], s[30:31], exec
	s_or_b64 s[92:93], s[28:29], s[92:93]
	s_andn2_b64 exec, exec, s[90:91]
	s_cbranch_execz .LBB2_400
.LBB2_396:                              ;   Parent Loop BB2_47 Depth=1
                                        ;     Parent Loop BB2_385 Depth=2
                                        ;       Parent Loop BB2_388 Depth=3
                                        ; =>      This Inner Loop Header: Depth=4
	s_sleep 1
	s_waitcnt vmcnt(0) lgkmcnt(0)
	flat_load_dwordx2 v[26:27], v[20:21] glc
	s_or_b64 s[30:31], s[30:31], exec
	s_or_b64 s[94:95], s[94:95], exec
                                        ; implicit-def: $vgpr3
	s_and_saveexec_b64 s[34:35], vcc
	s_cbranch_execz .LBB2_395
; %bb.397:                              ;   in Loop: Header=BB2_396 Depth=4
	s_cmpk_lt_i32 s84, 0x270f
	s_cselect_b64 s[48:49], -1, 0
	s_cmpk_gt_i32 s84, 0x270e
	s_mov_b64 s[36:37], -1
	s_cbranch_scc0 .LBB2_399
; %bb.398:                              ;   in Loop: Header=BB2_396 Depth=4
	s_trap 2
	ds_read_b64 v[10:11], v0
	s_andn2_b64 s[48:49], s[48:49], exec
	s_mov_b32 s84, 0
	s_mov_b64 s[38:39], 0
	s_waitcnt vmcnt(0) lgkmcnt(0)
	flat_load_dword v3, v[10:11] glc
	s_waitcnt vmcnt(0) lgkmcnt(0)
	buffer_wbinvl1_vol
	v_cmp_eq_u32_e64 s[28:29], 0, v3
	s_and_b64 s[28:29], s[28:29], exec
	s_or_b64 s[48:49], s[48:49], s[28:29]
	s_and_saveexec_b64 s[50:51], s[48:49]
	s_cbranch_execz .LBB2_394
	s_branch .LBB2_393
.LBB2_399:                              ;   in Loop: Header=BB2_396 Depth=4
	s_add_i32 s84, s84, 1
	s_mov_b64 s[38:39], -1
                                        ; implicit-def: $vgpr3
	s_and_saveexec_b64 s[50:51], s[48:49]
	s_cbranch_execz .LBB2_394
	s_branch .LBB2_393
.LBB2_400:                              ;   in Loop: Header=BB2_388 Depth=3
	s_or_b64 exec, exec, s[90:91]
	s_xor_b64 s[28:29], s[92:93], -1
	s_and_saveexec_b64 s[90:91], s[28:29]
	s_xor_b64 s[28:29], exec, s[90:91]
	s_cbranch_execz .LBB2_402
; %bb.401:                              ;   in Loop: Header=BB2_388 Depth=3
	v_or_b32_e32 v60, 64, v60
	s_waitcnt lgkmcnt(0)
	ds_write_b32 v0, v3
	s_trap 2
.LBB2_402:                              ;   in Loop: Header=BB2_388 Depth=3
	s_or_b64 exec, exec, s[28:29]
.LBB2_403:                              ;   in Loop: Header=BB2_388 Depth=3
	s_or_b64 exec, exec, s[88:89]
	v_and_b32_e32 v3, 0x108, v60
	v_cmp_ne_u32_e32 vcc, s65, v3
	;;#ASMSTART
	s_wakeup
	;;#ASMEND
                                        ; implicit-def: $vgpr10_vgpr11
	s_and_saveexec_b64 s[28:29], vcc
	s_xor_b64 s[28:29], exec, s[28:29]
; %bb.404:                              ;   in Loop: Header=BB2_388 Depth=3
	v_and_b32_e32 v10, 7, v38
	v_mov_b32_e32 v11, v2
                                        ; implicit-def: $vgpr38_vgpr39
; %bb.405:                              ;   in Loop: Header=BB2_388 Depth=3
	s_andn2_saveexec_b64 s[28:29], s[28:29]
	s_cbranch_execz .LBB2_407
; %bb.406:                              ;   in Loop: Header=BB2_388 Depth=3
	buffer_load_dword v14, off, s[0:3], s33 offset:60 ; 4-byte Folded Reload
	buffer_load_dword v15, off, s[0:3], s33 offset:64 ; 4-byte Folded Reload
	;; [unrolled: 1-line block ×4, first 2 shown]
	v_and_b32_e32 v10, 7, v38
	v_ashrrev_i32_e32 v53, 31, v52
	s_waitcnt vmcnt(0)
	v_lshlrev_b64 v[16:17], 1, v[52:53]
	v_mov_b32_e32 v11, v2
	v_mad_u64_u32 v[14:15], s[88:89], v10, 24, v[14:15]
	flat_store_dwordx2 v[14:15], v[16:17] offset:8
.LBB2_407:                              ;   in Loop: Header=BB2_388 Depth=3
	s_or_b64 exec, exec, s[28:29]
	v_and_b32_e32 v3, 0x100, v60
	v_cmp_ne_u32_e32 vcc, 0, v3
	s_mov_b64 s[28:29], -1
                                        ; implicit-def: $vgpr38_vgpr39
	s_and_saveexec_b64 s[88:89], vcc
	s_cbranch_execz .LBB2_411
; %bb.408:                              ;   in Loop: Header=BB2_388 Depth=3
	buffer_load_dword v14, off, s[0:3], s33 offset:60 ; 4-byte Folded Reload
	buffer_load_dword v15, off, s[0:3], s33 offset:64 ; 4-byte Folded Reload
	;; [unrolled: 1-line block ×4, first 2 shown]
                                        ; implicit-def: $vgpr38_vgpr39
	s_waitcnt vmcnt(0)
	v_mad_u64_u32 v[42:43], s[28:29], v10, 24, v[14:15]
	v_mov_b32_e32 v3, v43
	v_mad_u64_u32 v[14:15], s[28:29], v11, 24, v[3:4]
	v_mov_b32_e32 v43, v14
	flat_load_dword v3, v[42:43]
	s_waitcnt vmcnt(0) lgkmcnt(0)
	v_cmp_ne_u32_e32 vcc, 1, v3
	v_cmp_eq_u32_e64 s[28:29], 1, v3
	s_and_saveexec_b64 s[90:91], s[28:29]
	s_cbranch_execz .LBB2_410
; %bb.409:                              ;   in Loop: Header=BB2_388 Depth=3
	flat_load_dword v14, v[42:43] offset:4 glc
	s_waitcnt vmcnt(0) lgkmcnt(0)
	v_ashrrev_i32_e32 v15, 31, v14
	v_lshrrev_b64 v[38:39], 1, v[14:15]
.LBB2_410:                              ;   in Loop: Header=BB2_388 Depth=3
	s_or_b64 exec, exec, s[90:91]
	s_orn2_b64 s[28:29], vcc, exec
.LBB2_411:                              ;   in Loop: Header=BB2_388 Depth=3
	s_or_b64 exec, exec, s[88:89]
	s_and_saveexec_b64 s[88:89], s[28:29]
	s_cbranch_execz .LBB2_413
; %bb.412:                              ;   in Loop: Header=BB2_388 Depth=3
	v_mul_lo_u32 v3, v11, v61
	v_ashrrev_i32_e32 v11, 31, v61
	v_mul_lo_u32 v11, v10, v11
	v_mad_u64_u32 v[38:39], s[28:29], v10, v61, 0
	v_add3_u32 v39, v39, v11, v3
.LBB2_413:                              ;   in Loop: Header=BB2_388 Depth=3
	s_or_b64 exec, exec, s[88:89]
	v_lshlrev_b64 v[10:11], 1, v[38:39]
	v_cmp_eq_u32_e32 vcc, 0, v0
	v_mov_b32_e32 v0, 0xc8
	v_mov_b32_e32 v3, 0x90
	v_cndmask_b32_e32 v0, v0, v3, vcc
	v_add_co_u32_e32 v10, vcc, v6, v10
	v_addc_co_u32_e32 v11, vcc, v7, v11, vcc
	v_add_u32_e32 v0, v0, v0
	ds_write_b64 v0, v[10:11] offset:584
	v_and_b32_e32 v0, 0x2000, v60
	v_cmp_ne_u32_e32 vcc, 0, v0
	s_and_saveexec_b64 s[28:29], vcc
	s_cbranch_execz .LBB2_415
; %bb.414:                              ;   in Loop: Header=BB2_388 Depth=3
	ds_read_b64 v[10:11], v0 offset:872
	s_waitcnt lgkmcnt(0)
	v_add_co_u32_e32 v10, vcc, 1, v10
	v_addc_co_u32_e32 v11, vcc, 0, v11, vcc
	ds_write_b64 v0, v[10:11] offset:872
.LBB2_415:                              ;   in Loop: Header=BB2_388 Depth=3
	s_or_b64 exec, exec, s[28:29]
	v_mov_b32_e32 v39, v9
	v_mov_b32_e32 v38, v8
.LBB2_416:                              ;   in Loop: Header=BB2_388 Depth=3
	s_or_b64 exec, exec, s[78:79]
	s_and_saveexec_b64 s[28:29], s[10:11]
	s_cbranch_execz .LBB2_435
; %bb.417:                              ;   in Loop: Header=BB2_388 Depth=3
	s_and_saveexec_b64 s[78:79], s[56:57]
	s_xor_b64 s[78:79], exec, s[78:79]
	s_cbranch_execz .LBB2_432
; %bb.418:                              ;   in Loop: Header=BB2_388 Depth=3
	s_and_saveexec_b64 s[88:89], s[16:17]
	s_cbranch_execz .LBB2_431
; %bb.419:                              ;   in Loop: Header=BB2_388 Depth=3
	s_mov_b64 s[92:93], exec
	v_mbcnt_lo_u32_b32 v0, s92, 0
	v_mbcnt_hi_u32_b32 v0, s93, v0
	v_cmp_eq_u32_e32 vcc, 0, v0
	s_waitcnt vmcnt(0) lgkmcnt(0)
	buffer_wbinvl1_vol
	s_and_saveexec_b64 s[90:91], vcc
	s_cbranch_execz .LBB2_421
; %bb.420:                              ;   in Loop: Header=BB2_388 Depth=3
	s_bcnt1_i32_b64 s92, s[92:93]
	v_mov_b32_e32 v8, s92
	v_mov_b32_e32 v9, v2
	ds_add_u64 v0, v[8:9]
	s_trap 2
.LBB2_421:                              ;   in Loop: Header=BB2_388 Depth=3
	s_or_b64 exec, exec, s[90:91]
	s_trap 2
	ds_read_b64 v[8:9], v0
	s_waitcnt lgkmcnt(0)
	v_add_co_u32_e32 v12, vcc, v12, v62
	v_addc_co_u32_e32 v13, vcc, 0, v13, vcc
	v_cmp_lt_u64_e32 vcc, v[8:9], v[12:13]
	s_and_saveexec_b64 s[90:91], vcc
	s_cbranch_execz .LBB2_430
; %bb.422:                              ;   in Loop: Header=BB2_388 Depth=3
	s_mov_b32 s38, 0
	s_mov_b64 s[92:93], 0
                                        ; implicit-def: $sgpr94_sgpr95
                                        ; implicit-def: $sgpr30_sgpr31
	s_branch .LBB2_424
.LBB2_423:                              ;   in Loop: Header=BB2_424 Depth=4
	s_or_b64 exec, exec, s[36:37]
	s_and_b64 vcc, exec, vcc
	s_or_b64 s[92:93], vcc, s[92:93]
	s_andn2_b64 s[94:95], s[94:95], exec
	s_and_b64 vcc, s[30:31], exec
	s_or_b64 s[94:95], s[94:95], vcc
	s_andn2_b64 exec, exec, s[92:93]
	s_cbranch_execz .LBB2_428
.LBB2_424:                              ;   Parent Loop BB2_47 Depth=1
                                        ;     Parent Loop BB2_385 Depth=2
                                        ;       Parent Loop BB2_388 Depth=3
                                        ; =>      This Inner Loop Header: Depth=4
	s_add_i32 s38, s38, 1
	s_cmpk_lg_i32 s38, 0x2710
	s_cselect_b64 s[34:35], -1, 0
	s_and_b64 vcc, exec, s[34:35]
	s_cbranch_vccz .LBB2_426
; %bb.425:                              ;   in Loop: Header=BB2_424 Depth=4
	s_mov_b64 vcc, -1
	s_or_b64 s[30:31], s[30:31], exec
	s_and_saveexec_b64 s[36:37], s[34:35]
	s_cbranch_execz .LBB2_423
	s_branch .LBB2_427
.LBB2_426:                              ;   in Loop: Header=BB2_424 Depth=4
	s_trap 2
	ds_read_b64 v[8:9], v0
	s_andn2_b64 s[34:35], s[34:35], exec
	s_mov_b32 s38, 0
	s_waitcnt lgkmcnt(0)
	flat_load_dword v0, v[8:9] glc
	s_waitcnt vmcnt(0) lgkmcnt(0)
	buffer_wbinvl1_vol
	v_cmp_eq_u32_e32 vcc, 0, v0
	s_and_b64 vcc, vcc, exec
	s_or_b64 s[34:35], s[34:35], vcc
	s_mov_b64 vcc, -1
	s_or_b64 s[30:31], s[30:31], exec
	s_and_saveexec_b64 s[36:37], s[34:35]
	s_cbranch_execz .LBB2_423
.LBB2_427:                              ;   in Loop: Header=BB2_424 Depth=4
	s_sleep 1
	s_trap 2
	ds_read_b64 v[8:9], v0
	s_waitcnt lgkmcnt(0)
	s_andn2_b64 s[30:31], s[30:31], exec
	v_cmp_ge_u64_e32 vcc, v[8:9], v[12:13]
	s_orn2_b64 vcc, vcc, exec
	s_branch .LBB2_423
.LBB2_428:                              ;   in Loop: Header=BB2_388 Depth=3
	s_or_b64 exec, exec, s[92:93]
	s_and_saveexec_b64 s[92:93], s[94:95]
	s_xor_b64 s[92:93], exec, s[92:93]
	s_cbranch_execz .LBB2_430
; %bb.429:                              ;   in Loop: Header=BB2_388 Depth=3
	ds_write_b32 v0, v18
	s_trap 2
.LBB2_430:                              ;   in Loop: Header=BB2_388 Depth=3
	s_or_b64 exec, exec, s[90:91]
	;;#ASMSTART
	s_wakeup
	;;#ASMEND
.LBB2_431:                              ;   in Loop: Header=BB2_388 Depth=3
	s_or_b64 exec, exec, s[88:89]
.LBB2_432:                              ;   in Loop: Header=BB2_388 Depth=3
	s_andn2_saveexec_b64 s[78:79], s[78:79]
	s_cbranch_execz .LBB2_434
; %bb.433:                              ;   in Loop: Header=BB2_388 Depth=3
	s_waitcnt vmcnt(0) lgkmcnt(0)
	buffer_wbinvl1_vol
	s_barrier
.LBB2_434:                              ;   in Loop: Header=BB2_388 Depth=3
	s_or_b64 exec, exec, s[78:79]
.LBB2_435:                              ;   in Loop: Header=BB2_388 Depth=3
	s_or_b64 exec, exec, s[28:29]
	s_trap 2
	ds_read_b32 v0, v0
	v_and_b32_e32 v3, 0x4000, v60
	v_cmp_ne_u32_e32 vcc, 0, v3
	s_xor_b64 s[28:29], s[6:7], -1
	s_and_b64 s[78:79], s[28:29], vcc
	s_and_saveexec_b64 s[28:29], s[78:79]
	s_cbranch_execz .LBB2_454
; %bb.436:                              ;   in Loop: Header=BB2_388 Depth=3
	s_and_saveexec_b64 s[78:79], s[56:57]
	s_xor_b64 s[78:79], exec, s[78:79]
	s_cbranch_execz .LBB2_451
; %bb.437:                              ;   in Loop: Header=BB2_388 Depth=3
	s_and_saveexec_b64 s[88:89], s[16:17]
	s_cbranch_execz .LBB2_450
; %bb.438:                              ;   in Loop: Header=BB2_388 Depth=3
	s_mov_b64 s[92:93], exec
	v_mbcnt_lo_u32_b32 v3, s92, 0
	v_mbcnt_hi_u32_b32 v3, s93, v3
	v_cmp_eq_u32_e32 vcc, 0, v3
	s_waitcnt vmcnt(0) lgkmcnt(0)
	buffer_wbinvl1_vol
	s_and_saveexec_b64 s[90:91], vcc
	s_cbranch_execz .LBB2_440
; %bb.439:                              ;   in Loop: Header=BB2_388 Depth=3
	s_bcnt1_i32_b64 s92, s[92:93]
	v_mov_b32_e32 v8, s92
	v_mov_b32_e32 v9, v2
	ds_add_u64 v0, v[8:9]
	s_trap 2
.LBB2_440:                              ;   in Loop: Header=BB2_388 Depth=3
	s_or_b64 exec, exec, s[90:91]
	s_trap 2
	ds_read_b64 v[8:9], v0
	s_waitcnt lgkmcnt(0)
	v_add_co_u32_e32 v12, vcc, v12, v62
	v_addc_co_u32_e32 v13, vcc, 0, v13, vcc
	v_cmp_lt_u64_e32 vcc, v[8:9], v[12:13]
	s_and_saveexec_b64 s[90:91], vcc
	s_cbranch_execz .LBB2_449
; %bb.441:                              ;   in Loop: Header=BB2_388 Depth=3
	s_mov_b32 s38, 0
	s_mov_b64 s[92:93], 0
                                        ; implicit-def: $sgpr94_sgpr95
                                        ; implicit-def: $sgpr30_sgpr31
	s_branch .LBB2_443
.LBB2_442:                              ;   in Loop: Header=BB2_443 Depth=4
	s_or_b64 exec, exec, s[36:37]
	s_and_b64 vcc, exec, vcc
	s_or_b64 s[92:93], vcc, s[92:93]
	s_andn2_b64 s[94:95], s[94:95], exec
	s_and_b64 vcc, s[30:31], exec
	s_or_b64 s[94:95], s[94:95], vcc
	s_andn2_b64 exec, exec, s[92:93]
	s_cbranch_execz .LBB2_447
.LBB2_443:                              ;   Parent Loop BB2_47 Depth=1
                                        ;     Parent Loop BB2_385 Depth=2
                                        ;       Parent Loop BB2_388 Depth=3
                                        ; =>      This Inner Loop Header: Depth=4
	s_add_i32 s38, s38, 1
	s_cmpk_lg_i32 s38, 0x2710
	s_cselect_b64 s[34:35], -1, 0
	s_and_b64 vcc, exec, s[34:35]
	s_cbranch_vccz .LBB2_445
; %bb.444:                              ;   in Loop: Header=BB2_443 Depth=4
	s_mov_b64 vcc, -1
	s_or_b64 s[30:31], s[30:31], exec
	s_and_saveexec_b64 s[36:37], s[34:35]
	s_cbranch_execz .LBB2_442
	s_branch .LBB2_446
.LBB2_445:                              ;   in Loop: Header=BB2_443 Depth=4
	s_trap 2
	ds_read_b64 v[8:9], v0
	s_andn2_b64 s[34:35], s[34:35], exec
	s_mov_b32 s38, 0
	s_waitcnt lgkmcnt(0)
	flat_load_dword v3, v[8:9] glc
	s_waitcnt vmcnt(0) lgkmcnt(0)
	buffer_wbinvl1_vol
	v_cmp_eq_u32_e32 vcc, 0, v3
	s_and_b64 vcc, vcc, exec
	s_or_b64 s[34:35], s[34:35], vcc
	s_mov_b64 vcc, -1
	s_or_b64 s[30:31], s[30:31], exec
	s_and_saveexec_b64 s[36:37], s[34:35]
	s_cbranch_execz .LBB2_442
.LBB2_446:                              ;   in Loop: Header=BB2_443 Depth=4
	s_sleep 1
	s_trap 2
	ds_read_b64 v[8:9], v0
	s_waitcnt lgkmcnt(0)
	s_andn2_b64 s[30:31], s[30:31], exec
	v_cmp_ge_u64_e32 vcc, v[8:9], v[12:13]
	s_orn2_b64 vcc, vcc, exec
	s_branch .LBB2_442
.LBB2_447:                              ;   in Loop: Header=BB2_388 Depth=3
	s_or_b64 exec, exec, s[92:93]
	s_and_saveexec_b64 s[92:93], s[94:95]
	s_xor_b64 s[92:93], exec, s[92:93]
	s_cbranch_execz .LBB2_449
; %bb.448:                              ;   in Loop: Header=BB2_388 Depth=3
	ds_write_b32 v0, v18
	s_trap 2
.LBB2_449:                              ;   in Loop: Header=BB2_388 Depth=3
	s_or_b64 exec, exec, s[90:91]
	;;#ASMSTART
	s_wakeup
	;;#ASMEND
.LBB2_450:                              ;   in Loop: Header=BB2_388 Depth=3
	s_or_b64 exec, exec, s[88:89]
.LBB2_451:                              ;   in Loop: Header=BB2_388 Depth=3
	s_andn2_saveexec_b64 s[78:79], s[78:79]
	s_cbranch_execz .LBB2_453
; %bb.452:                              ;   in Loop: Header=BB2_388 Depth=3
	s_waitcnt vmcnt(0) lgkmcnt(0)
	buffer_wbinvl1_vol
	s_barrier
.LBB2_453:                              ;   in Loop: Header=BB2_388 Depth=3
	s_or_b64 exec, exec, s[78:79]
.LBB2_454:                              ;   in Loop: Header=BB2_388 Depth=3
	s_or_b64 exec, exec, s[28:29]
	s_trap 2
	s_waitcnt lgkmcnt(0)
	ds_read_b64 v[44:45], v0
	s_waitcnt lgkmcnt(0)
	v_cmp_eq_u64_e32 vcc, 0, v[44:45]
	s_cbranch_vccnz .LBB2_462
; %bb.455:                              ;   in Loop: Header=BB2_388 Depth=3
	s_trap 2
	ds_read_b64 v[42:43], v0
	s_waitcnt lgkmcnt(0)
	v_cmp_eq_u64_e32 vcc, 0, v[42:43]
	s_cbranch_vccnz .LBB2_462
; %bb.456:                              ;   in Loop: Header=BB2_388 Depth=3
	s_mov_b64 s[28:29], -1
	s_and_saveexec_b64 s[78:79], s[22:23]
	s_cbranch_execz .LBB2_458
; %bb.457:                              ;   in Loop: Header=BB2_388 Depth=3
	ds_read_b32 v3, v0 offset:720
	s_waitcnt lgkmcnt(0)
	v_and_b32_e32 v3, 15, v3
	v_cmp_eq_u32_e32 vcc, 0, v3
	s_orn2_b64 s[28:29], vcc, exec
.LBB2_458:                              ;   in Loop: Header=BB2_388 Depth=3
	s_or_b64 exec, exec, s[78:79]
	s_and_saveexec_b64 s[78:79], s[20:21]
	s_cbranch_execz .LBB2_460
; %bb.459:                              ;   in Loop: Header=BB2_388 Depth=3
	ds_read_b32 v3, v0 offset:784
	s_waitcnt lgkmcnt(0)
	v_and_b32_e32 v3, 15, v3
	v_cmp_eq_u32_e32 vcc, 0, v3
	s_and_b64 s[88:89], s[28:29], vcc
	s_andn2_b64 s[28:29], s[28:29], exec
	s_and_b64 s[88:89], s[88:89], exec
	s_or_b64 s[28:29], s[28:29], s[88:89]
.LBB2_460:                              ;   in Loop: Header=BB2_388 Depth=3
	s_or_b64 exec, exec, s[78:79]
	v_cmp_eq_u32_e32 vcc, 0, v0
	s_xor_b64 s[28:29], s[28:29], -1
	v_cndmask_b32_e32 v3, 0, v52, vcc
	v_cndmask_b32_e64 v0, 0, 1, s[28:29]
	v_lshlrev_b32_e32 v49, 1, v3
	s_mov_b64 s[88:89], -1
	v_cmp_ne_u32_e32 vcc, 0, v0
	v_mov_b32_e32 v36, 0
	s_cbranch_vccz .LBB2_463
; %bb.461:                              ;   in Loop: Header=BB2_388 Depth=3
	s_waitcnt vmcnt(0)
	v_mov_b32_e32 v32, v56
	s_and_saveexec_b64 s[28:29], s[88:89]
	s_cbranch_execnz .LBB2_602
	s_branch .LBB2_650
.LBB2_462:                              ;   in Loop: Header=BB2_388 Depth=3
	s_mov_b64 s[28:29], 0
	s_and_saveexec_b64 s[78:79], s[10:11]
	s_cbranch_execnz .LBB2_651
	s_branch .LBB2_669
.LBB2_463:                              ;   in Loop: Header=BB2_388 Depth=3
	buffer_load_dword v0, off, s[0:3], s33 offset:104 ; 4-byte Folded Reload
	s_waitcnt vmcnt(0)
	v_sub_u32_e32 v14, v49, v0
	v_ashrrev_i32_e32 v0, 31, v49
	v_lshrrev_b32_e32 v0, 22, v0
	v_add_u32_e32 v0, v49, v0
	v_ashrrev_i32_e32 v8, 10, v0
	v_and_b32_e32 v15, 0xfffffc00, v0
	buffer_load_dword v0, off, s[0:3], s33 offset:108 ; 4-byte Folded Reload
	v_sub_u32_e32 v30, v49, v15
	v_cmp_lt_i32_e32 vcc, 15, v30
	s_waitcnt vmcnt(0)
	v_sub_u32_e32 v0, v8, v0
	v_addc_co_u32_e64 v19, s[28:29], 0, v0, vcc
	v_cmp_lt_i32_e64 s[28:29], 15, v14
	s_and_saveexec_b64 s[78:79], s[28:29]
	s_cbranch_execz .LBB2_531
; %bb.464:                              ;   in Loop: Header=BB2_388 Depth=3
	s_trap 2
	buffer_load_dword v10, off, s[0:3], s33 offset:104 ; 4-byte Folded Reload
	ds_read_b64 v[8:9], v0
	ds_read_b32 v0, v0
	s_mov_b64 s[88:89], 0
	s_waitcnt lgkmcnt(0)
	v_lshlrev_b32_e32 v32, 16, v0
	s_waitcnt vmcnt(0)
	v_add_co_u32_e64 v46, s[28:29], v44, v10
	v_addc_co_u32_e64 v47, s[28:29], 0, v45, s[28:29]
	v_add_co_u32_e64 v55, s[28:29], v8, v10
	v_addc_co_u32_e64 v56, s[28:29], 0, v9, s[28:29]
	;; [unrolled: 2-line block ×3, first 2 shown]
	s_branch .LBB2_466
.LBB2_465:                              ;   in Loop: Header=BB2_466 Depth=4
	s_or_b64 exec, exec, s[90:91]
	v_lshrrev_b32_e32 v16, 16, v16
	v_and_or_b32 v23, v0, s64, v16
	v_lshrrev_b32_e32 v0, 16, v37
	v_add_co_u32_e64 v46, s[28:29], v46, v4
	v_and_or_b32 v22, v8, s64, v0
	v_lshrrev_b32_e32 v0, 16, v9
	v_addc_co_u32_e64 v47, s[28:29], 0, v47, s[28:29]
	v_and_or_b32 v24, v10, s64, v0
	v_lshrrev_b32_e32 v0, 16, v17
	v_add_co_u32_e64 v55, s[28:29], v55, v4
	v_and_or_b32 v25, v11, s64, v0
	v_addc_co_u32_e64 v56, s[28:29], 0, v56, s[28:29]
	global_store_dwordx4 v[57:58], v[22:25], off glc slc
	v_add_co_u32_e64 v57, s[28:29], v57, v4
	v_addc_co_u32_e64 v58, s[28:29], 0, v58, s[28:29]
	v_sub_u32_e32 v14, v14, v4
	v_cmp_gt_i32_e64 s[28:29], 16, v14
	s_or_b64 s[88:89], s[28:29], s[88:89]
	v_sub_u32_e32 v19, v19, v62
	s_andn2_b64 exec, exec, s[88:89]
	s_cbranch_execz .LBB2_530
.LBB2_466:                              ;   Parent Loop BB2_47 Depth=1
                                        ;     Parent Loop BB2_385 Depth=2
                                        ;       Parent Loop BB2_388 Depth=3
                                        ; =>      This Inner Loop Header: Depth=4
	global_load_dwordx4 v[8:11], v[46:47], off glc slc
                                        ; implicit-def: $vgpr17
	s_waitcnt vmcnt(0)
	v_lshlrev_b32_e32 v0, 16, v8
	v_mul_f32_e32 v0, v32, v0
	v_and_b32_e32 v16, 0x7f800000, v0
	v_cmp_ne_u32_e64 s[28:29], s54, v16
	s_and_saveexec_b64 s[90:91], s[28:29]
	s_xor_b64 s[28:29], exec, s[90:91]
; %bb.467:                              ;   in Loop: Header=BB2_466 Depth=4
	v_bfe_u32 v16, v0, 16, 1
	v_add3_u32 v17, v0, v16, s55
                                        ; implicit-def: $vgpr0
; %bb.468:                              ;   in Loop: Header=BB2_466 Depth=4
	s_andn2_saveexec_b64 s[90:91], s[28:29]
; %bb.469:                              ;   in Loop: Header=BB2_466 Depth=4
	v_or_b32_e32 v16, 0x10000, v0
	v_cmp_eq_u32_sdwa s[28:29], v0, v2 src0_sel:WORD_0 src1_sel:DWORD
	v_cndmask_b32_e64 v17, v16, v0, s[28:29]
; %bb.470:                              ;   in Loop: Header=BB2_466 Depth=4
	s_or_b64 exec, exec, s[90:91]
	v_and_b32_e32 v0, 0xffff0000, v8
	v_mul_f32_e32 v0, v32, v0
	v_and_b32_e32 v8, 0x7f800000, v0
	v_cmp_ne_u32_e64 s[28:29], s54, v8
                                        ; implicit-def: $vgpr16
	s_and_saveexec_b64 s[90:91], s[28:29]
	s_xor_b64 s[28:29], exec, s[90:91]
; %bb.471:                              ;   in Loop: Header=BB2_466 Depth=4
	v_bfe_u32 v8, v0, 16, 1
	v_add3_u32 v16, v0, v8, s55
                                        ; implicit-def: $vgpr0
; %bb.472:                              ;   in Loop: Header=BB2_466 Depth=4
	s_andn2_saveexec_b64 s[90:91], s[28:29]
; %bb.473:                              ;   in Loop: Header=BB2_466 Depth=4
	v_or_b32_e32 v8, 0x10000, v0
	v_cmp_eq_u32_sdwa s[28:29], v0, v2 src0_sel:WORD_0 src1_sel:DWORD
	v_cndmask_b32_e64 v16, v8, v0, s[28:29]
; %bb.474:                              ;   in Loop: Header=BB2_466 Depth=4
	s_or_b64 exec, exec, s[90:91]
	v_lshlrev_b32_e32 v0, 16, v9
	v_mul_f32_e32 v0, v32, v0
	v_and_b32_e32 v8, 0x7f800000, v0
	v_cmp_ne_u32_e64 s[28:29], s54, v8
                                        ; implicit-def: $vgpr28
	s_and_saveexec_b64 s[90:91], s[28:29]
	s_xor_b64 s[28:29], exec, s[90:91]
; %bb.475:                              ;   in Loop: Header=BB2_466 Depth=4
	v_bfe_u32 v8, v0, 16, 1
	v_add3_u32 v28, v0, v8, s55
                                        ; implicit-def: $vgpr0
; %bb.476:                              ;   in Loop: Header=BB2_466 Depth=4
	s_andn2_saveexec_b64 s[90:91], s[28:29]
; %bb.477:                              ;   in Loop: Header=BB2_466 Depth=4
	v_or_b32_e32 v8, 0x10000, v0
	v_cmp_eq_u32_sdwa s[28:29], v0, v2 src0_sel:WORD_0 src1_sel:DWORD
	v_cndmask_b32_e64 v28, v8, v0, s[28:29]
; %bb.478:                              ;   in Loop: Header=BB2_466 Depth=4
	s_or_b64 exec, exec, s[90:91]
	v_and_b32_e32 v0, 0xffff0000, v9
	v_mul_f32_e32 v8, v32, v0
	v_and_b32_e32 v0, 0x7f800000, v8
	v_cmp_ne_u32_e64 s[28:29], s54, v0
                                        ; implicit-def: $vgpr0
	s_and_saveexec_b64 s[90:91], s[28:29]
	s_xor_b64 s[28:29], exec, s[90:91]
; %bb.479:                              ;   in Loop: Header=BB2_466 Depth=4
	v_bfe_u32 v0, v8, 16, 1
	v_add3_u32 v0, v8, v0, s55
                                        ; implicit-def: $vgpr8
; %bb.480:                              ;   in Loop: Header=BB2_466 Depth=4
	s_andn2_saveexec_b64 s[90:91], s[28:29]
; %bb.481:                              ;   in Loop: Header=BB2_466 Depth=4
	v_or_b32_e32 v0, 0x10000, v8
	v_cmp_eq_u32_sdwa s[28:29], v8, v2 src0_sel:WORD_0 src1_sel:DWORD
	v_cndmask_b32_e64 v0, v0, v8, s[28:29]
; %bb.482:                              ;   in Loop: Header=BB2_466 Depth=4
	s_or_b64 exec, exec, s[90:91]
	v_lshlrev_b32_e32 v8, 16, v10
	v_mul_f32_e32 v8, v32, v8
	v_and_b32_e32 v9, 0x7f800000, v8
	v_cmp_ne_u32_e64 s[28:29], s54, v9
                                        ; implicit-def: $vgpr33
	s_and_saveexec_b64 s[90:91], s[28:29]
	s_xor_b64 s[28:29], exec, s[90:91]
; %bb.483:                              ;   in Loop: Header=BB2_466 Depth=4
	v_bfe_u32 v9, v8, 16, 1
	v_add3_u32 v33, v8, v9, s55
                                        ; implicit-def: $vgpr8
; %bb.484:                              ;   in Loop: Header=BB2_466 Depth=4
	s_andn2_saveexec_b64 s[90:91], s[28:29]
; %bb.485:                              ;   in Loop: Header=BB2_466 Depth=4
	v_or_b32_e32 v9, 0x10000, v8
	v_cmp_eq_u32_sdwa s[28:29], v8, v2 src0_sel:WORD_0 src1_sel:DWORD
	v_cndmask_b32_e64 v33, v9, v8, s[28:29]
; %bb.486:                              ;   in Loop: Header=BB2_466 Depth=4
	s_or_b64 exec, exec, s[90:91]
	v_and_b32_e32 v8, 0xffff0000, v10
	v_mul_f32_e32 v8, v32, v8
	v_and_b32_e32 v9, 0x7f800000, v8
	v_cmp_ne_u32_e64 s[28:29], s54, v9
                                        ; implicit-def: $vgpr51
	s_and_saveexec_b64 s[90:91], s[28:29]
	s_xor_b64 s[28:29], exec, s[90:91]
; %bb.487:                              ;   in Loop: Header=BB2_466 Depth=4
	v_bfe_u32 v9, v8, 16, 1
	v_add3_u32 v51, v8, v9, s55
                                        ; implicit-def: $vgpr8
; %bb.488:                              ;   in Loop: Header=BB2_466 Depth=4
	s_andn2_saveexec_b64 s[90:91], s[28:29]
; %bb.489:                              ;   in Loop: Header=BB2_466 Depth=4
	v_or_b32_e32 v9, 0x10000, v8
	v_cmp_eq_u32_sdwa s[28:29], v8, v2 src0_sel:WORD_0 src1_sel:DWORD
	v_cndmask_b32_e64 v51, v9, v8, s[28:29]
; %bb.490:                              ;   in Loop: Header=BB2_466 Depth=4
	s_or_b64 exec, exec, s[90:91]
	v_lshlrev_b32_e32 v8, 16, v11
	v_mul_f32_e32 v8, v32, v8
	v_and_b32_e32 v9, 0x7f800000, v8
	v_cmp_ne_u32_e64 s[28:29], s54, v9
                                        ; implicit-def: $vgpr50
	s_and_saveexec_b64 s[90:91], s[28:29]
	s_xor_b64 s[28:29], exec, s[90:91]
; %bb.491:                              ;   in Loop: Header=BB2_466 Depth=4
	v_bfe_u32 v9, v8, 16, 1
	v_add3_u32 v50, v8, v9, s55
                                        ; implicit-def: $vgpr8
; %bb.492:                              ;   in Loop: Header=BB2_466 Depth=4
	s_andn2_saveexec_b64 s[90:91], s[28:29]
; %bb.493:                              ;   in Loop: Header=BB2_466 Depth=4
	v_or_b32_e32 v9, 0x10000, v8
	v_cmp_eq_u32_sdwa s[28:29], v8, v2 src0_sel:WORD_0 src1_sel:DWORD
	v_cndmask_b32_e64 v50, v9, v8, s[28:29]
; %bb.494:                              ;   in Loop: Header=BB2_466 Depth=4
	s_or_b64 exec, exec, s[90:91]
	v_and_b32_e32 v8, 0xffff0000, v11
	v_mul_f32_e32 v8, v32, v8
	v_and_b32_e32 v9, 0x7f800000, v8
	v_cmp_ne_u32_e64 s[28:29], s54, v9
                                        ; implicit-def: $vgpr36
	s_and_saveexec_b64 s[90:91], s[28:29]
	s_xor_b64 s[28:29], exec, s[90:91]
; %bb.495:                              ;   in Loop: Header=BB2_466 Depth=4
	v_bfe_u32 v9, v8, 16, 1
	v_add3_u32 v36, v8, v9, s55
                                        ; implicit-def: $vgpr8
; %bb.496:                              ;   in Loop: Header=BB2_466 Depth=4
	s_andn2_saveexec_b64 s[90:91], s[28:29]
; %bb.497:                              ;   in Loop: Header=BB2_466 Depth=4
	v_or_b32_e32 v9, 0x10000, v8
	v_cmp_eq_u32_sdwa s[28:29], v8, v2 src0_sel:WORD_0 src1_sel:DWORD
	v_cndmask_b32_e64 v36, v9, v8, s[28:29]
; %bb.498:                              ;   in Loop: Header=BB2_466 Depth=4
	s_or_b64 exec, exec, s[90:91]
	global_load_dwordx4 v[8:11], v[55:56], off glc slc
	v_and_b32_e32 v17, 0xffff0000, v17
                                        ; implicit-def: $vgpr37
	s_waitcnt vmcnt(0)
	v_lshlrev_b32_e32 v22, 16, v8
	v_add_f32_e32 v17, v17, v22
	v_and_b32_e32 v22, 0x7f800000, v17
	v_cmp_ne_u32_e64 s[28:29], s54, v22
	s_and_saveexec_b64 s[90:91], s[28:29]
	s_xor_b64 s[28:29], exec, s[90:91]
; %bb.499:                              ;   in Loop: Header=BB2_466 Depth=4
	v_bfe_u32 v22, v17, 16, 1
	v_add3_u32 v37, v17, v22, s55
                                        ; implicit-def: $vgpr17
; %bb.500:                              ;   in Loop: Header=BB2_466 Depth=4
	s_andn2_saveexec_b64 s[90:91], s[28:29]
; %bb.501:                              ;   in Loop: Header=BB2_466 Depth=4
	v_or_b32_e32 v22, 0x10000, v17
	v_cmp_eq_u32_sdwa s[28:29], v17, v2 src0_sel:WORD_0 src1_sel:DWORD
	v_cndmask_b32_e64 v37, v22, v17, s[28:29]
; %bb.502:                              ;   in Loop: Header=BB2_466 Depth=4
	s_or_b64 exec, exec, s[90:91]
	v_and_b32_e32 v16, 0xffff0000, v16
	v_and_b32_e32 v8, 0xffff0000, v8
	v_add_f32_e32 v16, v16, v8
	v_and_b32_e32 v8, 0x7f800000, v16
	v_cmp_ne_u32_e64 s[28:29], s54, v8
                                        ; implicit-def: $vgpr8
	s_and_saveexec_b64 s[90:91], s[28:29]
	s_xor_b64 s[28:29], exec, s[90:91]
; %bb.503:                              ;   in Loop: Header=BB2_466 Depth=4
	v_bfe_u32 v8, v16, 16, 1
	v_add3_u32 v8, v16, v8, s55
                                        ; implicit-def: $vgpr16
; %bb.504:                              ;   in Loop: Header=BB2_466 Depth=4
	s_andn2_saveexec_b64 s[90:91], s[28:29]
; %bb.505:                              ;   in Loop: Header=BB2_466 Depth=4
	v_or_b32_e32 v8, 0x10000, v16
	v_cmp_eq_u32_sdwa s[28:29], v16, v2 src0_sel:WORD_0 src1_sel:DWORD
	v_cndmask_b32_e64 v8, v8, v16, s[28:29]
; %bb.506:                              ;   in Loop: Header=BB2_466 Depth=4
	s_or_b64 exec, exec, s[90:91]
	v_and_b32_e32 v16, 0xffff0000, v28
	v_lshlrev_b32_e32 v17, 16, v9
	v_add_f32_e32 v17, v16, v17
	v_and_b32_e32 v16, 0x7f800000, v17
	v_cmp_ne_u32_e64 s[28:29], s54, v16
                                        ; implicit-def: $vgpr16
	s_and_saveexec_b64 s[90:91], s[28:29]
	s_xor_b64 s[28:29], exec, s[90:91]
; %bb.507:                              ;   in Loop: Header=BB2_466 Depth=4
	v_bfe_u32 v16, v17, 16, 1
	v_add3_u32 v16, v17, v16, s55
                                        ; implicit-def: $vgpr17
; %bb.508:                              ;   in Loop: Header=BB2_466 Depth=4
	s_andn2_saveexec_b64 s[90:91], s[28:29]
; %bb.509:                              ;   in Loop: Header=BB2_466 Depth=4
	v_or_b32_e32 v16, 0x10000, v17
	v_cmp_eq_u32_sdwa s[28:29], v17, v2 src0_sel:WORD_0 src1_sel:DWORD
	v_cndmask_b32_e64 v16, v16, v17, s[28:29]
; %bb.510:                              ;   in Loop: Header=BB2_466 Depth=4
	s_or_b64 exec, exec, s[90:91]
	v_and_b32_e32 v0, 0xffff0000, v0
	v_and_b32_e32 v9, 0xffff0000, v9
	v_add_f32_e32 v9, v0, v9
	v_and_b32_e32 v0, 0x7f800000, v9
	v_cmp_ne_u32_e64 s[28:29], s54, v0
                                        ; implicit-def: $vgpr0
	s_and_saveexec_b64 s[90:91], s[28:29]
	s_xor_b64 s[28:29], exec, s[90:91]
; %bb.511:                              ;   in Loop: Header=BB2_466 Depth=4
	v_bfe_u32 v0, v9, 16, 1
	v_add3_u32 v0, v9, v0, s55
                                        ; implicit-def: $vgpr9
; %bb.512:                              ;   in Loop: Header=BB2_466 Depth=4
	s_andn2_saveexec_b64 s[90:91], s[28:29]
; %bb.513:                              ;   in Loop: Header=BB2_466 Depth=4
	v_or_b32_e32 v0, 0x10000, v9
	v_cmp_eq_u32_sdwa s[28:29], v9, v2 src0_sel:WORD_0 src1_sel:DWORD
	v_cndmask_b32_e64 v0, v0, v9, s[28:29]
; %bb.514:                              ;   in Loop: Header=BB2_466 Depth=4
	s_or_b64 exec, exec, s[90:91]
	v_and_b32_e32 v9, 0xffff0000, v33
	v_lshlrev_b32_e32 v17, 16, v10
	v_add_f32_e32 v17, v9, v17
	v_and_b32_e32 v9, 0x7f800000, v17
	v_cmp_ne_u32_e64 s[28:29], s54, v9
                                        ; implicit-def: $vgpr9
	s_and_saveexec_b64 s[90:91], s[28:29]
	s_xor_b64 s[28:29], exec, s[90:91]
; %bb.515:                              ;   in Loop: Header=BB2_466 Depth=4
	v_bfe_u32 v9, v17, 16, 1
	v_add3_u32 v9, v17, v9, s55
                                        ; implicit-def: $vgpr17
; %bb.516:                              ;   in Loop: Header=BB2_466 Depth=4
	s_andn2_saveexec_b64 s[90:91], s[28:29]
; %bb.517:                              ;   in Loop: Header=BB2_466 Depth=4
	v_or_b32_e32 v9, 0x10000, v17
	v_cmp_eq_u32_sdwa s[28:29], v17, v2 src0_sel:WORD_0 src1_sel:DWORD
	v_cndmask_b32_e64 v9, v9, v17, s[28:29]
; %bb.518:                              ;   in Loop: Header=BB2_466 Depth=4
	s_or_b64 exec, exec, s[90:91]
	v_and_b32_e32 v17, 0xffff0000, v51
	v_and_b32_e32 v10, 0xffff0000, v10
	v_add_f32_e32 v17, v17, v10
	v_and_b32_e32 v10, 0x7f800000, v17
	v_cmp_ne_u32_e64 s[28:29], s54, v10
                                        ; implicit-def: $vgpr10
	s_and_saveexec_b64 s[90:91], s[28:29]
	s_xor_b64 s[28:29], exec, s[90:91]
; %bb.519:                              ;   in Loop: Header=BB2_466 Depth=4
	v_bfe_u32 v10, v17, 16, 1
	v_add3_u32 v10, v17, v10, s55
                                        ; implicit-def: $vgpr17
; %bb.520:                              ;   in Loop: Header=BB2_466 Depth=4
	s_andn2_saveexec_b64 s[90:91], s[28:29]
; %bb.521:                              ;   in Loop: Header=BB2_466 Depth=4
	v_or_b32_e32 v10, 0x10000, v17
	v_cmp_eq_u32_sdwa s[28:29], v17, v2 src0_sel:WORD_0 src1_sel:DWORD
	v_cndmask_b32_e64 v10, v10, v17, s[28:29]
; %bb.522:                              ;   in Loop: Header=BB2_466 Depth=4
	s_or_b64 exec, exec, s[90:91]
	v_and_b32_e32 v17, 0xffff0000, v50
	v_lshlrev_b32_e32 v22, 16, v11
	v_add_f32_e32 v28, v17, v22
	v_and_b32_e32 v17, 0x7f800000, v28
	v_cmp_ne_u32_e64 s[28:29], s54, v17
                                        ; implicit-def: $vgpr17
	s_and_saveexec_b64 s[90:91], s[28:29]
	s_xor_b64 s[28:29], exec, s[90:91]
; %bb.523:                              ;   in Loop: Header=BB2_466 Depth=4
	v_bfe_u32 v17, v28, 16, 1
	v_add3_u32 v17, v28, v17, s55
                                        ; implicit-def: $vgpr28
; %bb.524:                              ;   in Loop: Header=BB2_466 Depth=4
	s_andn2_saveexec_b64 s[90:91], s[28:29]
; %bb.525:                              ;   in Loop: Header=BB2_466 Depth=4
	v_or_b32_e32 v17, 0x10000, v28
	v_cmp_eq_u32_sdwa s[28:29], v28, v2 src0_sel:WORD_0 src1_sel:DWORD
	v_cndmask_b32_e64 v17, v17, v28, s[28:29]
; %bb.526:                              ;   in Loop: Header=BB2_466 Depth=4
	s_or_b64 exec, exec, s[90:91]
	v_and_b32_e32 v22, 0xffff0000, v36
	v_and_b32_e32 v11, 0xffff0000, v11
	v_add_f32_e32 v28, v22, v11
	v_and_b32_e32 v11, 0x7f800000, v28
	v_cmp_ne_u32_e64 s[28:29], s54, v11
                                        ; implicit-def: $vgpr11
	s_and_saveexec_b64 s[90:91], s[28:29]
	s_xor_b64 s[28:29], exec, s[90:91]
; %bb.527:                              ;   in Loop: Header=BB2_466 Depth=4
	v_bfe_u32 v11, v28, 16, 1
	v_add3_u32 v11, v28, v11, s55
                                        ; implicit-def: $vgpr28
; %bb.528:                              ;   in Loop: Header=BB2_466 Depth=4
	s_andn2_saveexec_b64 s[90:91], s[28:29]
	s_cbranch_execz .LBB2_465
; %bb.529:                              ;   in Loop: Header=BB2_466 Depth=4
	v_or_b32_e32 v11, 0x10000, v28
	v_cmp_eq_u32_sdwa s[28:29], v28, v2 src0_sel:WORD_0 src1_sel:DWORD
	v_cndmask_b32_e64 v11, v11, v28, s[28:29]
	s_branch .LBB2_465
.LBB2_530:                              ;   in Loop: Header=BB2_388 Depth=3
	s_or_b64 exec, exec, s[88:89]
	buffer_load_dword v56, off, s[0:3], s33 offset:112 ; 4-byte Folded Reload
	buffer_load_dword v46, off, s[0:3], s33 offset:88 ; 4-byte Folded Reload
	;; [unrolled: 1-line block ×3, first 2 shown]
.LBB2_531:                              ;   in Loop: Header=BB2_388 Depth=3
	s_or_b64 exec, exec, s[78:79]
	v_and_b32_e32 v0, 14, v49
	v_cndmask_b32_e32 v14, v30, v0, vcc
	v_mov_b32_e32 v36, 0
	v_cmp_ne_u32_e64 s[28:29], 0, v14
	s_mov_b64 s[88:89], 0
                                        ; implicit-def: $vgpr49
                                        ; implicit-def: $vgpr32
	s_and_saveexec_b64 s[78:79], s[28:29]
	s_cbranch_execz .LBB2_601
; %bb.532:                              ;   in Loop: Header=BB2_388 Depth=3
	buffer_load_dword v8, off, s[0:3], s33 offset:116 ; 4-byte Folded Reload
	v_sub_u32_e32 v0, v30, v0
	v_cndmask_b32_e32 v0, 0, v0, vcc
	v_cmp_lt_i32_e32 vcc, 0, v19
	v_add_u32_e32 v15, v0, v15
	v_cndmask_b32_e32 v0, 0, v62, vcc
	v_sub_u32_e32 v0, v0, v19
	s_waitcnt vmcnt(0)
	v_lshl_or_b32 v0, v0, 6, v8
	v_ashrrev_i32_e32 v8, 31, v0
	v_lshrrev_b32_e32 v8, 26, v8
	v_add_u32_e32 v8, v0, v8
	v_ashrrev_i32_e32 v9, 6, v8
	v_and_b32_e32 v8, 0xffffffc0, v8
	v_sub_u32_e32 v19, v0, v8
	v_ashrrev_i32_e32 v8, 31, v14
	v_lshrrev_b32_e32 v8, 22, v8
	v_add_u32_e32 v8, v14, v8
	v_and_b32_e32 v30, 0xfffffc00, v8
	v_lshlrev_b32_e32 v0, 4, v19
	v_sub_u32_e32 v32, v14, v30
	v_lshl_add_u32 v0, v9, 10, v0
	v_ashrrev_i32_e32 v10, 10, v8
	v_cmp_lt_i32_e32 vcc, 15, v32
	v_sub_u32_e32 v49, v14, v0
	v_addc_co_u32_e64 v8, s[28:29], 0, v10, vcc
	v_sub_u32_e32 v53, v8, v9
	v_cmp_lt_i32_e64 s[28:29], 15, v49
	s_and_saveexec_b64 s[88:89], s[28:29]
	s_cbranch_execz .LBB2_600
; %bb.533:                              ;   in Loop: Header=BB2_388 Depth=3
	v_add_u32_e32 v0, v0, v15
	s_trap 2
	ds_read_b64 v[8:9], v0
	ds_read_b32 v11, v0
	v_ashrrev_i32_e32 v10, 31, v0
	v_add_co_u32_e64 v46, s[28:29], v0, v44
	v_addc_co_u32_e64 v47, s[28:29], v10, v45, s[28:29]
	s_waitcnt lgkmcnt(1)
	v_add_co_u32_e64 v55, s[28:29], v8, v0
	v_addc_co_u32_e64 v56, s[28:29], v9, v10, s[28:29]
	v_add_co_u32_e64 v57, s[28:29], v0, v42
	v_addc_co_u32_e64 v58, s[28:29], v10, v43, s[28:29]
	s_waitcnt lgkmcnt(0)
	v_lshlrev_b32_e32 v36, 16, v11
	s_mov_b64 s[90:91], 0
	s_branch .LBB2_535
.LBB2_534:                              ;   in Loop: Header=BB2_535 Depth=4
	s_or_b64 exec, exec, s[92:93]
	v_add_co_u32_e64 v46, s[28:29], v46, v4
	v_lshrrev_b32_e32 v16, 16, v16
	v_lshrrev_b32_e32 v0, 16, v0
	v_addc_co_u32_e64 v47, s[28:29], 0, v47, s[28:29]
	v_and_or_b32 v9, v9, s64, v16
	v_lshrrev_b32_e32 v16, 16, v50
	v_and_or_b32 v10, v10, s64, v0
	v_lshrrev_b32_e32 v0, 16, v17
	v_add_co_u32_e64 v55, s[28:29], v55, v4
	v_and_or_b32 v8, v8, s64, v16
	v_and_or_b32 v11, v11, s64, v0
	v_addc_co_u32_e64 v56, s[28:29], 0, v56, s[28:29]
	global_store_dwordx4 v[57:58], v[8:11], off glc slc
	v_add_co_u32_e64 v57, s[28:29], v57, v4
	v_addc_co_u32_e64 v58, s[28:29], 0, v58, s[28:29]
	v_sub_u32_e32 v49, v49, v4
	v_cmp_gt_i32_e64 s[28:29], 16, v49
	s_or_b64 s[90:91], s[28:29], s[90:91]
	v_sub_u32_e32 v53, v53, v62
	s_andn2_b64 exec, exec, s[90:91]
	s_cbranch_execz .LBB2_599
.LBB2_535:                              ;   Parent Loop BB2_47 Depth=1
                                        ;     Parent Loop BB2_385 Depth=2
                                        ;       Parent Loop BB2_388 Depth=3
                                        ; =>      This Inner Loop Header: Depth=4
	global_load_dwordx4 v[8:11], v[46:47], off glc slc
                                        ; implicit-def: $vgpr50
	s_waitcnt vmcnt(0)
	v_lshlrev_b32_e32 v0, 16, v8
	v_mul_f32_e32 v0, v36, v0
	v_and_b32_e32 v16, 0x7f800000, v0
	v_cmp_ne_u32_e64 s[28:29], s54, v16
	s_and_saveexec_b64 s[92:93], s[28:29]
	s_xor_b64 s[28:29], exec, s[92:93]
; %bb.536:                              ;   in Loop: Header=BB2_535 Depth=4
	v_bfe_u32 v16, v0, 16, 1
	v_add3_u32 v50, v0, v16, s55
                                        ; implicit-def: $vgpr0
; %bb.537:                              ;   in Loop: Header=BB2_535 Depth=4
	s_andn2_saveexec_b64 s[92:93], s[28:29]
; %bb.538:                              ;   in Loop: Header=BB2_535 Depth=4
	v_or_b32_e32 v16, 0x10000, v0
	v_cmp_eq_u32_sdwa s[28:29], v0, v2 src0_sel:WORD_0 src1_sel:DWORD
	v_cndmask_b32_e64 v50, v16, v0, s[28:29]
; %bb.539:                              ;   in Loop: Header=BB2_535 Depth=4
	s_or_b64 exec, exec, s[92:93]
	v_and_b32_e32 v0, 0xffff0000, v8
	v_mul_f32_e32 v0, v36, v0
	v_and_b32_e32 v8, 0x7f800000, v0
	v_cmp_ne_u32_e64 s[28:29], s54, v8
                                        ; implicit-def: $vgpr17
	s_and_saveexec_b64 s[92:93], s[28:29]
	s_xor_b64 s[28:29], exec, s[92:93]
; %bb.540:                              ;   in Loop: Header=BB2_535 Depth=4
	v_bfe_u32 v8, v0, 16, 1
	v_add3_u32 v17, v0, v8, s55
                                        ; implicit-def: $vgpr0
; %bb.541:                              ;   in Loop: Header=BB2_535 Depth=4
	s_andn2_saveexec_b64 s[92:93], s[28:29]
; %bb.542:                              ;   in Loop: Header=BB2_535 Depth=4
	v_or_b32_e32 v8, 0x10000, v0
	v_cmp_eq_u32_sdwa s[28:29], v0, v2 src0_sel:WORD_0 src1_sel:DWORD
	v_cndmask_b32_e64 v17, v8, v0, s[28:29]
; %bb.543:                              ;   in Loop: Header=BB2_535 Depth=4
	s_or_b64 exec, exec, s[92:93]
	v_lshlrev_b32_e32 v0, 16, v9
	v_mul_f32_e32 v0, v36, v0
	v_and_b32_e32 v8, 0x7f800000, v0
	v_cmp_ne_u32_e64 s[28:29], s54, v8
                                        ; implicit-def: $vgpr16
	s_and_saveexec_b64 s[92:93], s[28:29]
	s_xor_b64 s[28:29], exec, s[92:93]
; %bb.544:                              ;   in Loop: Header=BB2_535 Depth=4
	v_bfe_u32 v8, v0, 16, 1
	v_add3_u32 v16, v0, v8, s55
                                        ; implicit-def: $vgpr0
; %bb.545:                              ;   in Loop: Header=BB2_535 Depth=4
	s_andn2_saveexec_b64 s[92:93], s[28:29]
; %bb.546:                              ;   in Loop: Header=BB2_535 Depth=4
	v_or_b32_e32 v8, 0x10000, v0
	v_cmp_eq_u32_sdwa s[28:29], v0, v2 src0_sel:WORD_0 src1_sel:DWORD
	v_cndmask_b32_e64 v16, v8, v0, s[28:29]
; %bb.547:                              ;   in Loop: Header=BB2_535 Depth=4
	s_or_b64 exec, exec, s[92:93]
	v_and_b32_e32 v0, 0xffff0000, v9
	v_mul_f32_e32 v0, v36, v0
	v_and_b32_e32 v8, 0x7f800000, v0
	v_cmp_ne_u32_e64 s[28:29], s54, v8
                                        ; implicit-def: $vgpr28
	s_and_saveexec_b64 s[92:93], s[28:29]
	s_xor_b64 s[28:29], exec, s[92:93]
; %bb.548:                              ;   in Loop: Header=BB2_535 Depth=4
	v_bfe_u32 v8, v0, 16, 1
	v_add3_u32 v28, v0, v8, s55
                                        ; implicit-def: $vgpr0
; %bb.549:                              ;   in Loop: Header=BB2_535 Depth=4
	s_andn2_saveexec_b64 s[92:93], s[28:29]
; %bb.550:                              ;   in Loop: Header=BB2_535 Depth=4
	v_or_b32_e32 v8, 0x10000, v0
	v_cmp_eq_u32_sdwa s[28:29], v0, v2 src0_sel:WORD_0 src1_sel:DWORD
	v_cndmask_b32_e64 v28, v8, v0, s[28:29]
; %bb.551:                              ;   in Loop: Header=BB2_535 Depth=4
	s_or_b64 exec, exec, s[92:93]
	v_lshlrev_b32_e32 v0, 16, v10
	v_mul_f32_e32 v8, v36, v0
	v_and_b32_e32 v0, 0x7f800000, v8
	v_cmp_ne_u32_e64 s[28:29], s54, v0
                                        ; implicit-def: $vgpr0
	s_and_saveexec_b64 s[92:93], s[28:29]
	s_xor_b64 s[28:29], exec, s[92:93]
; %bb.552:                              ;   in Loop: Header=BB2_535 Depth=4
	v_bfe_u32 v0, v8, 16, 1
	v_add3_u32 v0, v8, v0, s55
                                        ; implicit-def: $vgpr8
; %bb.553:                              ;   in Loop: Header=BB2_535 Depth=4
	s_andn2_saveexec_b64 s[92:93], s[28:29]
; %bb.554:                              ;   in Loop: Header=BB2_535 Depth=4
	v_or_b32_e32 v0, 0x10000, v8
	v_cmp_eq_u32_sdwa s[28:29], v8, v2 src0_sel:WORD_0 src1_sel:DWORD
	v_cndmask_b32_e64 v0, v0, v8, s[28:29]
; %bb.555:                              ;   in Loop: Header=BB2_535 Depth=4
	s_or_b64 exec, exec, s[92:93]
	v_and_b32_e32 v8, 0xffff0000, v10
	v_mul_f32_e32 v8, v36, v8
	v_and_b32_e32 v9, 0x7f800000, v8
	v_cmp_ne_u32_e64 s[28:29], s54, v9
                                        ; implicit-def: $vgpr33
	s_and_saveexec_b64 s[92:93], s[28:29]
	s_xor_b64 s[28:29], exec, s[92:93]
; %bb.556:                              ;   in Loop: Header=BB2_535 Depth=4
	v_bfe_u32 v9, v8, 16, 1
	v_add3_u32 v33, v8, v9, s55
                                        ; implicit-def: $vgpr8
; %bb.557:                              ;   in Loop: Header=BB2_535 Depth=4
	s_andn2_saveexec_b64 s[92:93], s[28:29]
; %bb.558:                              ;   in Loop: Header=BB2_535 Depth=4
	v_or_b32_e32 v9, 0x10000, v8
	v_cmp_eq_u32_sdwa s[28:29], v8, v2 src0_sel:WORD_0 src1_sel:DWORD
	v_cndmask_b32_e64 v33, v9, v8, s[28:29]
; %bb.559:                              ;   in Loop: Header=BB2_535 Depth=4
	s_or_b64 exec, exec, s[92:93]
	v_lshlrev_b32_e32 v8, 16, v11
	v_mul_f32_e32 v8, v36, v8
	v_and_b32_e32 v9, 0x7f800000, v8
	v_cmp_ne_u32_e64 s[28:29], s54, v9
                                        ; implicit-def: $vgpr51
	s_and_saveexec_b64 s[92:93], s[28:29]
	s_xor_b64 s[28:29], exec, s[92:93]
; %bb.560:                              ;   in Loop: Header=BB2_535 Depth=4
	v_bfe_u32 v9, v8, 16, 1
	v_add3_u32 v51, v8, v9, s55
                                        ; implicit-def: $vgpr8
; %bb.561:                              ;   in Loop: Header=BB2_535 Depth=4
	s_andn2_saveexec_b64 s[92:93], s[28:29]
; %bb.562:                              ;   in Loop: Header=BB2_535 Depth=4
	v_or_b32_e32 v9, 0x10000, v8
	v_cmp_eq_u32_sdwa s[28:29], v8, v2 src0_sel:WORD_0 src1_sel:DWORD
	v_cndmask_b32_e64 v51, v9, v8, s[28:29]
; %bb.563:                              ;   in Loop: Header=BB2_535 Depth=4
	s_or_b64 exec, exec, s[92:93]
	v_and_b32_e32 v8, 0xffff0000, v11
	v_mul_f32_e32 v8, v36, v8
	v_and_b32_e32 v9, 0x7f800000, v8
	v_cmp_ne_u32_e64 s[28:29], s54, v9
                                        ; implicit-def: $vgpr37
	s_and_saveexec_b64 s[92:93], s[28:29]
	s_xor_b64 s[28:29], exec, s[92:93]
; %bb.564:                              ;   in Loop: Header=BB2_535 Depth=4
	v_bfe_u32 v9, v8, 16, 1
	v_add3_u32 v37, v8, v9, s55
                                        ; implicit-def: $vgpr8
; %bb.565:                              ;   in Loop: Header=BB2_535 Depth=4
	s_andn2_saveexec_b64 s[92:93], s[28:29]
; %bb.566:                              ;   in Loop: Header=BB2_535 Depth=4
	v_or_b32_e32 v9, 0x10000, v8
	v_cmp_eq_u32_sdwa s[28:29], v8, v2 src0_sel:WORD_0 src1_sel:DWORD
	v_cndmask_b32_e64 v37, v9, v8, s[28:29]
; %bb.567:                              ;   in Loop: Header=BB2_535 Depth=4
	s_or_b64 exec, exec, s[92:93]
	global_load_dwordx4 v[8:11], v[55:56], off glc slc
	v_and_b32_e32 v22, 0xffff0000, v50
                                        ; implicit-def: $vgpr50
	s_waitcnt vmcnt(0)
	v_lshlrev_b32_e32 v23, 16, v8
	v_add_f32_e32 v59, v22, v23
	v_and_b32_e32 v22, 0x7f800000, v59
	v_cmp_ne_u32_e64 s[28:29], s54, v22
	s_and_saveexec_b64 s[92:93], s[28:29]
	s_xor_b64 s[28:29], exec, s[92:93]
; %bb.568:                              ;   in Loop: Header=BB2_535 Depth=4
	v_bfe_u32 v22, v59, 16, 1
	v_add3_u32 v50, v59, v22, s55
                                        ; implicit-def: $vgpr59
; %bb.569:                              ;   in Loop: Header=BB2_535 Depth=4
	s_andn2_saveexec_b64 s[92:93], s[28:29]
; %bb.570:                              ;   in Loop: Header=BB2_535 Depth=4
	v_or_b32_e32 v22, 0x10000, v59
	v_cmp_eq_u32_sdwa s[28:29], v59, v2 src0_sel:WORD_0 src1_sel:DWORD
	v_cndmask_b32_e64 v50, v22, v59, s[28:29]
; %bb.571:                              ;   in Loop: Header=BB2_535 Depth=4
	s_or_b64 exec, exec, s[92:93]
	v_and_b32_e32 v17, 0xffff0000, v17
	v_and_b32_e32 v8, 0xffff0000, v8
	v_add_f32_e32 v17, v17, v8
	v_and_b32_e32 v8, 0x7f800000, v17
	v_cmp_ne_u32_e64 s[28:29], s54, v8
                                        ; implicit-def: $vgpr8
	s_and_saveexec_b64 s[92:93], s[28:29]
	s_xor_b64 s[28:29], exec, s[92:93]
; %bb.572:                              ;   in Loop: Header=BB2_535 Depth=4
	v_bfe_u32 v8, v17, 16, 1
	v_add3_u32 v8, v17, v8, s55
                                        ; implicit-def: $vgpr17
; %bb.573:                              ;   in Loop: Header=BB2_535 Depth=4
	s_andn2_saveexec_b64 s[92:93], s[28:29]
; %bb.574:                              ;   in Loop: Header=BB2_535 Depth=4
	v_or_b32_e32 v8, 0x10000, v17
	v_cmp_eq_u32_sdwa s[28:29], v17, v2 src0_sel:WORD_0 src1_sel:DWORD
	v_cndmask_b32_e64 v8, v8, v17, s[28:29]
; %bb.575:                              ;   in Loop: Header=BB2_535 Depth=4
	s_or_b64 exec, exec, s[92:93]
	v_and_b32_e32 v16, 0xffff0000, v16
	v_lshlrev_b32_e32 v17, 16, v9
	v_add_f32_e32 v17, v16, v17
	v_and_b32_e32 v16, 0x7f800000, v17
	v_cmp_ne_u32_e64 s[28:29], s54, v16
                                        ; implicit-def: $vgpr16
	s_and_saveexec_b64 s[92:93], s[28:29]
	s_xor_b64 s[28:29], exec, s[92:93]
; %bb.576:                              ;   in Loop: Header=BB2_535 Depth=4
	v_bfe_u32 v16, v17, 16, 1
	v_add3_u32 v16, v17, v16, s55
                                        ; implicit-def: $vgpr17
; %bb.577:                              ;   in Loop: Header=BB2_535 Depth=4
	s_andn2_saveexec_b64 s[92:93], s[28:29]
; %bb.578:                              ;   in Loop: Header=BB2_535 Depth=4
	v_or_b32_e32 v16, 0x10000, v17
	v_cmp_eq_u32_sdwa s[28:29], v17, v2 src0_sel:WORD_0 src1_sel:DWORD
	v_cndmask_b32_e64 v16, v16, v17, s[28:29]
; %bb.579:                              ;   in Loop: Header=BB2_535 Depth=4
	s_or_b64 exec, exec, s[92:93]
	v_and_b32_e32 v17, 0xffff0000, v28
	v_and_b32_e32 v9, 0xffff0000, v9
	v_add_f32_e32 v17, v17, v9
	v_and_b32_e32 v9, 0x7f800000, v17
	v_cmp_ne_u32_e64 s[28:29], s54, v9
                                        ; implicit-def: $vgpr9
	s_and_saveexec_b64 s[92:93], s[28:29]
	s_xor_b64 s[28:29], exec, s[92:93]
; %bb.580:                              ;   in Loop: Header=BB2_535 Depth=4
	v_bfe_u32 v9, v17, 16, 1
	v_add3_u32 v9, v17, v9, s55
                                        ; implicit-def: $vgpr17
; %bb.581:                              ;   in Loop: Header=BB2_535 Depth=4
	s_andn2_saveexec_b64 s[92:93], s[28:29]
; %bb.582:                              ;   in Loop: Header=BB2_535 Depth=4
	v_or_b32_e32 v9, 0x10000, v17
	v_cmp_eq_u32_sdwa s[28:29], v17, v2 src0_sel:WORD_0 src1_sel:DWORD
	v_cndmask_b32_e64 v9, v9, v17, s[28:29]
; %bb.583:                              ;   in Loop: Header=BB2_535 Depth=4
	s_or_b64 exec, exec, s[92:93]
	v_and_b32_e32 v0, 0xffff0000, v0
	v_lshlrev_b32_e32 v17, 16, v10
	v_add_f32_e32 v17, v0, v17
	v_and_b32_e32 v0, 0x7f800000, v17
	v_cmp_ne_u32_e64 s[28:29], s54, v0
                                        ; implicit-def: $vgpr0
	s_and_saveexec_b64 s[92:93], s[28:29]
	s_xor_b64 s[28:29], exec, s[92:93]
; %bb.584:                              ;   in Loop: Header=BB2_535 Depth=4
	v_bfe_u32 v0, v17, 16, 1
	v_add3_u32 v0, v17, v0, s55
                                        ; implicit-def: $vgpr17
; %bb.585:                              ;   in Loop: Header=BB2_535 Depth=4
	s_andn2_saveexec_b64 s[92:93], s[28:29]
; %bb.586:                              ;   in Loop: Header=BB2_535 Depth=4
	v_or_b32_e32 v0, 0x10000, v17
	v_cmp_eq_u32_sdwa s[28:29], v17, v2 src0_sel:WORD_0 src1_sel:DWORD
	v_cndmask_b32_e64 v0, v0, v17, s[28:29]
; %bb.587:                              ;   in Loop: Header=BB2_535 Depth=4
	s_or_b64 exec, exec, s[92:93]
	v_and_b32_e32 v17, 0xffff0000, v33
	v_and_b32_e32 v10, 0xffff0000, v10
	v_add_f32_e32 v17, v17, v10
	v_and_b32_e32 v10, 0x7f800000, v17
	v_cmp_ne_u32_e64 s[28:29], s54, v10
                                        ; implicit-def: $vgpr10
	s_and_saveexec_b64 s[92:93], s[28:29]
	s_xor_b64 s[28:29], exec, s[92:93]
; %bb.588:                              ;   in Loop: Header=BB2_535 Depth=4
	v_bfe_u32 v10, v17, 16, 1
	v_add3_u32 v10, v17, v10, s55
                                        ; implicit-def: $vgpr17
; %bb.589:                              ;   in Loop: Header=BB2_535 Depth=4
	s_andn2_saveexec_b64 s[92:93], s[28:29]
; %bb.590:                              ;   in Loop: Header=BB2_535 Depth=4
	v_or_b32_e32 v10, 0x10000, v17
	v_cmp_eq_u32_sdwa s[28:29], v17, v2 src0_sel:WORD_0 src1_sel:DWORD
	v_cndmask_b32_e64 v10, v10, v17, s[28:29]
; %bb.591:                              ;   in Loop: Header=BB2_535 Depth=4
	s_or_b64 exec, exec, s[92:93]
	v_and_b32_e32 v17, 0xffff0000, v51
	v_lshlrev_b32_e32 v22, 16, v11
	v_add_f32_e32 v28, v17, v22
	v_and_b32_e32 v17, 0x7f800000, v28
	v_cmp_ne_u32_e64 s[28:29], s54, v17
                                        ; implicit-def: $vgpr17
	s_and_saveexec_b64 s[92:93], s[28:29]
	s_xor_b64 s[28:29], exec, s[92:93]
; %bb.592:                              ;   in Loop: Header=BB2_535 Depth=4
	v_bfe_u32 v17, v28, 16, 1
	v_add3_u32 v17, v28, v17, s55
                                        ; implicit-def: $vgpr28
; %bb.593:                              ;   in Loop: Header=BB2_535 Depth=4
	s_andn2_saveexec_b64 s[92:93], s[28:29]
; %bb.594:                              ;   in Loop: Header=BB2_535 Depth=4
	v_or_b32_e32 v17, 0x10000, v28
	v_cmp_eq_u32_sdwa s[28:29], v28, v2 src0_sel:WORD_0 src1_sel:DWORD
	v_cndmask_b32_e64 v17, v17, v28, s[28:29]
; %bb.595:                              ;   in Loop: Header=BB2_535 Depth=4
	s_or_b64 exec, exec, s[92:93]
	v_and_b32_e32 v22, 0xffff0000, v37
	v_and_b32_e32 v11, 0xffff0000, v11
	v_add_f32_e32 v28, v22, v11
	v_and_b32_e32 v11, 0x7f800000, v28
	v_cmp_ne_u32_e64 s[28:29], s54, v11
                                        ; implicit-def: $vgpr11
	s_and_saveexec_b64 s[92:93], s[28:29]
	s_xor_b64 s[28:29], exec, s[92:93]
; %bb.596:                              ;   in Loop: Header=BB2_535 Depth=4
	v_bfe_u32 v11, v28, 16, 1
	v_add3_u32 v11, v28, v11, s55
                                        ; implicit-def: $vgpr28
; %bb.597:                              ;   in Loop: Header=BB2_535 Depth=4
	s_andn2_saveexec_b64 s[92:93], s[28:29]
	s_cbranch_execz .LBB2_534
; %bb.598:                              ;   in Loop: Header=BB2_535 Depth=4
	v_or_b32_e32 v11, 0x10000, v28
	v_cmp_eq_u32_sdwa s[28:29], v28, v2 src0_sel:WORD_0 src1_sel:DWORD
	v_cndmask_b32_e64 v11, v11, v28, s[28:29]
	s_branch .LBB2_534
.LBB2_599:                              ;   in Loop: Header=BB2_388 Depth=3
	s_or_b64 exec, exec, s[90:91]
	buffer_load_dword v56, off, s[0:3], s33 offset:112 ; 4-byte Folded Reload
	buffer_load_dword v46, off, s[0:3], s33 offset:88 ; 4-byte Folded Reload
	buffer_load_dword v47, off, s[0:3], s33 offset:92 ; 4-byte Folded Reload
.LBB2_600:                              ;   in Loop: Header=BB2_388 Depth=3
	s_or_b64 exec, exec, s[88:89]
	v_and_b32_e32 v0, 14, v14
	v_sub_u32_e32 v8, v32, v0
	v_cndmask_b32_e32 v8, 0, v8, vcc
	v_cndmask_b32_e32 v49, v32, v0, vcc
	v_cmp_lt_i32_e32 vcc, 0, v53
	v_cndmask_b32_e32 v0, 0, v62, vcc
	v_sub_u32_e32 v0, v0, v53
	v_cmp_ne_u32_e32 vcc, 0, v49
	v_add3_u32 v36, v30, v15, v8
	v_lshl_add_u32 v32, v0, 6, v19
	s_and_b64 s[88:89], vcc, exec
.LBB2_601:                              ;   in Loop: Header=BB2_388 Depth=3
	s_or_b64 exec, exec, s[78:79]
	s_and_saveexec_b64 s[28:29], s[88:89]
	s_cbranch_execz .LBB2_650
.LBB2_602:                              ;   in Loop: Header=BB2_388 Depth=3
	v_ashrrev_i32_e32 v0, 31, v32
	v_ashrrev_i32_e32 v8, 31, v49
	v_lshrrev_b32_e32 v0, 26, v0
	v_lshrrev_b32_e32 v8, 23, v8
	v_add_u32_e32 v0, v32, v0
	v_add_u32_e32 v8, v49, v8
	v_ashrrev_i32_e32 v14, 6, v0
	v_ashrrev_i32_e32 v19, 9, v8
	v_sub_u32_e32 v15, v19, v14
	v_cmp_lt_i32_e32 vcc, 0, v15
	s_and_saveexec_b64 s[78:79], vcc
	s_cbranch_execz .LBB2_638
; %bb.603:                              ;   in Loop: Header=BB2_388 Depth=3
	v_and_b32_e32 v0, 0x7fffffc0, v0
	v_sub_u32_e32 v0, v32, v0
	v_lshlrev_b32_e32 v0, 1, v0
	v_lshlrev_b32_e32 v8, 9, v14
	v_add3_u32 v0, v0, v36, v8
	s_trap 2
	ds_read_b64 v[10:11], v0
	ds_read_b32 v17, v0
	v_ashrrev_i32_e32 v16, 31, v0
	v_add_co_u32_e32 v8, vcc, v0, v44
	v_addc_co_u32_e32 v9, vcc, v16, v45, vcc
	s_waitcnt lgkmcnt(0)
	v_add_co_u32_e32 v10, vcc, v10, v0
	v_addc_co_u32_e32 v11, vcc, v11, v16, vcc
	s_waitcnt vmcnt(0)
	v_add_co_u32_e32 v46, vcc, v0, v42
	v_addc_co_u32_e32 v47, vcc, v16, v43, vcc
	v_lshlrev_b32_e32 v30, 16, v17
	s_mov_b64 s[88:89], 0
	s_branch .LBB2_605
.LBB2_604:                              ;   in Loop: Header=BB2_605 Depth=4
	s_or_b64 exec, exec, s[90:91]
	v_add_co_u32_e32 v8, vcc, v8, v5
	v_addc_co_u32_e32 v9, vcc, 0, v9, vcc
	v_add_co_u32_e32 v10, vcc, v10, v5
	v_addc_co_u32_e32 v11, vcc, 0, v11, vcc
	v_sub_u32_e32 v15, v15, v62
	v_cmp_gt_i32_e32 vcc, 1, v15
	flat_store_short_d16_hi v[46:47], v0 glc slc
	flat_store_short_d16_hi v[46:47], v16 offset:128 glc slc
	flat_store_short_d16_hi v[46:47], v17 offset:256 glc slc
	;; [unrolled: 1-line block ×3, first 2 shown]
	s_or_b64 s[88:89], vcc, s[88:89]
	v_add_co_u32_e32 v46, vcc, v46, v5
	v_addc_co_u32_e32 v47, vcc, 0, v47, vcc
	s_andn2_b64 exec, exec, s[88:89]
	s_cbranch_execz .LBB2_637
.LBB2_605:                              ;   Parent Loop BB2_47 Depth=1
                                        ;     Parent Loop BB2_385 Depth=2
                                        ;       Parent Loop BB2_388 Depth=3
                                        ; =>      This Inner Loop Header: Depth=4
	flat_load_ushort v0, v[8:9] glc slc
	s_waitcnt vmcnt(0) lgkmcnt(0)
	v_lshlrev_b32_e32 v0, 16, v0
	v_mul_f32_e32 v16, v30, v0
	v_and_b32_e32 v0, 0x7f800000, v16
	v_cmp_ne_u32_e32 vcc, s54, v0
                                        ; implicit-def: $vgpr0
	s_and_saveexec_b64 s[90:91], vcc
	s_xor_b64 s[90:91], exec, s[90:91]
; %bb.606:                              ;   in Loop: Header=BB2_605 Depth=4
	v_bfe_u32 v0, v16, 16, 1
	v_add3_u32 v0, v16, v0, s55
                                        ; implicit-def: $vgpr16
; %bb.607:                              ;   in Loop: Header=BB2_605 Depth=4
	s_andn2_saveexec_b64 s[90:91], s[90:91]
; %bb.608:                              ;   in Loop: Header=BB2_605 Depth=4
	v_or_b32_e32 v0, 0x10000, v16
	v_cmp_eq_u32_sdwa vcc, v16, v2 src0_sel:WORD_0 src1_sel:DWORD
	v_cndmask_b32_e32 v0, v0, v16, vcc
; %bb.609:                              ;   in Loop: Header=BB2_605 Depth=4
	s_or_b64 exec, exec, s[90:91]
	flat_load_ushort v16, v[8:9] offset:128 glc slc
	s_waitcnt vmcnt(0) lgkmcnt(0)
	v_lshlrev_b32_e32 v16, 16, v16
	v_mul_f32_e32 v17, v30, v16
	v_and_b32_e32 v16, 0x7f800000, v17
	v_cmp_ne_u32_e32 vcc, s54, v16
                                        ; implicit-def: $vgpr16
	s_and_saveexec_b64 s[90:91], vcc
	s_xor_b64 s[90:91], exec, s[90:91]
; %bb.610:                              ;   in Loop: Header=BB2_605 Depth=4
	v_bfe_u32 v16, v17, 16, 1
	v_add3_u32 v16, v17, v16, s55
                                        ; implicit-def: $vgpr17
; %bb.611:                              ;   in Loop: Header=BB2_605 Depth=4
	s_andn2_saveexec_b64 s[90:91], s[90:91]
; %bb.612:                              ;   in Loop: Header=BB2_605 Depth=4
	v_or_b32_e32 v16, 0x10000, v17
	v_cmp_eq_u32_sdwa vcc, v17, v2 src0_sel:WORD_0 src1_sel:DWORD
	v_cndmask_b32_e32 v16, v16, v17, vcc
; %bb.613:                              ;   in Loop: Header=BB2_605 Depth=4
	s_or_b64 exec, exec, s[90:91]
	flat_load_ushort v17, v[8:9] offset:256 glc slc
	s_waitcnt vmcnt(0) lgkmcnt(0)
	v_lshlrev_b32_e32 v17, 16, v17
	v_mul_f32_e32 v28, v30, v17
	v_and_b32_e32 v17, 0x7f800000, v28
	v_cmp_ne_u32_e32 vcc, s54, v17
                                        ; implicit-def: $vgpr17
	s_and_saveexec_b64 s[90:91], vcc
	s_xor_b64 s[90:91], exec, s[90:91]
; %bb.614:                              ;   in Loop: Header=BB2_605 Depth=4
	v_bfe_u32 v17, v28, 16, 1
	v_add3_u32 v17, v28, v17, s55
                                        ; implicit-def: $vgpr28
; %bb.615:                              ;   in Loop: Header=BB2_605 Depth=4
	s_andn2_saveexec_b64 s[90:91], s[90:91]
; %bb.616:                              ;   in Loop: Header=BB2_605 Depth=4
	v_or_b32_e32 v17, 0x10000, v28
	v_cmp_eq_u32_sdwa vcc, v28, v2 src0_sel:WORD_0 src1_sel:DWORD
	v_cndmask_b32_e32 v17, v17, v28, vcc
; %bb.617:                              ;   in Loop: Header=BB2_605 Depth=4
	s_or_b64 exec, exec, s[90:91]
	flat_load_ushort v22, v[8:9] offset:384 glc slc
                                        ; implicit-def: $vgpr28
	s_waitcnt vmcnt(0) lgkmcnt(0)
	v_lshlrev_b32_e32 v22, 16, v22
	v_mul_f32_e32 v33, v30, v22
	v_and_b32_e32 v22, 0x7f800000, v33
	v_cmp_ne_u32_e32 vcc, s54, v22
	s_and_saveexec_b64 s[90:91], vcc
	s_xor_b64 s[90:91], exec, s[90:91]
; %bb.618:                              ;   in Loop: Header=BB2_605 Depth=4
	v_bfe_u32 v22, v33, 16, 1
	v_add3_u32 v28, v33, v22, s55
                                        ; implicit-def: $vgpr33
; %bb.619:                              ;   in Loop: Header=BB2_605 Depth=4
	s_andn2_saveexec_b64 s[90:91], s[90:91]
; %bb.620:                              ;   in Loop: Header=BB2_605 Depth=4
	v_or_b32_e32 v22, 0x10000, v33
	v_cmp_eq_u32_sdwa vcc, v33, v2 src0_sel:WORD_0 src1_sel:DWORD
	v_cndmask_b32_e32 v28, v22, v33, vcc
; %bb.621:                              ;   in Loop: Header=BB2_605 Depth=4
	s_or_b64 exec, exec, s[90:91]
	flat_load_ushort v22, v[10:11] glc slc
	flat_load_ushort v37, v[10:11] offset:256 glc slc
	flat_load_ushort v33, v[10:11] offset:384 glc slc
	;; [unrolled: 1-line block ×3, first 2 shown]
	v_and_b32_e32 v0, 0xffff0000, v0
	s_waitcnt vmcnt(0) lgkmcnt(0)
	v_lshlrev_b32_e32 v22, 16, v22
	v_add_f32_e32 v51, v0, v22
	v_and_b32_e32 v0, 0x7f800000, v51
	v_cmp_ne_u32_e32 vcc, s54, v0
                                        ; implicit-def: $vgpr0
	s_and_saveexec_b64 s[90:91], vcc
	s_xor_b64 s[90:91], exec, s[90:91]
; %bb.622:                              ;   in Loop: Header=BB2_605 Depth=4
	v_bfe_u32 v0, v51, 16, 1
	v_add3_u32 v0, v51, v0, s55
                                        ; implicit-def: $vgpr51
; %bb.623:                              ;   in Loop: Header=BB2_605 Depth=4
	s_andn2_saveexec_b64 s[90:91], s[90:91]
; %bb.624:                              ;   in Loop: Header=BB2_605 Depth=4
	v_or_b32_e32 v0, 0x10000, v51
	v_cmp_eq_u32_sdwa vcc, v51, v2 src0_sel:WORD_0 src1_sel:DWORD
	v_cndmask_b32_e32 v0, v0, v51, vcc
; %bb.625:                              ;   in Loop: Header=BB2_605 Depth=4
	s_or_b64 exec, exec, s[90:91]
	v_and_b32_e32 v16, 0xffff0000, v16
	v_lshlrev_b32_e32 v22, 16, v50
	v_add_f32_e32 v50, v16, v22
	v_and_b32_e32 v16, 0x7f800000, v50
	v_cmp_ne_u32_e32 vcc, s54, v16
                                        ; implicit-def: $vgpr16
	s_and_saveexec_b64 s[90:91], vcc
	s_xor_b64 s[90:91], exec, s[90:91]
; %bb.626:                              ;   in Loop: Header=BB2_605 Depth=4
	v_bfe_u32 v16, v50, 16, 1
	v_add3_u32 v16, v50, v16, s55
                                        ; implicit-def: $vgpr50
; %bb.627:                              ;   in Loop: Header=BB2_605 Depth=4
	s_andn2_saveexec_b64 s[90:91], s[90:91]
; %bb.628:                              ;   in Loop: Header=BB2_605 Depth=4
	v_or_b32_e32 v16, 0x10000, v50
	v_cmp_eq_u32_sdwa vcc, v50, v2 src0_sel:WORD_0 src1_sel:DWORD
	v_cndmask_b32_e32 v16, v16, v50, vcc
; %bb.629:                              ;   in Loop: Header=BB2_605 Depth=4
	s_or_b64 exec, exec, s[90:91]
	v_and_b32_e32 v17, 0xffff0000, v17
	v_lshlrev_b32_e32 v22, 16, v37
	v_add_f32_e32 v37, v17, v22
	v_and_b32_e32 v17, 0x7f800000, v37
	v_cmp_ne_u32_e32 vcc, s54, v17
                                        ; implicit-def: $vgpr17
	s_and_saveexec_b64 s[90:91], vcc
	s_xor_b64 s[90:91], exec, s[90:91]
; %bb.630:                              ;   in Loop: Header=BB2_605 Depth=4
	v_bfe_u32 v17, v37, 16, 1
	v_add3_u32 v17, v37, v17, s55
                                        ; implicit-def: $vgpr37
; %bb.631:                              ;   in Loop: Header=BB2_605 Depth=4
	s_andn2_saveexec_b64 s[90:91], s[90:91]
; %bb.632:                              ;   in Loop: Header=BB2_605 Depth=4
	v_or_b32_e32 v17, 0x10000, v37
	v_cmp_eq_u32_sdwa vcc, v37, v2 src0_sel:WORD_0 src1_sel:DWORD
	v_cndmask_b32_e32 v17, v17, v37, vcc
; %bb.633:                              ;   in Loop: Header=BB2_605 Depth=4
	s_or_b64 exec, exec, s[90:91]
	v_and_b32_e32 v22, 0xffff0000, v28
	v_lshlrev_b32_e32 v23, 16, v33
	v_add_f32_e32 v33, v22, v23
	v_and_b32_e32 v22, 0x7f800000, v33
	v_cmp_ne_u32_e32 vcc, s54, v22
                                        ; implicit-def: $vgpr28
	s_and_saveexec_b64 s[90:91], vcc
	s_xor_b64 s[90:91], exec, s[90:91]
; %bb.634:                              ;   in Loop: Header=BB2_605 Depth=4
	v_bfe_u32 v22, v33, 16, 1
	v_add3_u32 v28, v33, v22, s55
                                        ; implicit-def: $vgpr33
; %bb.635:                              ;   in Loop: Header=BB2_605 Depth=4
	s_andn2_saveexec_b64 s[90:91], s[90:91]
	s_cbranch_execz .LBB2_604
; %bb.636:                              ;   in Loop: Header=BB2_605 Depth=4
	v_or_b32_e32 v22, 0x10000, v33
	v_cmp_eq_u32_sdwa vcc, v33, v2 src0_sel:WORD_0 src1_sel:DWORD
	v_cndmask_b32_e32 v28, v22, v33, vcc
	s_branch .LBB2_604
.LBB2_637:                              ;   in Loop: Header=BB2_388 Depth=3
	s_or_b64 exec, exec, s[88:89]
	buffer_load_dword v46, off, s[0:3], s33 offset:88 ; 4-byte Folded Reload
	buffer_load_dword v47, off, s[0:3], s33 offset:92 ; 4-byte Folded Reload
.LBB2_638:                              ;   in Loop: Header=BB2_388 Depth=3
	s_or_b64 exec, exec, s[78:79]
	v_lshlrev_b32_e32 v0, 9, v19
	v_cmp_ne_u32_e32 vcc, v49, v0
	s_and_b64 exec, exec, vcc
	s_cbranch_execz .LBB2_650
; %bb.639:                              ;   in Loop: Header=BB2_388 Depth=3
	v_lshlrev_b32_e32 v8, 6, v14
	v_sub_u32_e32 v8, v32, v8
	v_lshlrev_b32_e32 v9, 6, v15
	v_sub_u32_e32 v8, v8, v9
	v_ashrrev_i32_e32 v9, 31, v8
	v_lshrrev_b32_e32 v9, 26, v9
	v_add_u32_e32 v9, v8, v9
	v_and_b32_e32 v10, 0x7fffffc0, v9
	v_sub_u32_e32 v8, v8, v10
	v_lshlrev_b32_e32 v9, 1, v9
	v_and_b32_e32 v9, 0xffffff80, v9
	v_lshlrev_b32_e32 v8, 1, v8
	v_add3_u32 v8, v9, v8, v0
	v_sub_u32_e32 v0, v49, v8
	v_cmp_lt_i32_e32 vcc, 1, v0
	s_and_b64 exec, exec, vcc
	s_cbranch_execz .LBB2_650
; %bb.640:                              ;   in Loop: Header=BB2_388 Depth=3
	s_trap 2
	ds_read_b64 v[10:11], v0
	v_add_u32_e32 v14, v8, v36
	v_ashrrev_i32_e32 v15, 31, v14
	v_add_co_u32_e32 v8, vcc, v14, v44
	v_addc_co_u32_e32 v9, vcc, v15, v45, vcc
	s_waitcnt lgkmcnt(0)
	v_add_co_u32_e32 v10, vcc, v10, v14
	v_addc_co_u32_e32 v11, vcc, v11, v15, vcc
	v_add_co_u32_e32 v42, vcc, v14, v42
	ds_read_b32 v14, v0
	v_addc_co_u32_e32 v43, vcc, v15, v43, vcc
	s_mov_b64 s[78:79], 0
	s_waitcnt lgkmcnt(0)
	v_lshlrev_b32_e32 v14, 16, v14
	s_branch .LBB2_642
.LBB2_641:                              ;   in Loop: Header=BB2_642 Depth=4
	s_or_b64 exec, exec, s[88:89]
	v_add_co_u32_e32 v8, vcc, v8, v34
	v_addc_co_u32_e32 v9, vcc, 0, v9, vcc
	v_add_co_u32_e32 v10, vcc, v10, v34
	v_addc_co_u32_e32 v11, vcc, 0, v11, vcc
	v_sub_u32_e32 v0, v0, v34
	v_cmp_gt_i32_e32 vcc, 2, v0
	flat_store_short_d16_hi v[42:43], v16 glc slc
	s_or_b64 s[78:79], vcc, s[78:79]
	v_add_co_u32_e32 v42, vcc, v42, v34
	v_addc_co_u32_e32 v43, vcc, 0, v43, vcc
	s_andn2_b64 exec, exec, s[78:79]
	s_cbranch_execz .LBB2_650
.LBB2_642:                              ;   Parent Loop BB2_47 Depth=1
                                        ;     Parent Loop BB2_385 Depth=2
                                        ;       Parent Loop BB2_388 Depth=3
                                        ; =>      This Inner Loop Header: Depth=4
	flat_load_ushort v15, v[8:9] glc slc
	s_waitcnt vmcnt(0) lgkmcnt(0)
	v_lshlrev_b32_e32 v15, 16, v15
	v_mul_f32_e32 v15, v14, v15
	v_and_b32_e32 v16, 0x7f800000, v15
	v_cmp_ne_u32_e32 vcc, s54, v16
                                        ; implicit-def: $vgpr16
	s_and_saveexec_b64 s[88:89], vcc
	s_xor_b64 s[88:89], exec, s[88:89]
; %bb.643:                              ;   in Loop: Header=BB2_642 Depth=4
	v_bfe_u32 v16, v15, 16, 1
	v_add3_u32 v16, v15, v16, s55
                                        ; implicit-def: $vgpr15
; %bb.644:                              ;   in Loop: Header=BB2_642 Depth=4
	s_andn2_saveexec_b64 s[88:89], s[88:89]
; %bb.645:                              ;   in Loop: Header=BB2_642 Depth=4
	v_or_b32_e32 v16, 0x10000, v15
	v_cmp_eq_u32_sdwa vcc, v15, v2 src0_sel:WORD_0 src1_sel:DWORD
	v_cndmask_b32_e32 v16, v16, v15, vcc
; %bb.646:                              ;   in Loop: Header=BB2_642 Depth=4
	s_or_b64 exec, exec, s[88:89]
	flat_load_ushort v15, v[10:11] glc slc
	v_and_b32_e32 v16, 0xffff0000, v16
	s_waitcnt vmcnt(0) lgkmcnt(0)
	v_lshlrev_b32_e32 v15, 16, v15
	v_add_f32_e32 v15, v16, v15
	v_and_b32_e32 v16, 0x7f800000, v15
	v_cmp_ne_u32_e32 vcc, s54, v16
                                        ; implicit-def: $vgpr16
	s_and_saveexec_b64 s[88:89], vcc
	s_xor_b64 s[88:89], exec, s[88:89]
; %bb.647:                              ;   in Loop: Header=BB2_642 Depth=4
	v_bfe_u32 v16, v15, 16, 1
	v_add3_u32 v16, v15, v16, s55
                                        ; implicit-def: $vgpr15
; %bb.648:                              ;   in Loop: Header=BB2_642 Depth=4
	s_andn2_saveexec_b64 s[88:89], s[88:89]
	s_cbranch_execz .LBB2_641
; %bb.649:                              ;   in Loop: Header=BB2_642 Depth=4
	v_or_b32_e32 v16, 0x10000, v15
	v_cmp_eq_u32_sdwa vcc, v15, v2 src0_sel:WORD_0 src1_sel:DWORD
	v_cndmask_b32_e32 v16, v16, v15, vcc
	s_branch .LBB2_641
.LBB2_650:                              ;   in Loop: Header=BB2_388 Depth=3
	s_or_b64 exec, exec, s[28:29]
	v_cmp_lt_i32_e64 s[28:29], 0, v3
	s_and_saveexec_b64 s[78:79], s[10:11]
	s_cbranch_execz .LBB2_669
.LBB2_651:                              ;   in Loop: Header=BB2_388 Depth=3
	s_and_saveexec_b64 s[88:89], s[56:57]
	s_xor_b64 s[88:89], exec, s[88:89]
	s_cbranch_execz .LBB2_666
; %bb.652:                              ;   in Loop: Header=BB2_388 Depth=3
	s_and_saveexec_b64 s[90:91], s[16:17]
	s_cbranch_execz .LBB2_665
; %bb.653:                              ;   in Loop: Header=BB2_388 Depth=3
	s_mov_b64 s[94:95], exec
	v_mbcnt_lo_u32_b32 v0, s94, 0
	v_mbcnt_hi_u32_b32 v0, s95, v0
	v_cmp_eq_u32_e32 vcc, 0, v0
	s_waitcnt vmcnt(0) lgkmcnt(0)
	buffer_wbinvl1_vol
	s_and_saveexec_b64 s[92:93], vcc
	s_cbranch_execz .LBB2_655
; %bb.654:                              ;   in Loop: Header=BB2_388 Depth=3
	s_bcnt1_i32_b64 s94, s[94:95]
	v_mov_b32_e32 v8, s94
	v_mov_b32_e32 v9, v2
	ds_add_u64 v0, v[8:9]
	s_trap 2
.LBB2_655:                              ;   in Loop: Header=BB2_388 Depth=3
	s_or_b64 exec, exec, s[92:93]
	s_trap 2
	ds_read_b64 v[8:9], v0
	s_waitcnt lgkmcnt(0)
	v_add_co_u32_e32 v12, vcc, v12, v62
	v_addc_co_u32_e32 v13, vcc, 0, v13, vcc
	v_cmp_lt_u64_e32 vcc, v[8:9], v[12:13]
	s_and_saveexec_b64 s[92:93], vcc
	s_cbranch_execz .LBB2_664
; %bb.656:                              ;   in Loop: Header=BB2_388 Depth=3
	s_mov_b32 s48, 0
	s_mov_b64 s[94:95], 0
                                        ; implicit-def: $sgpr30_sgpr31
                                        ; implicit-def: $sgpr34_sgpr35
	s_branch .LBB2_658
.LBB2_657:                              ;   in Loop: Header=BB2_658 Depth=4
	s_or_b64 exec, exec, s[38:39]
	s_and_b64 vcc, exec, vcc
	s_or_b64 s[94:95], vcc, s[94:95]
	s_andn2_b64 vcc, s[30:31], exec
	s_and_b64 s[30:31], s[34:35], exec
	s_or_b64 s[30:31], vcc, s[30:31]
	s_andn2_b64 exec, exec, s[94:95]
	s_cbranch_execz .LBB2_662
.LBB2_658:                              ;   Parent Loop BB2_47 Depth=1
                                        ;     Parent Loop BB2_385 Depth=2
                                        ;       Parent Loop BB2_388 Depth=3
                                        ; =>      This Inner Loop Header: Depth=4
	s_add_i32 s48, s48, 1
	s_cmpk_lg_i32 s48, 0x2710
	s_cselect_b64 s[36:37], -1, 0
	s_and_b64 vcc, exec, s[36:37]
	s_cbranch_vccz .LBB2_660
; %bb.659:                              ;   in Loop: Header=BB2_658 Depth=4
	s_mov_b64 vcc, -1
	s_or_b64 s[34:35], s[34:35], exec
	s_and_saveexec_b64 s[38:39], s[36:37]
	s_cbranch_execz .LBB2_657
	s_branch .LBB2_661
.LBB2_660:                              ;   in Loop: Header=BB2_658 Depth=4
	s_trap 2
	ds_read_b64 v[8:9], v0
	s_andn2_b64 s[36:37], s[36:37], exec
	s_mov_b32 s48, 0
	s_waitcnt lgkmcnt(0)
	flat_load_dword v0, v[8:9] glc
	s_waitcnt vmcnt(0) lgkmcnt(0)
	buffer_wbinvl1_vol
	v_cmp_eq_u32_e32 vcc, 0, v0
	s_and_b64 vcc, vcc, exec
	s_or_b64 s[36:37], s[36:37], vcc
	s_mov_b64 vcc, -1
	s_or_b64 s[34:35], s[34:35], exec
	s_and_saveexec_b64 s[38:39], s[36:37]
	s_cbranch_execz .LBB2_657
.LBB2_661:                              ;   in Loop: Header=BB2_658 Depth=4
	s_sleep 1
	s_trap 2
	ds_read_b64 v[8:9], v0
	s_waitcnt lgkmcnt(0)
	s_andn2_b64 s[34:35], s[34:35], exec
	v_cmp_ge_u64_e32 vcc, v[8:9], v[12:13]
	s_orn2_b64 vcc, vcc, exec
	s_branch .LBB2_657
.LBB2_662:                              ;   in Loop: Header=BB2_388 Depth=3
	s_or_b64 exec, exec, s[94:95]
	s_and_saveexec_b64 s[94:95], s[30:31]
	s_xor_b64 s[94:95], exec, s[94:95]
	s_cbranch_execz .LBB2_664
; %bb.663:                              ;   in Loop: Header=BB2_388 Depth=3
	ds_write_b32 v0, v18
	s_trap 2
.LBB2_664:                              ;   in Loop: Header=BB2_388 Depth=3
	s_or_b64 exec, exec, s[92:93]
	;;#ASMSTART
	s_wakeup
	;;#ASMEND
.LBB2_665:                              ;   in Loop: Header=BB2_388 Depth=3
	s_or_b64 exec, exec, s[90:91]
.LBB2_666:                              ;   in Loop: Header=BB2_388 Depth=3
	s_andn2_saveexec_b64 s[88:89], s[88:89]
	s_cbranch_execz .LBB2_668
; %bb.667:                              ;   in Loop: Header=BB2_388 Depth=3
	s_waitcnt vmcnt(0) lgkmcnt(0)
	buffer_wbinvl1_vol
	s_barrier
.LBB2_668:                              ;   in Loop: Header=BB2_388 Depth=3
	s_or_b64 exec, exec, s[88:89]
.LBB2_669:                              ;   in Loop: Header=BB2_388 Depth=3
	s_or_b64 exec, exec, s[78:79]
	v_and_b32_e32 v0, 16, v60
	s_and_saveexec_b64 s[78:79], s[24:25]
	s_xor_b64 s[78:79], exec, s[78:79]
	s_cbranch_execz .LBB2_673
; %bb.670:                              ;   in Loop: Header=BB2_388 Depth=3
	v_and_b32_e32 v3, 16, v60
	v_cmp_ne_u32_e32 vcc, 0, v3
	v_and_b32_e32 v0, 16, v60
	s_and_b64 s[88:89], vcc, s[28:29]
	s_and_saveexec_b64 s[28:29], s[88:89]
	s_cbranch_execz .LBB2_672
; %bb.671:                              ;   in Loop: Header=BB2_388 Depth=3
	v_mov_b32_e32 v0, 1
	s_waitcnt vmcnt(0) lgkmcnt(0)
	buffer_wbinvl1_vol
.LBB2_672:                              ;   in Loop: Header=BB2_388 Depth=3
	s_or_b64 exec, exec, s[28:29]
.LBB2_673:                              ;   in Loop: Header=BB2_388 Depth=3
	s_andn2_saveexec_b64 s[28:29], s[78:79]
	s_cbranch_execz .LBB2_692
; %bb.674:                              ;   in Loop: Header=BB2_388 Depth=3
	s_and_saveexec_b64 s[78:79], s[56:57]
	s_xor_b64 s[78:79], exec, s[78:79]
	s_cbranch_execz .LBB2_689
; %bb.675:                              ;   in Loop: Header=BB2_388 Depth=3
	s_and_saveexec_b64 s[88:89], s[16:17]
	s_cbranch_execz .LBB2_688
; %bb.676:                              ;   in Loop: Header=BB2_388 Depth=3
	s_mov_b64 s[92:93], exec
	v_mbcnt_lo_u32_b32 v3, s92, 0
	v_mbcnt_hi_u32_b32 v3, s93, v3
	v_cmp_eq_u32_e32 vcc, 0, v3
	;;#ASMSTART
	s_waitcnt lgkmcnt(0) vmcnt(0)
	;;#ASMEND
	s_and_saveexec_b64 s[90:91], vcc
	s_cbranch_execz .LBB2_678
; %bb.677:                              ;   in Loop: Header=BB2_388 Depth=3
	s_bcnt1_i32_b64 s92, s[92:93]
	v_mov_b32_e32 v8, s92
	v_mov_b32_e32 v9, v2
	s_waitcnt lgkmcnt(0)
	ds_add_u64 v0, v[8:9]
	s_trap 2
.LBB2_678:                              ;   in Loop: Header=BB2_388 Depth=3
	s_or_b64 exec, exec, s[90:91]
	s_trap 2
	ds_read_b64 v[8:9], v0
	s_waitcnt lgkmcnt(0)
	v_add_co_u32_e32 v12, vcc, v12, v62
	v_addc_co_u32_e32 v13, vcc, 0, v13, vcc
	v_cmp_lt_u64_e32 vcc, v[8:9], v[12:13]
	s_and_saveexec_b64 s[90:91], vcc
	s_cbranch_execz .LBB2_687
; %bb.679:                              ;   in Loop: Header=BB2_388 Depth=3
	s_mov_b32 s38, 0
	s_mov_b64 s[92:93], 0
                                        ; implicit-def: $sgpr94_sgpr95
                                        ; implicit-def: $sgpr30_sgpr31
	s_branch .LBB2_681
.LBB2_680:                              ;   in Loop: Header=BB2_681 Depth=4
	s_or_b64 exec, exec, s[36:37]
	s_and_b64 vcc, exec, vcc
	s_or_b64 s[92:93], vcc, s[92:93]
	s_andn2_b64 s[94:95], s[94:95], exec
	s_and_b64 vcc, s[30:31], exec
	s_or_b64 s[94:95], s[94:95], vcc
	s_andn2_b64 exec, exec, s[92:93]
	s_cbranch_execz .LBB2_685
.LBB2_681:                              ;   Parent Loop BB2_47 Depth=1
                                        ;     Parent Loop BB2_385 Depth=2
                                        ;       Parent Loop BB2_388 Depth=3
                                        ; =>      This Inner Loop Header: Depth=4
	s_add_i32 s38, s38, 1
	s_cmpk_lg_i32 s38, 0x2710
	s_cselect_b64 s[34:35], -1, 0
	s_and_b64 vcc, exec, s[34:35]
	s_cbranch_vccz .LBB2_683
; %bb.682:                              ;   in Loop: Header=BB2_681 Depth=4
	s_mov_b64 vcc, -1
	s_or_b64 s[30:31], s[30:31], exec
	s_and_saveexec_b64 s[36:37], s[34:35]
	s_cbranch_execz .LBB2_680
	s_branch .LBB2_684
.LBB2_683:                              ;   in Loop: Header=BB2_681 Depth=4
	s_trap 2
	ds_read_b64 v[8:9], v0
	s_andn2_b64 s[34:35], s[34:35], exec
	s_mov_b32 s38, 0
	s_waitcnt vmcnt(0) lgkmcnt(0)
	flat_load_dword v3, v[8:9] glc
	s_waitcnt vmcnt(0) lgkmcnt(0)
	buffer_wbinvl1_vol
	v_cmp_eq_u32_e32 vcc, 0, v3
	s_and_b64 vcc, vcc, exec
	s_or_b64 s[34:35], s[34:35], vcc
	s_mov_b64 vcc, -1
	s_or_b64 s[30:31], s[30:31], exec
	s_and_saveexec_b64 s[36:37], s[34:35]
	s_cbranch_execz .LBB2_680
.LBB2_684:                              ;   in Loop: Header=BB2_681 Depth=4
	s_sleep 1
	s_trap 2
	ds_read_b64 v[8:9], v0
	s_waitcnt lgkmcnt(0)
	s_andn2_b64 s[30:31], s[30:31], exec
	v_cmp_ge_u64_e32 vcc, v[8:9], v[12:13]
	s_orn2_b64 vcc, vcc, exec
	s_branch .LBB2_680
.LBB2_685:                              ;   in Loop: Header=BB2_388 Depth=3
	s_or_b64 exec, exec, s[92:93]
	s_and_saveexec_b64 s[92:93], s[94:95]
	s_xor_b64 s[92:93], exec, s[92:93]
	s_cbranch_execz .LBB2_687
; %bb.686:                              ;   in Loop: Header=BB2_388 Depth=3
	ds_write_b32 v0, v18
	s_trap 2
.LBB2_687:                              ;   in Loop: Header=BB2_388 Depth=3
	s_or_b64 exec, exec, s[90:91]
	;;#ASMSTART
	s_wakeup
	;;#ASMEND
.LBB2_688:                              ;   in Loop: Header=BB2_388 Depth=3
	s_or_b64 exec, exec, s[88:89]
.LBB2_689:                              ;   in Loop: Header=BB2_388 Depth=3
	s_andn2_saveexec_b64 s[78:79], s[78:79]
	s_cbranch_execz .LBB2_691
; %bb.690:                              ;   in Loop: Header=BB2_388 Depth=3
	;;#ASMSTART
	s_waitcnt lgkmcnt(0) vmcnt(0)
	;;#ASMEND
	s_waitcnt vmcnt(0) lgkmcnt(0)
	s_barrier
.LBB2_691:                              ;   in Loop: Header=BB2_388 Depth=3
	s_or_b64 exec, exec, s[78:79]
.LBB2_692:                              ;   in Loop: Header=BB2_388 Depth=3
	s_or_b64 exec, exec, s[28:29]
	v_cmp_ne_u32_e32 vcc, 0, v0
	s_xor_b64 s[28:29], s[12:13], -1
	s_and_b64 s[78:79], vcc, s[28:29]
	s_and_saveexec_b64 s[28:29], s[78:79]
	s_cbranch_execz .LBB2_694
; %bb.693:                              ;   in Loop: Header=BB2_388 Depth=3
	s_waitcnt vmcnt(0)
	flat_store_dword v[46:47], v18
.LBB2_694:                              ;   in Loop: Header=BB2_388 Depth=3
	s_or_b64 exec, exec, s[28:29]
	v_and_b32_e32 v0, 48, v60
	v_cmp_ne_u32_e32 vcc, 0, v0
	s_and_saveexec_b64 s[28:29], vcc
	s_cbranch_execz .LBB2_387
; %bb.695:                              ;   in Loop: Header=BB2_388 Depth=3
	v_add_co_u32_e32 v38, vcc, 2, v38
	v_addc_co_u32_e32 v39, vcc, 0, v39, vcc
	flat_store_dwordx2 v[20:21], v[38:39]
	s_branch .LBB2_387
.LBB2_696:                              ;   in Loop: Header=BB2_385 Depth=2
	s_or_b64 exec, exec, s[42:43]
.LBB2_697:                              ;   in Loop: Header=BB2_385 Depth=2
	s_or_b64 exec, exec, s[40:41]
	v_cmp_gt_i32_e32 vcc, 2, v0
	s_and_saveexec_b64 s[40:41], vcc
	s_cbranch_execz .LBB2_384
; %bb.698:                              ;   in Loop: Header=BB2_385 Depth=2
	v_cmp_eq_u32_e64 s[76:77], 0, v0
	s_mov_b64 s[42:43], 0
	s_branch .LBB2_700
.LBB2_699:                              ;   in Loop: Header=BB2_700 Depth=3
	s_or_b64 exec, exec, s[28:29]
	v_add_u32_e32 v54, v52, v54
	s_mov_b64 s[76:77], 0
	s_andn2_b64 exec, exec, s[42:43]
	s_cbranch_execz .LBB2_383
.LBB2_700:                              ;   Parent Loop BB2_47 Depth=1
                                        ;     Parent Loop BB2_385 Depth=2
                                        ; =>    This Loop Header: Depth=3
                                        ;         Child Loop BB2_706 Depth 4
                                        ;         Child Loop BB2_734 Depth 4
	;; [unrolled: 1-line block ×3, first 2 shown]
	v_sub_u32_e32 v0, v48, v54
	v_min_i32_e32 v52, v52, v0
	v_and_b32_e32 v0, 12, v60
	v_cmp_ne_u32_e32 vcc, 0, v0
	s_and_saveexec_b64 s[78:79], vcc
	s_cbranch_execz .LBB2_726
; %bb.701:                              ;   in Loop: Header=BB2_700 Depth=3
	v_and_b32_e32 v0, 8, v60
	s_waitcnt vmcnt(0) lgkmcnt(0)
	v_add_co_u32_e32 v10, vcc, v26, v0
	v_addc_co_u32_e32 v11, vcc, 0, v27, vcc
	v_add_co_u32_e32 v8, vcc, 2, v38
	v_addc_co_u32_e32 v9, vcc, 0, v39, vcc
	v_cmp_lt_u64_e32 vcc, v[10:11], v[8:9]
	s_and_saveexec_b64 s[88:89], vcc
	s_cbranch_execz .LBB2_713
; %bb.702:                              ;   in Loop: Header=BB2_700 Depth=3
	v_and_b32_e32 v3, 64, v60
	s_mov_b32 s83, 0
	v_cmp_eq_u32_e32 vcc, 0, v3
	s_mov_b64 s[90:91], 0
                                        ; implicit-def: $sgpr92_sgpr93
                                        ; implicit-def: $sgpr94_sgpr95
                                        ; implicit-def: $sgpr30_sgpr31
	s_branch .LBB2_706
.LBB2_703:                              ;   in Loop: Header=BB2_706 Depth=4
	s_waitcnt vmcnt(0) lgkmcnt(0)
	v_add_co_u32_e64 v10, s[28:29], v26, v0
	v_addc_co_u32_e64 v11, s[28:29], 0, v27, s[28:29]
	v_cmp_ge_u64_e64 s[28:29], v[10:11], v[8:9]
	s_or_b64 s[38:39], s[38:39], exec
	s_orn2_b64 s[36:37], s[28:29], exec
.LBB2_704:                              ;   in Loop: Header=BB2_706 Depth=4
	s_or_b64 exec, exec, s[50:51]
	s_andn2_b64 s[28:29], s[30:31], exec
	s_and_b64 s[30:31], s[38:39], exec
	s_or_b64 s[30:31], s[28:29], s[30:31]
	s_andn2_b64 s[28:29], s[94:95], exec
	s_and_b64 s[94:95], s[36:37], exec
	s_or_b64 s[94:95], s[28:29], s[94:95]
.LBB2_705:                              ;   in Loop: Header=BB2_706 Depth=4
	s_or_b64 exec, exec, s[34:35]
	s_and_b64 s[28:29], exec, s[94:95]
	s_or_b64 s[90:91], s[28:29], s[90:91]
	s_andn2_b64 s[28:29], s[92:93], exec
	s_and_b64 s[92:93], s[30:31], exec
	s_or_b64 s[92:93], s[28:29], s[92:93]
	s_andn2_b64 exec, exec, s[90:91]
	s_cbranch_execz .LBB2_710
.LBB2_706:                              ;   Parent Loop BB2_47 Depth=1
                                        ;     Parent Loop BB2_385 Depth=2
                                        ;       Parent Loop BB2_700 Depth=3
                                        ; =>      This Inner Loop Header: Depth=4
	s_sleep 1
	s_waitcnt vmcnt(0) lgkmcnt(0)
	flat_load_dwordx2 v[26:27], v[20:21] glc
	s_or_b64 s[30:31], s[30:31], exec
	s_or_b64 s[94:95], s[94:95], exec
                                        ; implicit-def: $vgpr3
	s_and_saveexec_b64 s[34:35], vcc
	s_cbranch_execz .LBB2_705
; %bb.707:                              ;   in Loop: Header=BB2_706 Depth=4
	s_cmpk_lt_i32 s83, 0x270f
	s_cselect_b64 s[48:49], -1, 0
	s_cmpk_gt_i32 s83, 0x270e
	s_mov_b64 s[36:37], -1
	s_cbranch_scc0 .LBB2_709
; %bb.708:                              ;   in Loop: Header=BB2_706 Depth=4
	s_trap 2
	ds_read_b64 v[10:11], v0
	s_andn2_b64 s[48:49], s[48:49], exec
	s_mov_b32 s83, 0
	s_mov_b64 s[38:39], 0
	s_waitcnt vmcnt(0) lgkmcnt(0)
	flat_load_dword v3, v[10:11] glc
	s_waitcnt vmcnt(0) lgkmcnt(0)
	buffer_wbinvl1_vol
	v_cmp_eq_u32_e64 s[28:29], 0, v3
	s_and_b64 s[28:29], s[28:29], exec
	s_or_b64 s[48:49], s[48:49], s[28:29]
	s_and_saveexec_b64 s[50:51], s[48:49]
	s_cbranch_execz .LBB2_704
	s_branch .LBB2_703
.LBB2_709:                              ;   in Loop: Header=BB2_706 Depth=4
	s_add_i32 s83, s83, 1
	s_mov_b64 s[38:39], -1
                                        ; implicit-def: $vgpr3
	s_and_saveexec_b64 s[50:51], s[48:49]
	s_cbranch_execz .LBB2_704
	s_branch .LBB2_703
.LBB2_710:                              ;   in Loop: Header=BB2_700 Depth=3
	s_or_b64 exec, exec, s[90:91]
	s_xor_b64 s[28:29], s[92:93], -1
	s_and_saveexec_b64 s[90:91], s[28:29]
	s_xor_b64 s[28:29], exec, s[90:91]
	s_cbranch_execz .LBB2_712
; %bb.711:                              ;   in Loop: Header=BB2_700 Depth=3
	v_or_b32_e32 v60, 64, v60
	s_waitcnt lgkmcnt(0)
	ds_write_b32 v0, v3
	s_trap 2
.LBB2_712:                              ;   in Loop: Header=BB2_700 Depth=3
	s_or_b64 exec, exec, s[28:29]
.LBB2_713:                              ;   in Loop: Header=BB2_700 Depth=3
	s_or_b64 exec, exec, s[88:89]
	v_and_b32_e32 v3, 0x108, v60
	v_cmp_ne_u32_e32 vcc, s65, v3
	;;#ASMSTART
	s_wakeup
	;;#ASMEND
                                        ; implicit-def: $vgpr10_vgpr11
	s_and_saveexec_b64 s[28:29], vcc
	s_xor_b64 s[28:29], exec, s[28:29]
; %bb.714:                              ;   in Loop: Header=BB2_700 Depth=3
	v_and_b32_e32 v10, 7, v38
	v_mov_b32_e32 v11, v2
                                        ; implicit-def: $vgpr38_vgpr39
; %bb.715:                              ;   in Loop: Header=BB2_700 Depth=3
	s_andn2_saveexec_b64 s[28:29], s[28:29]
	s_cbranch_execz .LBB2_717
; %bb.716:                              ;   in Loop: Header=BB2_700 Depth=3
	buffer_load_dword v14, off, s[0:3], s33 offset:60 ; 4-byte Folded Reload
	buffer_load_dword v15, off, s[0:3], s33 offset:64 ; 4-byte Folded Reload
	;; [unrolled: 1-line block ×4, first 2 shown]
	v_and_b32_e32 v10, 7, v38
	v_ashrrev_i32_e32 v53, 31, v52
	s_waitcnt vmcnt(0)
	v_lshlrev_b64 v[16:17], 1, v[52:53]
	v_mov_b32_e32 v11, v2
	v_mad_u64_u32 v[14:15], s[88:89], v10, 24, v[14:15]
	flat_store_dwordx2 v[14:15], v[16:17] offset:8
.LBB2_717:                              ;   in Loop: Header=BB2_700 Depth=3
	s_or_b64 exec, exec, s[28:29]
	v_and_b32_e32 v3, 0x100, v60
	v_cmp_ne_u32_e32 vcc, 0, v3
	s_mov_b64 s[28:29], -1
                                        ; implicit-def: $vgpr38_vgpr39
	s_and_saveexec_b64 s[88:89], vcc
	s_cbranch_execz .LBB2_721
; %bb.718:                              ;   in Loop: Header=BB2_700 Depth=3
	buffer_load_dword v14, off, s[0:3], s33 offset:60 ; 4-byte Folded Reload
	buffer_load_dword v15, off, s[0:3], s33 offset:64 ; 4-byte Folded Reload
	buffer_load_dword v16, off, s[0:3], s33 offset:68 ; 4-byte Folded Reload
	buffer_load_dword v17, off, s[0:3], s33 offset:72 ; 4-byte Folded Reload
                                        ; implicit-def: $vgpr38_vgpr39
	s_waitcnt vmcnt(0)
	v_mad_u64_u32 v[40:41], s[28:29], v10, 24, v[14:15]
	v_mov_b32_e32 v3, v41
	v_mad_u64_u32 v[14:15], s[28:29], v11, 24, v[3:4]
	v_mov_b32_e32 v41, v14
	flat_load_dword v3, v[40:41]
	s_waitcnt vmcnt(0) lgkmcnt(0)
	v_cmp_ne_u32_e32 vcc, 1, v3
	v_cmp_eq_u32_e64 s[28:29], 1, v3
	s_and_saveexec_b64 s[90:91], s[28:29]
	s_cbranch_execz .LBB2_720
; %bb.719:                              ;   in Loop: Header=BB2_700 Depth=3
	flat_load_dword v14, v[40:41] offset:4 glc
	s_waitcnt vmcnt(0) lgkmcnt(0)
	v_ashrrev_i32_e32 v15, 31, v14
	v_lshrrev_b64 v[38:39], 1, v[14:15]
.LBB2_720:                              ;   in Loop: Header=BB2_700 Depth=3
	s_or_b64 exec, exec, s[90:91]
	s_orn2_b64 s[28:29], vcc, exec
.LBB2_721:                              ;   in Loop: Header=BB2_700 Depth=3
	s_or_b64 exec, exec, s[88:89]
	s_and_saveexec_b64 s[88:89], s[28:29]
	s_cbranch_execz .LBB2_723
; %bb.722:                              ;   in Loop: Header=BB2_700 Depth=3
	v_mul_lo_u32 v3, v11, v61
	v_ashrrev_i32_e32 v11, 31, v61
	v_mul_lo_u32 v11, v10, v11
	v_mad_u64_u32 v[38:39], s[28:29], v10, v61, 0
	v_add3_u32 v39, v39, v11, v3
.LBB2_723:                              ;   in Loop: Header=BB2_700 Depth=3
	s_or_b64 exec, exec, s[88:89]
	v_lshlrev_b64 v[10:11], 1, v[38:39]
	v_cmp_eq_u32_e32 vcc, 0, v0
	v_mov_b32_e32 v0, 0xc8
	v_mov_b32_e32 v3, 0x90
	v_cndmask_b32_e32 v0, v0, v3, vcc
	v_add_co_u32_e32 v10, vcc, v6, v10
	v_addc_co_u32_e32 v11, vcc, v7, v11, vcc
	v_add_u32_e32 v0, v0, v0
	ds_write_b64 v0, v[10:11] offset:584
	v_and_b32_e32 v0, 0x2000, v60
	v_cmp_ne_u32_e32 vcc, 0, v0
	s_and_saveexec_b64 s[28:29], vcc
	s_cbranch_execz .LBB2_725
; %bb.724:                              ;   in Loop: Header=BB2_700 Depth=3
	ds_read_b64 v[10:11], v0 offset:872
	s_waitcnt lgkmcnt(0)
	v_add_co_u32_e32 v10, vcc, 1, v10
	v_addc_co_u32_e32 v11, vcc, 0, v11, vcc
	ds_write_b64 v0, v[10:11] offset:872
.LBB2_725:                              ;   in Loop: Header=BB2_700 Depth=3
	s_or_b64 exec, exec, s[28:29]
	v_mov_b32_e32 v39, v9
	v_mov_b32_e32 v38, v8
.LBB2_726:                              ;   in Loop: Header=BB2_700 Depth=3
	s_or_b64 exec, exec, s[78:79]
	s_xor_b64 s[28:29], s[76:77], -1
	s_and_b64 s[28:29], exec, s[28:29]
	s_or_b64 s[42:43], s[28:29], s[42:43]
	s_and_saveexec_b64 s[28:29], s[10:11]
	s_cbranch_execz .LBB2_745
; %bb.727:                              ;   in Loop: Header=BB2_700 Depth=3
	s_and_saveexec_b64 s[76:77], s[56:57]
	s_xor_b64 s[76:77], exec, s[76:77]
	s_cbranch_execz .LBB2_742
; %bb.728:                              ;   in Loop: Header=BB2_700 Depth=3
	s_and_saveexec_b64 s[78:79], s[16:17]
	s_cbranch_execz .LBB2_741
; %bb.729:                              ;   in Loop: Header=BB2_700 Depth=3
	s_mov_b64 s[90:91], exec
	v_mbcnt_lo_u32_b32 v0, s90, 0
	v_mbcnt_hi_u32_b32 v0, s91, v0
	v_cmp_eq_u32_e32 vcc, 0, v0
	s_waitcnt vmcnt(0) lgkmcnt(0)
	buffer_wbinvl1_vol
	s_and_saveexec_b64 s[88:89], vcc
	s_cbranch_execz .LBB2_731
; %bb.730:                              ;   in Loop: Header=BB2_700 Depth=3
	s_bcnt1_i32_b64 s90, s[90:91]
	v_mov_b32_e32 v8, s90
	v_mov_b32_e32 v9, v2
	ds_add_u64 v0, v[8:9]
	s_trap 2
.LBB2_731:                              ;   in Loop: Header=BB2_700 Depth=3
	s_or_b64 exec, exec, s[88:89]
	s_trap 2
	ds_read_b64 v[8:9], v0
	s_waitcnt lgkmcnt(0)
	v_add_co_u32_e32 v12, vcc, v12, v62
	v_addc_co_u32_e32 v13, vcc, 0, v13, vcc
	v_cmp_lt_u64_e32 vcc, v[8:9], v[12:13]
	s_and_saveexec_b64 s[88:89], vcc
	s_cbranch_execz .LBB2_740
; %bb.732:                              ;   in Loop: Header=BB2_700 Depth=3
	s_mov_b32 s36, 0
	s_mov_b64 s[90:91], 0
                                        ; implicit-def: $sgpr92_sgpr93
                                        ; implicit-def: $sgpr94_sgpr95
	s_branch .LBB2_734
.LBB2_733:                              ;   in Loop: Header=BB2_734 Depth=4
	s_or_b64 exec, exec, s[34:35]
	s_and_b64 vcc, exec, vcc
	s_or_b64 s[90:91], vcc, s[90:91]
	s_andn2_b64 s[92:93], s[92:93], exec
	s_and_b64 vcc, s[94:95], exec
	s_or_b64 s[92:93], s[92:93], vcc
	s_andn2_b64 exec, exec, s[90:91]
	s_cbranch_execz .LBB2_738
.LBB2_734:                              ;   Parent Loop BB2_47 Depth=1
                                        ;     Parent Loop BB2_385 Depth=2
                                        ;       Parent Loop BB2_700 Depth=3
                                        ; =>      This Inner Loop Header: Depth=4
	s_add_i32 s36, s36, 1
	s_cmpk_lg_i32 s36, 0x2710
	s_cselect_b64 s[30:31], -1, 0
	s_and_b64 vcc, exec, s[30:31]
	s_cbranch_vccz .LBB2_736
; %bb.735:                              ;   in Loop: Header=BB2_734 Depth=4
	s_mov_b64 vcc, -1
	s_or_b64 s[94:95], s[94:95], exec
	s_and_saveexec_b64 s[34:35], s[30:31]
	s_cbranch_execz .LBB2_733
	s_branch .LBB2_737
.LBB2_736:                              ;   in Loop: Header=BB2_734 Depth=4
	s_trap 2
	ds_read_b64 v[8:9], v0
	s_andn2_b64 s[30:31], s[30:31], exec
	s_mov_b32 s36, 0
	s_waitcnt lgkmcnt(0)
	flat_load_dword v0, v[8:9] glc
	s_waitcnt vmcnt(0) lgkmcnt(0)
	buffer_wbinvl1_vol
	v_cmp_eq_u32_e32 vcc, 0, v0
	s_and_b64 vcc, vcc, exec
	s_or_b64 s[30:31], s[30:31], vcc
	s_mov_b64 vcc, -1
	s_or_b64 s[94:95], s[94:95], exec
	s_and_saveexec_b64 s[34:35], s[30:31]
	s_cbranch_execz .LBB2_733
.LBB2_737:                              ;   in Loop: Header=BB2_734 Depth=4
	s_sleep 1
	s_trap 2
	ds_read_b64 v[8:9], v0
	s_waitcnt lgkmcnt(0)
	s_andn2_b64 s[94:95], s[94:95], exec
	v_cmp_ge_u64_e32 vcc, v[8:9], v[12:13]
	s_orn2_b64 vcc, vcc, exec
	s_branch .LBB2_733
.LBB2_738:                              ;   in Loop: Header=BB2_700 Depth=3
	s_or_b64 exec, exec, s[90:91]
	s_and_saveexec_b64 s[90:91], s[92:93]
	s_xor_b64 s[90:91], exec, s[90:91]
	s_cbranch_execz .LBB2_740
; %bb.739:                              ;   in Loop: Header=BB2_700 Depth=3
	ds_write_b32 v0, v18
	s_trap 2
.LBB2_740:                              ;   in Loop: Header=BB2_700 Depth=3
	s_or_b64 exec, exec, s[88:89]
	;;#ASMSTART
	s_wakeup
	;;#ASMEND
.LBB2_741:                              ;   in Loop: Header=BB2_700 Depth=3
	s_or_b64 exec, exec, s[78:79]
.LBB2_742:                              ;   in Loop: Header=BB2_700 Depth=3
	s_andn2_saveexec_b64 s[76:77], s[76:77]
	s_cbranch_execz .LBB2_744
; %bb.743:                              ;   in Loop: Header=BB2_700 Depth=3
	s_waitcnt vmcnt(0) lgkmcnt(0)
	buffer_wbinvl1_vol
	s_barrier
.LBB2_744:                              ;   in Loop: Header=BB2_700 Depth=3
	s_or_b64 exec, exec, s[76:77]
.LBB2_745:                              ;   in Loop: Header=BB2_700 Depth=3
	s_or_b64 exec, exec, s[28:29]
                                        ; implicit-def: $vgpr0
	s_and_saveexec_b64 s[28:29], s[62:63]
	s_xor_b64 s[28:29], exec, s[28:29]
	s_cbranch_execz .LBB2_757
; %bb.746:                              ;   in Loop: Header=BB2_700 Depth=3
	s_and_saveexec_b64 s[76:77], s[56:57]
	s_xor_b64 s[76:77], exec, s[76:77]
	s_cbranch_execz .LBB2_762
; %bb.747:                              ;   in Loop: Header=BB2_700 Depth=3
	s_and_saveexec_b64 s[78:79], s[16:17]
	s_cbranch_execz .LBB2_761
; %bb.748:                              ;   in Loop: Header=BB2_700 Depth=3
	s_mov_b64 s[90:91], exec
	v_mbcnt_lo_u32_b32 v0, s90, 0
	v_mbcnt_hi_u32_b32 v0, s91, v0
	v_cmp_eq_u32_e32 vcc, 0, v0
	;;#ASMSTART
	s_waitcnt lgkmcnt(0) vmcnt(0)
	;;#ASMEND
	s_and_saveexec_b64 s[88:89], vcc
	s_cbranch_execz .LBB2_750
; %bb.749:                              ;   in Loop: Header=BB2_700 Depth=3
	s_bcnt1_i32_b64 s90, s[90:91]
	v_mov_b32_e32 v8, s90
	v_mov_b32_e32 v9, v2
	s_waitcnt lgkmcnt(0)
	ds_add_u64 v0, v[8:9]
	s_trap 2
.LBB2_750:                              ;   in Loop: Header=BB2_700 Depth=3
	s_or_b64 exec, exec, s[88:89]
	s_trap 2
	ds_read_b64 v[8:9], v0
	s_waitcnt lgkmcnt(0)
	v_add_co_u32_e32 v12, vcc, v12, v62
	v_addc_co_u32_e32 v13, vcc, 0, v13, vcc
	v_cmp_lt_u64_e32 vcc, v[8:9], v[12:13]
	s_and_saveexec_b64 s[88:89], vcc
	s_cbranch_execz .LBB2_760
; %bb.751:                              ;   in Loop: Header=BB2_700 Depth=3
	s_mov_b32 s36, 0
	s_mov_b64 s[90:91], 0
                                        ; implicit-def: $sgpr92_sgpr93
                                        ; implicit-def: $sgpr94_sgpr95
	s_branch .LBB2_753
.LBB2_752:                              ;   in Loop: Header=BB2_753 Depth=4
	s_or_b64 exec, exec, s[34:35]
	s_and_b64 vcc, exec, vcc
	s_or_b64 s[90:91], vcc, s[90:91]
	s_andn2_b64 s[92:93], s[92:93], exec
	s_and_b64 vcc, s[94:95], exec
	s_or_b64 s[92:93], s[92:93], vcc
	s_andn2_b64 exec, exec, s[90:91]
	s_cbranch_execz .LBB2_758
.LBB2_753:                              ;   Parent Loop BB2_47 Depth=1
                                        ;     Parent Loop BB2_385 Depth=2
                                        ;       Parent Loop BB2_700 Depth=3
                                        ; =>      This Inner Loop Header: Depth=4
	s_add_i32 s36, s36, 1
	s_cmpk_lg_i32 s36, 0x2710
	s_cselect_b64 s[30:31], -1, 0
	s_and_b64 vcc, exec, s[30:31]
	s_cbranch_vccz .LBB2_755
; %bb.754:                              ;   in Loop: Header=BB2_753 Depth=4
	s_mov_b64 vcc, -1
	s_or_b64 s[94:95], s[94:95], exec
	s_and_saveexec_b64 s[34:35], s[30:31]
	s_cbranch_execz .LBB2_752
	s_branch .LBB2_756
.LBB2_755:                              ;   in Loop: Header=BB2_753 Depth=4
	s_trap 2
	ds_read_b64 v[8:9], v0
	s_andn2_b64 s[30:31], s[30:31], exec
	s_mov_b32 s36, 0
	s_waitcnt vmcnt(0) lgkmcnt(0)
	flat_load_dword v0, v[8:9] glc
	s_waitcnt vmcnt(0) lgkmcnt(0)
	buffer_wbinvl1_vol
	v_cmp_eq_u32_e32 vcc, 0, v0
	s_and_b64 vcc, vcc, exec
	s_or_b64 s[30:31], s[30:31], vcc
	s_mov_b64 vcc, -1
	s_or_b64 s[94:95], s[94:95], exec
	s_and_saveexec_b64 s[34:35], s[30:31]
	s_cbranch_execz .LBB2_752
.LBB2_756:                              ;   in Loop: Header=BB2_753 Depth=4
	s_sleep 1
	s_trap 2
	ds_read_b64 v[8:9], v0
	s_waitcnt lgkmcnt(0)
	s_andn2_b64 s[94:95], s[94:95], exec
	v_cmp_ge_u64_e32 vcc, v[8:9], v[12:13]
	s_orn2_b64 vcc, vcc, exec
	s_branch .LBB2_752
.LBB2_757:                              ;   in Loop: Header=BB2_700 Depth=3
	s_andn2_saveexec_b64 s[28:29], s[28:29]
	s_cbranch_execnz .LBB2_765
	s_branch .LBB2_768
.LBB2_758:                              ;   in Loop: Header=BB2_700 Depth=3
	s_or_b64 exec, exec, s[90:91]
	s_and_saveexec_b64 s[90:91], s[92:93]
	s_xor_b64 s[90:91], exec, s[90:91]
	s_cbranch_execz .LBB2_760
; %bb.759:                              ;   in Loop: Header=BB2_700 Depth=3
	ds_write_b32 v0, v18
	s_trap 2
.LBB2_760:                              ;   in Loop: Header=BB2_700 Depth=3
	s_or_b64 exec, exec, s[88:89]
	;;#ASMSTART
	s_wakeup
	;;#ASMEND
.LBB2_761:                              ;   in Loop: Header=BB2_700 Depth=3
	s_or_b64 exec, exec, s[78:79]
.LBB2_762:                              ;   in Loop: Header=BB2_700 Depth=3
	s_andn2_saveexec_b64 s[76:77], s[76:77]
	s_cbranch_execz .LBB2_764
; %bb.763:                              ;   in Loop: Header=BB2_700 Depth=3
	;;#ASMSTART
	s_waitcnt lgkmcnt(0) vmcnt(0)
	;;#ASMEND
	s_waitcnt vmcnt(0) lgkmcnt(0)
	s_barrier
.LBB2_764:                              ;   in Loop: Header=BB2_700 Depth=3
	s_or_b64 exec, exec, s[76:77]
	v_and_b32_e32 v0, 16, v60
	s_andn2_saveexec_b64 s[28:29], s[28:29]
	s_cbranch_execz .LBB2_768
.LBB2_765:                              ;   in Loop: Header=BB2_700 Depth=3
	s_trap 2
	ds_read_b32 v0, v0
	v_cmp_lt_i32_e32 vcc, 0, v52
	v_and_b32_e32 v3, 16, v60
	s_waitcnt lgkmcnt(0)
	v_readfirstlane_b32 s76, v0
	s_cmp_eq_u32 s76, 0
	s_cselect_b64 s[76:77], -1, 0
	s_and_b64 s[76:77], vcc, s[76:77]
	v_cmp_ne_u32_e32 vcc, 0, v3
	v_and_b32_e32 v0, 16, v60
	s_and_b64 s[78:79], vcc, s[76:77]
	s_and_saveexec_b64 s[76:77], s[78:79]
	s_cbranch_execz .LBB2_767
; %bb.766:                              ;   in Loop: Header=BB2_700 Depth=3
	v_mov_b32_e32 v0, 1
	s_waitcnt vmcnt(0)
	buffer_wbinvl1_vol
.LBB2_767:                              ;   in Loop: Header=BB2_700 Depth=3
	s_or_b64 exec, exec, s[76:77]
.LBB2_768:                              ;   in Loop: Header=BB2_700 Depth=3
	s_or_b64 exec, exec, s[28:29]
	v_cmp_ne_u32_e32 vcc, 0, v0
	s_xor_b64 s[28:29], s[12:13], -1
	s_and_b64 s[76:77], vcc, s[28:29]
	s_and_saveexec_b64 s[28:29], s[76:77]
	s_cbranch_execz .LBB2_770
; %bb.769:                              ;   in Loop: Header=BB2_700 Depth=3
	s_waitcnt vmcnt(0)
	flat_store_dword v[46:47], v18
.LBB2_770:                              ;   in Loop: Header=BB2_700 Depth=3
	s_or_b64 exec, exec, s[28:29]
	v_and_b32_e32 v0, 48, v60
	v_cmp_ne_u32_e32 vcc, 0, v0
	s_and_saveexec_b64 s[28:29], vcc
	s_cbranch_execz .LBB2_699
; %bb.771:                              ;   in Loop: Header=BB2_700 Depth=3
	v_add_co_u32_e32 v38, vcc, 2, v38
	v_addc_co_u32_e32 v39, vcc, 0, v39, vcc
	flat_store_dwordx2 v[20:21], v[38:39]
	s_branch .LBB2_699
.LBB2_772:                              ;   in Loop: Header=BB2_47 Depth=1
	buffer_load_dword v14, off, s[0:3], s33 offset:128 ; 4-byte Folded Reload
	buffer_load_dword v15, off, s[0:3], s33 offset:132 ; 4-byte Folded Reload
	;; [unrolled: 1-line block ×4, first 2 shown]
	v_mov_b32_e32 v54, 0
	s_waitcnt vmcnt(0)
	v_mul_lo_u32 v3, v14, s53
	v_mul_lo_u32 v0, v15, s52
	v_mad_u64_u32 v[8:9], s[28:29], v14, s52, 0
	v_sub_co_u32_e32 v10, vcc, v10, v8
	v_add3_u32 v9, v9, v3, v0
	v_subb_co_u32_e32 v11, vcc, v11, v9, vcc
	v_cmp_lt_i64_e32 vcc, v[14:15], v[10:11]
	v_mov_b32_e32 v0, 0
	v_cndmask_b32_e32 v10, v10, v14, vcc
	v_max_i32_e32 v3, 0, v10
	v_add_u32_e32 v11, 31, v3
	v_lshrrev_b32_e32 v11, 1, v11
	v_and_b32_e32 v11, 0x3ffffff0, v11
	v_cmp_lt_i32_e32 vcc, 0, v10
	v_max_i32_e32 v52, s71, v11
	s_and_b64 s[28:29], s[72:73], vcc
	s_and_saveexec_b64 s[76:77], s[28:29]
	s_cbranch_execz .LBB2_1286
; %bb.773:                              ;   in Loop: Header=BB2_47 Depth=1
	buffer_load_dword v10, off, s[0:3], s33 offset:96 ; 4-byte Folded Reload
	buffer_load_dword v11, off, s[0:3], s33 offset:100 ; 4-byte Folded Reload
	s_mov_b32 s75, 1
	s_mov_b64 s[88:89], -1
	v_mov_b32_e32 v54, 0
	s_mov_b64 s[78:79], 0
	s_waitcnt vmcnt(0)
	v_add_co_u32_e32 v8, vcc, v8, v10
	v_addc_co_u32_e32 v9, vcc, v9, v11, vcc
	v_lshlrev_b64 v[24:25], 1, v[8:9]
	s_branch .LBB2_775
.LBB2_774:                              ;   in Loop: Header=BB2_775 Depth=2
	s_or_b64 exec, exec, s[28:29]
	v_add_u32_e32 v54, v52, v54
	v_cmp_ge_i32_e32 vcc, v54, v3
	s_xor_b64 s[28:29], s[88:89], -1
	s_or_b64 s[28:29], s[28:29], vcc
	s_and_b64 s[28:29], exec, s[28:29]
	s_or_b64 s[78:79], s[28:29], s[78:79]
	s_mov_b64 s[88:89], 0
	v_mov_b32_e32 v0, s75
	s_mov_b32 s75, 2
	s_andn2_b64 exec, exec, s[78:79]
	s_cbranch_execz .LBB2_1361
.LBB2_775:                              ;   Parent Loop BB2_47 Depth=1
                                        ; =>  This Loop Header: Depth=2
                                        ;       Child Loop BB2_783 Depth 3
                                        ;       Child Loop BB2_811 Depth 3
	;; [unrolled: 1-line block ×4, first 2 shown]
                                        ;         Child Loop BB2_918 Depth 4
                                        ;       Child Loop BB2_924 Depth 3
                                        ;         Child Loop BB2_989 Depth 4
                                        ;       Child Loop BB2_997 Depth 3
                                        ;       Child Loop BB2_1033 Depth 3
                                        ;         Child Loop BB2_1042 Depth 4
                                        ;       Child Loop BB2_1055 Depth 3
                                        ;       Child Loop BB2_1124 Depth 3
	;; [unrolled: 1-line block ×6, first 2 shown]
	s_and_saveexec_b64 s[28:29], s[4:5]
	s_cbranch_execz .LBB2_777
; %bb.776:                              ;   in Loop: Header=BB2_775 Depth=2
	s_trap 2
	ds_read2_b64 v[8:11], v0 offset1:1
	v_ashrrev_i32_e32 v55, 31, v54
	s_waitcnt lgkmcnt(0)
	v_add_co_u32_e32 v0, vcc, v8, v24
	v_addc_co_u32_e32 v15, vcc, v9, v25, vcc
	v_lshlrev_b64 v[8:9], 1, v[54:55]
	v_add_co_u32_e32 v14, vcc, v0, v8
	v_addc_co_u32_e32 v15, vcc, v15, v9, vcc
	ds_write_b64 v0, v[14:15]
	v_add_co_u32_e32 v0, vcc, v10, v24
	v_addc_co_u32_e32 v11, vcc, v11, v25, vcc
	v_add_co_u32_e32 v10, vcc, v0, v8
	v_addc_co_u32_e32 v11, vcc, v11, v9, vcc
	ds_write_b64 v0, v[10:11]
	ds_read_b64 v[10:11], v0
	s_waitcnt lgkmcnt(0)
	v_add_co_u32_e32 v0, vcc, v10, v24
	v_addc_co_u32_e32 v14, vcc, v11, v25, vcc
	v_add_co_u32_e32 v0, vcc, v0, v8
	v_addc_co_u32_e32 v8, vcc, v14, v9, vcc
	v_cmp_ne_u64_e32 vcc, 0, v[10:11]
	v_cndmask_b32_e32 v9, 0, v8, vcc
	v_cndmask_b32_e32 v8, 0, v0, vcc
	ds_write_b64 v0, v[8:9]
.LBB2_777:                              ;   in Loop: Header=BB2_775 Depth=2
	s_or_b64 exec, exec, s[28:29]
	v_sub_u32_e32 v0, v3, v54
	v_min_i32_e32 v52, v52, v0
	v_and_b32_e32 v0, 12, v60
	v_cmp_ne_u32_e32 vcc, 0, v0
	s_and_saveexec_b64 s[40:41], vcc
	s_cbranch_execz .LBB2_803
; %bb.778:                              ;   in Loop: Header=BB2_775 Depth=2
	v_and_b32_e32 v0, 8, v60
	s_waitcnt vmcnt(0) lgkmcnt(0)
	v_add_co_u32_e32 v10, vcc, v26, v0
	v_addc_co_u32_e32 v11, vcc, 0, v27, vcc
	v_add_co_u32_e32 v8, vcc, 2, v38
	v_addc_co_u32_e32 v9, vcc, 0, v39, vcc
	v_cmp_lt_u64_e32 vcc, v[10:11], v[8:9]
	s_and_saveexec_b64 s[42:43], vcc
	s_cbranch_execz .LBB2_790
; %bb.779:                              ;   in Loop: Header=BB2_775 Depth=2
	v_and_b32_e32 v10, 64, v60
	s_mov_b32 s83, 0
	v_cmp_eq_u32_e32 vcc, 0, v10
	s_mov_b64 s[90:91], 0
                                        ; implicit-def: $sgpr92_sgpr93
                                        ; implicit-def: $sgpr94_sgpr95
                                        ; implicit-def: $sgpr30_sgpr31
	s_branch .LBB2_783
.LBB2_780:                              ;   in Loop: Header=BB2_783 Depth=3
	s_waitcnt vmcnt(0) lgkmcnt(0)
	v_add_co_u32_e64 v14, s[28:29], v26, v0
	v_addc_co_u32_e64 v15, s[28:29], 0, v27, s[28:29]
	v_cmp_ge_u64_e64 s[28:29], v[14:15], v[8:9]
	s_or_b64 s[38:39], s[38:39], exec
	s_orn2_b64 s[36:37], s[28:29], exec
.LBB2_781:                              ;   in Loop: Header=BB2_783 Depth=3
	s_or_b64 exec, exec, s[50:51]
	s_andn2_b64 s[28:29], s[30:31], exec
	s_and_b64 s[30:31], s[38:39], exec
	s_or_b64 s[30:31], s[28:29], s[30:31]
	s_andn2_b64 s[28:29], s[94:95], exec
	s_and_b64 s[94:95], s[36:37], exec
	s_or_b64 s[94:95], s[28:29], s[94:95]
.LBB2_782:                              ;   in Loop: Header=BB2_783 Depth=3
	s_or_b64 exec, exec, s[34:35]
	s_and_b64 s[28:29], exec, s[94:95]
	s_or_b64 s[90:91], s[28:29], s[90:91]
	s_andn2_b64 s[28:29], s[92:93], exec
	s_and_b64 s[92:93], s[30:31], exec
	s_or_b64 s[92:93], s[28:29], s[92:93]
	s_andn2_b64 exec, exec, s[90:91]
	s_cbranch_execz .LBB2_787
.LBB2_783:                              ;   Parent Loop BB2_47 Depth=1
                                        ;     Parent Loop BB2_775 Depth=2
                                        ; =>    This Inner Loop Header: Depth=3
	s_sleep 1
	s_waitcnt vmcnt(0) lgkmcnt(0)
	flat_load_dwordx2 v[26:27], v[20:21] glc
	s_or_b64 s[30:31], s[30:31], exec
	s_or_b64 s[94:95], s[94:95], exec
                                        ; implicit-def: $vgpr10
	s_and_saveexec_b64 s[34:35], vcc
	s_cbranch_execz .LBB2_782
; %bb.784:                              ;   in Loop: Header=BB2_783 Depth=3
	s_cmpk_lt_i32 s83, 0x270f
	s_cselect_b64 s[48:49], -1, 0
	s_cmpk_gt_i32 s83, 0x270e
	s_mov_b64 s[36:37], -1
	s_cbranch_scc0 .LBB2_786
; %bb.785:                              ;   in Loop: Header=BB2_783 Depth=3
	s_trap 2
	ds_read_b64 v[10:11], v0
	s_andn2_b64 s[48:49], s[48:49], exec
	s_mov_b32 s83, 0
	s_mov_b64 s[38:39], 0
	s_waitcnt vmcnt(0) lgkmcnt(0)
	flat_load_dword v10, v[10:11] glc
	s_waitcnt vmcnt(0) lgkmcnt(0)
	buffer_wbinvl1_vol
	v_cmp_eq_u32_e64 s[28:29], 0, v10
	s_and_b64 s[28:29], s[28:29], exec
	s_or_b64 s[48:49], s[48:49], s[28:29]
	s_and_saveexec_b64 s[50:51], s[48:49]
	s_cbranch_execz .LBB2_781
	s_branch .LBB2_780
.LBB2_786:                              ;   in Loop: Header=BB2_783 Depth=3
	s_add_i32 s83, s83, 1
	s_mov_b64 s[38:39], -1
                                        ; implicit-def: $vgpr10
	s_and_saveexec_b64 s[50:51], s[48:49]
	s_cbranch_execz .LBB2_781
	s_branch .LBB2_780
.LBB2_787:                              ;   in Loop: Header=BB2_775 Depth=2
	s_or_b64 exec, exec, s[90:91]
	s_xor_b64 s[28:29], s[92:93], -1
	s_and_saveexec_b64 s[90:91], s[28:29]
	s_xor_b64 s[28:29], exec, s[90:91]
	s_cbranch_execz .LBB2_789
; %bb.788:                              ;   in Loop: Header=BB2_775 Depth=2
	v_or_b32_e32 v60, 64, v60
	s_waitcnt lgkmcnt(0)
	ds_write_b32 v0, v10
	s_trap 2
.LBB2_789:                              ;   in Loop: Header=BB2_775 Depth=2
	s_or_b64 exec, exec, s[28:29]
.LBB2_790:                              ;   in Loop: Header=BB2_775 Depth=2
	s_or_b64 exec, exec, s[42:43]
	v_and_b32_e32 v10, 0x108, v60
	v_cmp_ne_u32_e32 vcc, s65, v10
	;;#ASMSTART
	s_wakeup
	;;#ASMEND
                                        ; implicit-def: $vgpr10_vgpr11
	s_and_saveexec_b64 s[28:29], vcc
	s_xor_b64 s[28:29], exec, s[28:29]
; %bb.791:                              ;   in Loop: Header=BB2_775 Depth=2
	v_and_b32_e32 v10, 7, v38
	v_mov_b32_e32 v11, v2
                                        ; implicit-def: $vgpr38_vgpr39
; %bb.792:                              ;   in Loop: Header=BB2_775 Depth=2
	s_andn2_saveexec_b64 s[28:29], s[28:29]
	s_cbranch_execz .LBB2_794
; %bb.793:                              ;   in Loop: Header=BB2_775 Depth=2
	buffer_load_dword v14, off, s[0:3], s33 offset:60 ; 4-byte Folded Reload
	buffer_load_dword v15, off, s[0:3], s33 offset:64 ; 4-byte Folded Reload
	;; [unrolled: 1-line block ×4, first 2 shown]
	v_and_b32_e32 v10, 7, v38
	v_ashrrev_i32_e32 v53, 31, v52
	s_waitcnt vmcnt(0)
	v_lshlrev_b64 v[16:17], 1, v[52:53]
	v_mov_b32_e32 v11, v2
	v_mad_u64_u32 v[14:15], s[42:43], v10, 24, v[14:15]
	flat_store_dwordx2 v[14:15], v[16:17] offset:8
.LBB2_794:                              ;   in Loop: Header=BB2_775 Depth=2
	s_or_b64 exec, exec, s[28:29]
	v_and_b32_e32 v14, 0x100, v60
	v_cmp_ne_u32_e32 vcc, 0, v14
	s_mov_b64 s[28:29], -1
                                        ; implicit-def: $vgpr38_vgpr39
	s_and_saveexec_b64 s[42:43], vcc
	s_cbranch_execz .LBB2_798
; %bb.795:                              ;   in Loop: Header=BB2_775 Depth=2
	buffer_load_dword v14, off, s[0:3], s33 offset:60 ; 4-byte Folded Reload
	buffer_load_dword v15, off, s[0:3], s33 offset:64 ; 4-byte Folded Reload
	;; [unrolled: 1-line block ×4, first 2 shown]
                                        ; implicit-def: $vgpr38_vgpr39
	s_waitcnt vmcnt(0)
	v_mad_u64_u32 v[42:43], s[28:29], v10, 24, v[14:15]
	v_mov_b32_e32 v14, v43
	v_mad_u64_u32 v[14:15], s[28:29], v11, 24, v[14:15]
	v_mov_b32_e32 v43, v14
	flat_load_dword v14, v[42:43]
	s_waitcnt vmcnt(0) lgkmcnt(0)
	v_cmp_ne_u32_e32 vcc, 1, v14
	v_cmp_eq_u32_e64 s[28:29], 1, v14
	s_and_saveexec_b64 s[90:91], s[28:29]
	s_cbranch_execz .LBB2_797
; %bb.796:                              ;   in Loop: Header=BB2_775 Depth=2
	flat_load_dword v14, v[42:43] offset:4 glc
	s_waitcnt vmcnt(0) lgkmcnt(0)
	v_ashrrev_i32_e32 v15, 31, v14
	v_lshrrev_b64 v[38:39], 1, v[14:15]
.LBB2_797:                              ;   in Loop: Header=BB2_775 Depth=2
	s_or_b64 exec, exec, s[90:91]
	s_orn2_b64 s[28:29], vcc, exec
.LBB2_798:                              ;   in Loop: Header=BB2_775 Depth=2
	s_or_b64 exec, exec, s[42:43]
	s_and_saveexec_b64 s[42:43], s[28:29]
	s_cbranch_execz .LBB2_800
; %bb.799:                              ;   in Loop: Header=BB2_775 Depth=2
	v_ashrrev_i32_e32 v14, 31, v61
	v_mul_lo_u32 v11, v11, v61
	v_mul_lo_u32 v14, v10, v14
	v_mad_u64_u32 v[38:39], s[28:29], v10, v61, 0
	v_add3_u32 v39, v39, v14, v11
.LBB2_800:                              ;   in Loop: Header=BB2_775 Depth=2
	s_or_b64 exec, exec, s[42:43]
	v_cmp_eq_u32_e32 vcc, 0, v0
	v_mov_b32_e32 v0, 0x90
	v_mov_b32_e32 v10, 0xd0
	v_cndmask_b32_e32 v0, v10, v0, vcc
	v_lshlrev_b64 v[10:11], 1, v[38:39]
	v_add_u32_e32 v0, v0, v0
	v_add_co_u32_e32 v10, vcc, v6, v10
	v_addc_co_u32_e32 v11, vcc, v7, v11, vcc
	ds_write_b64 v0, v[10:11] offset:584
	v_and_b32_e32 v0, 0x2000, v60
	v_cmp_ne_u32_e32 vcc, 0, v0
	s_and_saveexec_b64 s[28:29], vcc
	s_cbranch_execz .LBB2_802
; %bb.801:                              ;   in Loop: Header=BB2_775 Depth=2
	ds_read_b64 v[10:11], v0 offset:872
	s_waitcnt lgkmcnt(0)
	v_add_co_u32_e32 v10, vcc, 1, v10
	v_addc_co_u32_e32 v11, vcc, 0, v11, vcc
	ds_write_b64 v0, v[10:11] offset:872
.LBB2_802:                              ;   in Loop: Header=BB2_775 Depth=2
	s_or_b64 exec, exec, s[28:29]
	v_mov_b32_e32 v39, v9
	v_mov_b32_e32 v38, v8
.LBB2_803:                              ;   in Loop: Header=BB2_775 Depth=2
	s_or_b64 exec, exec, s[40:41]
	s_and_saveexec_b64 s[28:29], s[10:11]
	s_cbranch_execz .LBB2_822
; %bb.804:                              ;   in Loop: Header=BB2_775 Depth=2
	s_and_saveexec_b64 s[40:41], s[56:57]
	s_xor_b64 s[40:41], exec, s[40:41]
	s_cbranch_execz .LBB2_819
; %bb.805:                              ;   in Loop: Header=BB2_775 Depth=2
	s_and_saveexec_b64 s[42:43], s[16:17]
	s_cbranch_execz .LBB2_818
; %bb.806:                              ;   in Loop: Header=BB2_775 Depth=2
	s_mov_b64 s[92:93], exec
	v_mbcnt_lo_u32_b32 v0, s92, 0
	v_mbcnt_hi_u32_b32 v0, s93, v0
	v_cmp_eq_u32_e32 vcc, 0, v0
	s_waitcnt vmcnt(0) lgkmcnt(0)
	buffer_wbinvl1_vol
	s_and_saveexec_b64 s[90:91], vcc
	s_cbranch_execz .LBB2_808
; %bb.807:                              ;   in Loop: Header=BB2_775 Depth=2
	s_bcnt1_i32_b64 s92, s[92:93]
	v_mov_b32_e32 v8, s92
	v_mov_b32_e32 v9, v2
	ds_add_u64 v0, v[8:9]
	s_trap 2
.LBB2_808:                              ;   in Loop: Header=BB2_775 Depth=2
	s_or_b64 exec, exec, s[90:91]
	s_trap 2
	ds_read_b64 v[8:9], v0
	s_waitcnt lgkmcnt(0)
	v_add_co_u32_e32 v12, vcc, v12, v62
	v_addc_co_u32_e32 v13, vcc, 0, v13, vcc
	v_cmp_lt_u64_e32 vcc, v[8:9], v[12:13]
	s_and_saveexec_b64 s[90:91], vcc
	s_cbranch_execz .LBB2_817
; %bb.809:                              ;   in Loop: Header=BB2_775 Depth=2
	s_mov_b32 s38, 0
	s_mov_b64 s[92:93], 0
                                        ; implicit-def: $sgpr94_sgpr95
                                        ; implicit-def: $sgpr30_sgpr31
	s_branch .LBB2_811
.LBB2_810:                              ;   in Loop: Header=BB2_811 Depth=3
	s_or_b64 exec, exec, s[36:37]
	s_and_b64 vcc, exec, vcc
	s_or_b64 s[92:93], vcc, s[92:93]
	s_andn2_b64 s[94:95], s[94:95], exec
	s_and_b64 vcc, s[30:31], exec
	s_or_b64 s[94:95], s[94:95], vcc
	s_andn2_b64 exec, exec, s[92:93]
	s_cbranch_execz .LBB2_815
.LBB2_811:                              ;   Parent Loop BB2_47 Depth=1
                                        ;     Parent Loop BB2_775 Depth=2
                                        ; =>    This Inner Loop Header: Depth=3
	s_add_i32 s38, s38, 1
	s_cmpk_lg_i32 s38, 0x2710
	s_cselect_b64 s[34:35], -1, 0
	s_and_b64 vcc, exec, s[34:35]
	s_cbranch_vccz .LBB2_813
; %bb.812:                              ;   in Loop: Header=BB2_811 Depth=3
	s_mov_b64 vcc, -1
	s_or_b64 s[30:31], s[30:31], exec
	s_and_saveexec_b64 s[36:37], s[34:35]
	s_cbranch_execz .LBB2_810
	s_branch .LBB2_814
.LBB2_813:                              ;   in Loop: Header=BB2_811 Depth=3
	s_trap 2
	ds_read_b64 v[8:9], v0
	s_andn2_b64 s[34:35], s[34:35], exec
	s_mov_b32 s38, 0
	s_waitcnt lgkmcnt(0)
	flat_load_dword v0, v[8:9] glc
	s_waitcnt vmcnt(0) lgkmcnt(0)
	buffer_wbinvl1_vol
	v_cmp_eq_u32_e32 vcc, 0, v0
	s_and_b64 vcc, vcc, exec
	s_or_b64 s[34:35], s[34:35], vcc
	s_mov_b64 vcc, -1
	s_or_b64 s[30:31], s[30:31], exec
	s_and_saveexec_b64 s[36:37], s[34:35]
	s_cbranch_execz .LBB2_810
.LBB2_814:                              ;   in Loop: Header=BB2_811 Depth=3
	s_sleep 1
	s_trap 2
	ds_read_b64 v[8:9], v0
	s_waitcnt lgkmcnt(0)
	s_andn2_b64 s[30:31], s[30:31], exec
	v_cmp_ge_u64_e32 vcc, v[8:9], v[12:13]
	s_orn2_b64 vcc, vcc, exec
	s_branch .LBB2_810
.LBB2_815:                              ;   in Loop: Header=BB2_775 Depth=2
	s_or_b64 exec, exec, s[92:93]
	s_and_saveexec_b64 s[92:93], s[94:95]
	s_xor_b64 s[92:93], exec, s[92:93]
	s_cbranch_execz .LBB2_817
; %bb.816:                              ;   in Loop: Header=BB2_775 Depth=2
	ds_write_b32 v0, v18
	s_trap 2
.LBB2_817:                              ;   in Loop: Header=BB2_775 Depth=2
	s_or_b64 exec, exec, s[90:91]
	;;#ASMSTART
	s_wakeup
	;;#ASMEND
.LBB2_818:                              ;   in Loop: Header=BB2_775 Depth=2
	s_or_b64 exec, exec, s[42:43]
.LBB2_819:                              ;   in Loop: Header=BB2_775 Depth=2
	s_andn2_saveexec_b64 s[40:41], s[40:41]
	s_cbranch_execz .LBB2_821
; %bb.820:                              ;   in Loop: Header=BB2_775 Depth=2
	s_waitcnt vmcnt(0) lgkmcnt(0)
	buffer_wbinvl1_vol
	s_barrier
.LBB2_821:                              ;   in Loop: Header=BB2_775 Depth=2
	s_or_b64 exec, exec, s[40:41]
.LBB2_822:                              ;   in Loop: Header=BB2_775 Depth=2
	s_or_b64 exec, exec, s[28:29]
	s_trap 2
	ds_read_b32 v0, v0
	v_and_b32_e32 v8, 0x4000, v60
	v_cmp_ne_u32_e32 vcc, 0, v8
	s_xor_b64 s[28:29], s[6:7], -1
	s_and_b64 s[40:41], s[28:29], vcc
	s_and_saveexec_b64 s[28:29], s[40:41]
	s_cbranch_execz .LBB2_841
; %bb.823:                              ;   in Loop: Header=BB2_775 Depth=2
	s_and_saveexec_b64 s[40:41], s[56:57]
	s_xor_b64 s[40:41], exec, s[40:41]
	s_cbranch_execz .LBB2_838
; %bb.824:                              ;   in Loop: Header=BB2_775 Depth=2
	s_and_saveexec_b64 s[42:43], s[16:17]
	s_cbranch_execz .LBB2_837
; %bb.825:                              ;   in Loop: Header=BB2_775 Depth=2
	s_mov_b64 s[92:93], exec
	v_mbcnt_lo_u32_b32 v8, s92, 0
	v_mbcnt_hi_u32_b32 v8, s93, v8
	v_cmp_eq_u32_e32 vcc, 0, v8
	s_waitcnt vmcnt(0) lgkmcnt(0)
	buffer_wbinvl1_vol
	s_and_saveexec_b64 s[90:91], vcc
	s_cbranch_execz .LBB2_827
; %bb.826:                              ;   in Loop: Header=BB2_775 Depth=2
	s_bcnt1_i32_b64 s92, s[92:93]
	v_mov_b32_e32 v8, s92
	v_mov_b32_e32 v9, v2
	ds_add_u64 v0, v[8:9]
	s_trap 2
.LBB2_827:                              ;   in Loop: Header=BB2_775 Depth=2
	s_or_b64 exec, exec, s[90:91]
	s_trap 2
	ds_read_b64 v[8:9], v0
	s_waitcnt lgkmcnt(0)
	v_add_co_u32_e32 v12, vcc, v12, v62
	v_addc_co_u32_e32 v13, vcc, 0, v13, vcc
	v_cmp_lt_u64_e32 vcc, v[8:9], v[12:13]
	s_and_saveexec_b64 s[90:91], vcc
	s_cbranch_execz .LBB2_836
; %bb.828:                              ;   in Loop: Header=BB2_775 Depth=2
	s_mov_b32 s38, 0
	s_mov_b64 s[92:93], 0
                                        ; implicit-def: $sgpr94_sgpr95
                                        ; implicit-def: $sgpr30_sgpr31
	s_branch .LBB2_830
.LBB2_829:                              ;   in Loop: Header=BB2_830 Depth=3
	s_or_b64 exec, exec, s[36:37]
	s_and_b64 vcc, exec, vcc
	s_or_b64 s[92:93], vcc, s[92:93]
	s_andn2_b64 s[94:95], s[94:95], exec
	s_and_b64 vcc, s[30:31], exec
	s_or_b64 s[94:95], s[94:95], vcc
	s_andn2_b64 exec, exec, s[92:93]
	s_cbranch_execz .LBB2_834
.LBB2_830:                              ;   Parent Loop BB2_47 Depth=1
                                        ;     Parent Loop BB2_775 Depth=2
                                        ; =>    This Inner Loop Header: Depth=3
	s_add_i32 s38, s38, 1
	s_cmpk_lg_i32 s38, 0x2710
	s_cselect_b64 s[34:35], -1, 0
	s_and_b64 vcc, exec, s[34:35]
	s_cbranch_vccz .LBB2_832
; %bb.831:                              ;   in Loop: Header=BB2_830 Depth=3
	s_mov_b64 vcc, -1
	s_or_b64 s[30:31], s[30:31], exec
	s_and_saveexec_b64 s[36:37], s[34:35]
	s_cbranch_execz .LBB2_829
	s_branch .LBB2_833
.LBB2_832:                              ;   in Loop: Header=BB2_830 Depth=3
	s_trap 2
	ds_read_b64 v[8:9], v0
	s_andn2_b64 s[34:35], s[34:35], exec
	s_mov_b32 s38, 0
	s_waitcnt lgkmcnt(0)
	flat_load_dword v8, v[8:9] glc
	s_waitcnt vmcnt(0) lgkmcnt(0)
	buffer_wbinvl1_vol
	v_cmp_eq_u32_e32 vcc, 0, v8
	s_and_b64 vcc, vcc, exec
	s_or_b64 s[34:35], s[34:35], vcc
	s_mov_b64 vcc, -1
	s_or_b64 s[30:31], s[30:31], exec
	s_and_saveexec_b64 s[36:37], s[34:35]
	s_cbranch_execz .LBB2_829
.LBB2_833:                              ;   in Loop: Header=BB2_830 Depth=3
	s_sleep 1
	s_trap 2
	ds_read_b64 v[8:9], v0
	s_waitcnt lgkmcnt(0)
	s_andn2_b64 s[30:31], s[30:31], exec
	v_cmp_ge_u64_e32 vcc, v[8:9], v[12:13]
	s_orn2_b64 vcc, vcc, exec
	s_branch .LBB2_829
.LBB2_834:                              ;   in Loop: Header=BB2_775 Depth=2
	s_or_b64 exec, exec, s[92:93]
	s_and_saveexec_b64 s[92:93], s[94:95]
	s_xor_b64 s[92:93], exec, s[92:93]
	s_cbranch_execz .LBB2_836
; %bb.835:                              ;   in Loop: Header=BB2_775 Depth=2
	ds_write_b32 v0, v18
	s_trap 2
.LBB2_836:                              ;   in Loop: Header=BB2_775 Depth=2
	s_or_b64 exec, exec, s[90:91]
	;;#ASMSTART
	s_wakeup
	;;#ASMEND
.LBB2_837:                              ;   in Loop: Header=BB2_775 Depth=2
	s_or_b64 exec, exec, s[42:43]
.LBB2_838:                              ;   in Loop: Header=BB2_775 Depth=2
	s_andn2_saveexec_b64 s[40:41], s[40:41]
	s_cbranch_execz .LBB2_840
; %bb.839:                              ;   in Loop: Header=BB2_775 Depth=2
	s_waitcnt vmcnt(0) lgkmcnt(0)
	buffer_wbinvl1_vol
	s_barrier
.LBB2_840:                              ;   in Loop: Header=BB2_775 Depth=2
	s_or_b64 exec, exec, s[40:41]
.LBB2_841:                              ;   in Loop: Header=BB2_775 Depth=2
	s_or_b64 exec, exec, s[28:29]
	s_trap 2
	s_waitcnt lgkmcnt(0)
	ds_read_b64 v[44:45], v0
	s_waitcnt lgkmcnt(0)
	v_cmp_eq_u64_e32 vcc, 0, v[44:45]
	s_cbranch_vccnz .LBB2_850
; %bb.842:                              ;   in Loop: Header=BB2_775 Depth=2
	s_trap 2
	ds_read_b64 v[8:9], v0
	s_waitcnt lgkmcnt(0)
	buffer_store_dword v8, off, s[0:3], s33 offset:136 ; 4-byte Folded Spill
	s_nop 0
	buffer_store_dword v9, off, s[0:3], s33 offset:140 ; 4-byte Folded Spill
	v_cmp_eq_u64_e32 vcc, 0, v[8:9]
	s_cbranch_vccnz .LBB2_850
; %bb.843:                              ;   in Loop: Header=BB2_775 Depth=2
	s_trap 2
	s_waitcnt vmcnt(0)
	ds_read_b64 v[46:47], v0
	v_cmp_eq_u32_e32 vcc, 0, v0
	v_cndmask_b32_e32 v59, 0, v52, vcc
	v_lshlrev_b32_e32 v48, 1, v59
	s_mov_b64 s[28:29], -1
	s_waitcnt lgkmcnt(0)
	v_cmp_ne_u64_e32 vcc, 0, v[46:47]
	s_cbranch_vccz .LBB2_1045
; %bb.844:                              ;   in Loop: Header=BB2_775 Depth=2
	s_and_saveexec_b64 s[40:41], s[22:23]
	s_cbranch_execz .LBB2_846
; %bb.845:                              ;   in Loop: Header=BB2_775 Depth=2
	ds_read_b32 v0, v0 offset:720
	s_waitcnt lgkmcnt(0)
	v_and_b32_e32 v0, 15, v0
	v_cmp_eq_u32_e32 vcc, 0, v0
	s_orn2_b64 s[28:29], vcc, exec
.LBB2_846:                              ;   in Loop: Header=BB2_775 Depth=2
	s_or_b64 exec, exec, s[40:41]
	s_and_saveexec_b64 s[40:41], s[22:23]
	s_cbranch_execz .LBB2_848
; %bb.847:                              ;   in Loop: Header=BB2_775 Depth=2
	ds_read_b32 v0, v0 offset:784
	s_waitcnt lgkmcnt(0)
	v_and_b32_e32 v0, 15, v0
	v_cmp_eq_u32_e32 vcc, 0, v0
	s_and_b64 s[42:43], s[28:29], vcc
	s_andn2_b64 s[28:29], s[28:29], exec
	s_and_b64 s[42:43], s[42:43], exec
	s_or_b64 s[28:29], s[28:29], s[42:43]
.LBB2_848:                              ;   in Loop: Header=BB2_775 Depth=2
	s_or_b64 exec, exec, s[40:41]
	s_xor_b64 s[28:29], s[28:29], -1
	v_cndmask_b32_e64 v0, 0, 1, s[28:29]
	s_mov_b64 s[40:41], -1
	v_mov_b32_e32 v14, 0
	v_cmp_ne_u32_e32 vcc, 0, v0
	v_mov_b32_e32 v15, v48
	v_mov_b32_e32 v30, v56
	s_cbranch_vccz .LBB2_851
; %bb.849:                              ;   in Loop: Header=BB2_775 Depth=2
	s_and_saveexec_b64 s[42:43], s[40:41]
	s_cbranch_execnz .LBB2_994
	s_branch .LBB2_1044
.LBB2_850:                              ;   in Loop: Header=BB2_775 Depth=2
	s_mov_b64 s[28:29], 0
	s_and_saveexec_b64 s[40:41], s[10:11]
	s_cbranch_execnz .LBB2_1241
	s_branch .LBB2_1259
.LBB2_851:                              ;   in Loop: Header=BB2_775 Depth=2
	buffer_load_dword v0, off, s[0:3], s33 offset:104 ; 4-byte Folded Reload
	s_waitcnt vmcnt(0)
	v_sub_u32_e32 v49, v48, v0
	v_ashrrev_i32_e32 v0, 31, v48
	v_lshrrev_b32_e32 v0, 22, v0
	v_add_u32_e32 v0, v48, v0
	v_ashrrev_i32_e32 v8, 10, v0
	v_and_b32_e32 v23, 0xfffffc00, v0
	buffer_load_dword v0, off, s[0:3], s33 offset:108 ; 4-byte Folded Reload
	v_sub_u32_e32 v19, v48, v23
	v_cmp_lt_i32_e64 s[28:29], 15, v19
	s_waitcnt vmcnt(0)
	v_sub_u32_e32 v0, v8, v0
	v_addc_co_u32_e64 v53, vcc, 0, v0, s[28:29]
	v_cmp_lt_i32_e32 vcc, 15, v49
	s_and_saveexec_b64 s[90:91], vcc
	s_cbranch_execz .LBB2_921
; %bb.852:                              ;   in Loop: Header=BB2_775 Depth=2
	buffer_load_dword v8, off, s[0:3], s33 offset:136 ; 4-byte Folded Reload
	buffer_load_dword v9, off, s[0:3], s33 offset:140 ; 4-byte Folded Reload
	;; [unrolled: 1-line block ×3, first 2 shown]
	s_trap 2
	s_mov_b64 s[92:93], 0
	s_waitcnt vmcnt(0)
	v_add_co_u32_e32 v14, vcc, v8, v10
	v_addc_co_u32_e32 v15, vcc, 0, v9, vcc
	ds_read_b64 v[8:9], v0
	v_add_co_u32_e32 v30, vcc, v46, v10
	ds_read_b32 v0, v0
	v_addc_co_u32_e32 v32, vcc, 0, v47, vcc
	v_add_co_u32_e32 v55, vcc, v44, v10
	v_addc_co_u32_e32 v56, vcc, 0, v45, vcc
	s_waitcnt lgkmcnt(1)
	v_add_co_u32_e32 v57, vcc, v8, v10
	v_addc_co_u32_e32 v58, vcc, 0, v9, vcc
	s_waitcnt lgkmcnt(0)
	v_lshlrev_b32_e32 v42, 16, v0
.LBB2_853:                              ;   Parent Loop BB2_47 Depth=1
                                        ;     Parent Loop BB2_775 Depth=2
                                        ; =>    This Loop Header: Depth=3
                                        ;         Child Loop BB2_918 Depth 4
	global_load_dwordx4 v[8:11], v[55:56], off glc slc
                                        ; implicit-def: $vgpr17
	s_waitcnt vmcnt(0)
	v_lshlrev_b32_e32 v0, 16, v8
	v_mul_f32_e32 v0, v42, v0
	v_and_b32_e32 v16, 0x7f800000, v0
	v_cmp_ne_u32_e32 vcc, s54, v16
	s_and_saveexec_b64 s[40:41], vcc
	s_xor_b64 s[40:41], exec, s[40:41]
; %bb.854:                              ;   in Loop: Header=BB2_853 Depth=3
	v_bfe_u32 v16, v0, 16, 1
	v_add3_u32 v17, v0, v16, s55
                                        ; implicit-def: $vgpr0
; %bb.855:                              ;   in Loop: Header=BB2_853 Depth=3
	s_andn2_saveexec_b64 s[40:41], s[40:41]
; %bb.856:                              ;   in Loop: Header=BB2_853 Depth=3
	v_or_b32_e32 v16, 0x10000, v0
	v_cmp_eq_u32_sdwa vcc, v0, v2 src0_sel:WORD_0 src1_sel:DWORD
	v_cndmask_b32_e32 v17, v16, v0, vcc
; %bb.857:                              ;   in Loop: Header=BB2_853 Depth=3
	s_or_b64 exec, exec, s[40:41]
	v_and_b32_e32 v0, 0xffff0000, v8
	v_mul_f32_e32 v0, v42, v0
	v_and_b32_e32 v8, 0x7f800000, v0
	v_cmp_ne_u32_e32 vcc, s54, v8
                                        ; implicit-def: $vgpr16
	s_and_saveexec_b64 s[40:41], vcc
	s_xor_b64 s[40:41], exec, s[40:41]
; %bb.858:                              ;   in Loop: Header=BB2_853 Depth=3
	v_bfe_u32 v8, v0, 16, 1
	v_add3_u32 v16, v0, v8, s55
                                        ; implicit-def: $vgpr0
; %bb.859:                              ;   in Loop: Header=BB2_853 Depth=3
	s_andn2_saveexec_b64 s[40:41], s[40:41]
; %bb.860:                              ;   in Loop: Header=BB2_853 Depth=3
	v_or_b32_e32 v8, 0x10000, v0
	v_cmp_eq_u32_sdwa vcc, v0, v2 src0_sel:WORD_0 src1_sel:DWORD
	v_cndmask_b32_e32 v16, v8, v0, vcc
; %bb.861:                              ;   in Loop: Header=BB2_853 Depth=3
	s_or_b64 exec, exec, s[40:41]
	v_lshlrev_b32_e32 v0, 16, v9
	v_mul_f32_e32 v0, v42, v0
	v_and_b32_e32 v8, 0x7f800000, v0
	v_cmp_ne_u32_e32 vcc, s54, v8
                                        ; implicit-def: $vgpr28
	s_and_saveexec_b64 s[40:41], vcc
	s_xor_b64 s[40:41], exec, s[40:41]
; %bb.862:                              ;   in Loop: Header=BB2_853 Depth=3
	v_bfe_u32 v8, v0, 16, 1
	v_add3_u32 v28, v0, v8, s55
                                        ; implicit-def: $vgpr0
; %bb.863:                              ;   in Loop: Header=BB2_853 Depth=3
	s_andn2_saveexec_b64 s[40:41], s[40:41]
; %bb.864:                              ;   in Loop: Header=BB2_853 Depth=3
	v_or_b32_e32 v8, 0x10000, v0
	v_cmp_eq_u32_sdwa vcc, v0, v2 src0_sel:WORD_0 src1_sel:DWORD
	v_cndmask_b32_e32 v28, v8, v0, vcc
; %bb.865:                              ;   in Loop: Header=BB2_853 Depth=3
	s_or_b64 exec, exec, s[40:41]
	v_and_b32_e32 v0, 0xffff0000, v9
	v_mul_f32_e32 v8, v42, v0
	v_and_b32_e32 v0, 0x7f800000, v8
	v_cmp_ne_u32_e32 vcc, s54, v0
                                        ; implicit-def: $vgpr0
	s_and_saveexec_b64 s[40:41], vcc
	s_xor_b64 s[40:41], exec, s[40:41]
; %bb.866:                              ;   in Loop: Header=BB2_853 Depth=3
	v_bfe_u32 v0, v8, 16, 1
	v_add3_u32 v0, v8, v0, s55
                                        ; implicit-def: $vgpr8
; %bb.867:                              ;   in Loop: Header=BB2_853 Depth=3
	s_andn2_saveexec_b64 s[40:41], s[40:41]
; %bb.868:                              ;   in Loop: Header=BB2_853 Depth=3
	v_or_b32_e32 v0, 0x10000, v8
	v_cmp_eq_u32_sdwa vcc, v8, v2 src0_sel:WORD_0 src1_sel:DWORD
	v_cndmask_b32_e32 v0, v0, v8, vcc
; %bb.869:                              ;   in Loop: Header=BB2_853 Depth=3
	s_or_b64 exec, exec, s[40:41]
	v_lshlrev_b32_e32 v8, 16, v10
	v_mul_f32_e32 v8, v42, v8
	v_and_b32_e32 v9, 0x7f800000, v8
	v_cmp_ne_u32_e32 vcc, s54, v9
                                        ; implicit-def: $vgpr33
	s_and_saveexec_b64 s[40:41], vcc
	s_xor_b64 s[40:41], exec, s[40:41]
; %bb.870:                              ;   in Loop: Header=BB2_853 Depth=3
	v_bfe_u32 v9, v8, 16, 1
	v_add3_u32 v33, v8, v9, s55
                                        ; implicit-def: $vgpr8
; %bb.871:                              ;   in Loop: Header=BB2_853 Depth=3
	s_andn2_saveexec_b64 s[40:41], s[40:41]
; %bb.872:                              ;   in Loop: Header=BB2_853 Depth=3
	v_or_b32_e32 v9, 0x10000, v8
	v_cmp_eq_u32_sdwa vcc, v8, v2 src0_sel:WORD_0 src1_sel:DWORD
	v_cndmask_b32_e32 v33, v9, v8, vcc
; %bb.873:                              ;   in Loop: Header=BB2_853 Depth=3
	s_or_b64 exec, exec, s[40:41]
	v_and_b32_e32 v8, 0xffff0000, v10
	v_mul_f32_e32 v8, v42, v8
	v_and_b32_e32 v9, 0x7f800000, v8
	v_cmp_ne_u32_e32 vcc, s54, v9
                                        ; implicit-def: $vgpr51
	s_and_saveexec_b64 s[40:41], vcc
	s_xor_b64 s[40:41], exec, s[40:41]
; %bb.874:                              ;   in Loop: Header=BB2_853 Depth=3
	v_bfe_u32 v9, v8, 16, 1
	v_add3_u32 v51, v8, v9, s55
                                        ; implicit-def: $vgpr8
; %bb.875:                              ;   in Loop: Header=BB2_853 Depth=3
	s_andn2_saveexec_b64 s[40:41], s[40:41]
; %bb.876:                              ;   in Loop: Header=BB2_853 Depth=3
	v_or_b32_e32 v9, 0x10000, v8
	v_cmp_eq_u32_sdwa vcc, v8, v2 src0_sel:WORD_0 src1_sel:DWORD
	v_cndmask_b32_e32 v51, v9, v8, vcc
; %bb.877:                              ;   in Loop: Header=BB2_853 Depth=3
	s_or_b64 exec, exec, s[40:41]
	v_lshlrev_b32_e32 v8, 16, v11
	v_mul_f32_e32 v8, v42, v8
	v_and_b32_e32 v9, 0x7f800000, v8
	v_cmp_ne_u32_e32 vcc, s54, v9
                                        ; implicit-def: $vgpr50
	s_and_saveexec_b64 s[40:41], vcc
	s_xor_b64 s[40:41], exec, s[40:41]
; %bb.878:                              ;   in Loop: Header=BB2_853 Depth=3
	v_bfe_u32 v9, v8, 16, 1
	v_add3_u32 v50, v8, v9, s55
                                        ; implicit-def: $vgpr8
; %bb.879:                              ;   in Loop: Header=BB2_853 Depth=3
	s_andn2_saveexec_b64 s[40:41], s[40:41]
; %bb.880:                              ;   in Loop: Header=BB2_853 Depth=3
	v_or_b32_e32 v9, 0x10000, v8
	v_cmp_eq_u32_sdwa vcc, v8, v2 src0_sel:WORD_0 src1_sel:DWORD
	v_cndmask_b32_e32 v50, v9, v8, vcc
; %bb.881:                              ;   in Loop: Header=BB2_853 Depth=3
	s_or_b64 exec, exec, s[40:41]
	v_and_b32_e32 v8, 0xffff0000, v11
	v_mul_f32_e32 v8, v42, v8
	v_and_b32_e32 v9, 0x7f800000, v8
	v_cmp_ne_u32_e32 vcc, s54, v9
                                        ; implicit-def: $vgpr36
	s_and_saveexec_b64 s[40:41], vcc
	s_xor_b64 s[40:41], exec, s[40:41]
; %bb.882:                              ;   in Loop: Header=BB2_853 Depth=3
	v_bfe_u32 v9, v8, 16, 1
	v_add3_u32 v36, v8, v9, s55
                                        ; implicit-def: $vgpr8
; %bb.883:                              ;   in Loop: Header=BB2_853 Depth=3
	s_andn2_saveexec_b64 s[40:41], s[40:41]
; %bb.884:                              ;   in Loop: Header=BB2_853 Depth=3
	v_or_b32_e32 v9, 0x10000, v8
	v_cmp_eq_u32_sdwa vcc, v8, v2 src0_sel:WORD_0 src1_sel:DWORD
	v_cndmask_b32_e32 v36, v9, v8, vcc
; %bb.885:                              ;   in Loop: Header=BB2_853 Depth=3
	s_or_b64 exec, exec, s[40:41]
	global_load_dwordx4 v[8:11], v[57:58], off glc slc
	v_and_b32_e32 v17, 0xffff0000, v17
                                        ; implicit-def: $vgpr37
	s_waitcnt vmcnt(0)
	v_lshlrev_b32_e32 v22, 16, v8
	v_add_f32_e32 v17, v17, v22
	v_and_b32_e32 v22, 0x7f800000, v17
	v_cmp_ne_u32_e32 vcc, s54, v22
	s_and_saveexec_b64 s[40:41], vcc
	s_xor_b64 s[40:41], exec, s[40:41]
; %bb.886:                              ;   in Loop: Header=BB2_853 Depth=3
	v_bfe_u32 v22, v17, 16, 1
	v_add3_u32 v37, v17, v22, s55
                                        ; implicit-def: $vgpr17
; %bb.887:                              ;   in Loop: Header=BB2_853 Depth=3
	s_andn2_saveexec_b64 s[40:41], s[40:41]
; %bb.888:                              ;   in Loop: Header=BB2_853 Depth=3
	v_or_b32_e32 v22, 0x10000, v17
	v_cmp_eq_u32_sdwa vcc, v17, v2 src0_sel:WORD_0 src1_sel:DWORD
	v_cndmask_b32_e32 v37, v22, v17, vcc
; %bb.889:                              ;   in Loop: Header=BB2_853 Depth=3
	s_or_b64 exec, exec, s[40:41]
	v_and_b32_e32 v16, 0xffff0000, v16
	v_and_b32_e32 v8, 0xffff0000, v8
	v_add_f32_e32 v16, v16, v8
	v_and_b32_e32 v8, 0x7f800000, v16
	v_cmp_ne_u32_e32 vcc, s54, v8
                                        ; implicit-def: $vgpr8
	s_and_saveexec_b64 s[40:41], vcc
	s_xor_b64 s[40:41], exec, s[40:41]
; %bb.890:                              ;   in Loop: Header=BB2_853 Depth=3
	v_bfe_u32 v8, v16, 16, 1
	v_add3_u32 v8, v16, v8, s55
                                        ; implicit-def: $vgpr16
; %bb.891:                              ;   in Loop: Header=BB2_853 Depth=3
	s_andn2_saveexec_b64 s[40:41], s[40:41]
; %bb.892:                              ;   in Loop: Header=BB2_853 Depth=3
	v_or_b32_e32 v8, 0x10000, v16
	v_cmp_eq_u32_sdwa vcc, v16, v2 src0_sel:WORD_0 src1_sel:DWORD
	v_cndmask_b32_e32 v8, v8, v16, vcc
; %bb.893:                              ;   in Loop: Header=BB2_853 Depth=3
	s_or_b64 exec, exec, s[40:41]
	v_and_b32_e32 v16, 0xffff0000, v28
	v_lshlrev_b32_e32 v17, 16, v9
	v_add_f32_e32 v17, v16, v17
	v_and_b32_e32 v16, 0x7f800000, v17
	v_cmp_ne_u32_e32 vcc, s54, v16
                                        ; implicit-def: $vgpr16
	s_and_saveexec_b64 s[40:41], vcc
	s_xor_b64 s[40:41], exec, s[40:41]
; %bb.894:                              ;   in Loop: Header=BB2_853 Depth=3
	v_bfe_u32 v16, v17, 16, 1
	v_add3_u32 v16, v17, v16, s55
                                        ; implicit-def: $vgpr17
; %bb.895:                              ;   in Loop: Header=BB2_853 Depth=3
	s_andn2_saveexec_b64 s[40:41], s[40:41]
; %bb.896:                              ;   in Loop: Header=BB2_853 Depth=3
	v_or_b32_e32 v16, 0x10000, v17
	v_cmp_eq_u32_sdwa vcc, v17, v2 src0_sel:WORD_0 src1_sel:DWORD
	v_cndmask_b32_e32 v16, v16, v17, vcc
; %bb.897:                              ;   in Loop: Header=BB2_853 Depth=3
	s_or_b64 exec, exec, s[40:41]
	v_and_b32_e32 v0, 0xffff0000, v0
	v_and_b32_e32 v9, 0xffff0000, v9
	v_add_f32_e32 v9, v0, v9
	v_and_b32_e32 v0, 0x7f800000, v9
	v_cmp_ne_u32_e32 vcc, s54, v0
                                        ; implicit-def: $vgpr0
	s_and_saveexec_b64 s[40:41], vcc
	s_xor_b64 s[40:41], exec, s[40:41]
; %bb.898:                              ;   in Loop: Header=BB2_853 Depth=3
	v_bfe_u32 v0, v9, 16, 1
	v_add3_u32 v0, v9, v0, s55
                                        ; implicit-def: $vgpr9
; %bb.899:                              ;   in Loop: Header=BB2_853 Depth=3
	s_andn2_saveexec_b64 s[40:41], s[40:41]
; %bb.900:                              ;   in Loop: Header=BB2_853 Depth=3
	v_or_b32_e32 v0, 0x10000, v9
	v_cmp_eq_u32_sdwa vcc, v9, v2 src0_sel:WORD_0 src1_sel:DWORD
	v_cndmask_b32_e32 v0, v0, v9, vcc
; %bb.901:                              ;   in Loop: Header=BB2_853 Depth=3
	s_or_b64 exec, exec, s[40:41]
	v_and_b32_e32 v9, 0xffff0000, v33
	v_lshlrev_b32_e32 v17, 16, v10
	v_add_f32_e32 v9, v9, v17
	v_and_b32_e32 v17, 0x7f800000, v9
	v_cmp_ne_u32_e32 vcc, s54, v17
                                        ; implicit-def: $vgpr17
	s_and_saveexec_b64 s[40:41], vcc
	s_xor_b64 s[40:41], exec, s[40:41]
; %bb.902:                              ;   in Loop: Header=BB2_853 Depth=3
	v_bfe_u32 v17, v9, 16, 1
	v_add3_u32 v17, v9, v17, s55
                                        ; implicit-def: $vgpr9
; %bb.903:                              ;   in Loop: Header=BB2_853 Depth=3
	s_andn2_saveexec_b64 s[40:41], s[40:41]
; %bb.904:                              ;   in Loop: Header=BB2_853 Depth=3
	v_or_b32_e32 v17, 0x10000, v9
	v_cmp_eq_u32_sdwa vcc, v9, v2 src0_sel:WORD_0 src1_sel:DWORD
	v_cndmask_b32_e32 v17, v17, v9, vcc
; %bb.905:                              ;   in Loop: Header=BB2_853 Depth=3
	s_or_b64 exec, exec, s[40:41]
	v_and_b32_e32 v9, 0xffff0000, v51
	v_and_b32_e32 v10, 0xffff0000, v10
	v_add_f32_e32 v9, v9, v10
	v_and_b32_e32 v10, 0x7f800000, v9
	v_cmp_ne_u32_e32 vcc, s54, v10
                                        ; implicit-def: $vgpr10
	s_and_saveexec_b64 s[40:41], vcc
	s_xor_b64 s[40:41], exec, s[40:41]
; %bb.906:                              ;   in Loop: Header=BB2_853 Depth=3
	v_bfe_u32 v10, v9, 16, 1
	v_add3_u32 v10, v9, v10, s55
                                        ; implicit-def: $vgpr9
; %bb.907:                              ;   in Loop: Header=BB2_853 Depth=3
	s_andn2_saveexec_b64 s[40:41], s[40:41]
; %bb.908:                              ;   in Loop: Header=BB2_853 Depth=3
	v_or_b32_e32 v10, 0x10000, v9
	v_cmp_eq_u32_sdwa vcc, v9, v2 src0_sel:WORD_0 src1_sel:DWORD
	v_cndmask_b32_e32 v10, v10, v9, vcc
; %bb.909:                              ;   in Loop: Header=BB2_853 Depth=3
	s_or_b64 exec, exec, s[40:41]
	v_and_b32_e32 v9, 0xffff0000, v50
	v_lshlrev_b32_e32 v22, 16, v11
	v_add_f32_e32 v9, v9, v22
	v_and_b32_e32 v22, 0x7f800000, v9
	v_cmp_ne_u32_e32 vcc, s54, v22
                                        ; implicit-def: $vgpr28
	s_and_saveexec_b64 s[40:41], vcc
	s_xor_b64 s[40:41], exec, s[40:41]
; %bb.910:                              ;   in Loop: Header=BB2_853 Depth=3
	v_bfe_u32 v22, v9, 16, 1
	v_add3_u32 v28, v9, v22, s55
                                        ; implicit-def: $vgpr9
; %bb.911:                              ;   in Loop: Header=BB2_853 Depth=3
	s_andn2_saveexec_b64 s[40:41], s[40:41]
; %bb.912:                              ;   in Loop: Header=BB2_853 Depth=3
	v_or_b32_e32 v22, 0x10000, v9
	v_cmp_eq_u32_sdwa vcc, v9, v2 src0_sel:WORD_0 src1_sel:DWORD
	v_cndmask_b32_e32 v28, v22, v9, vcc
; %bb.913:                              ;   in Loop: Header=BB2_853 Depth=3
	s_or_b64 exec, exec, s[40:41]
	v_and_b32_e32 v9, 0xffff0000, v36
	v_and_b32_e32 v11, 0xffff0000, v11
	v_add_f32_e32 v9, v9, v11
	v_and_b32_e32 v11, 0x7f800000, v9
	v_cmp_ne_u32_e32 vcc, s54, v11
                                        ; implicit-def: $vgpr11
	s_and_saveexec_b64 s[40:41], vcc
	s_xor_b64 s[40:41], exec, s[40:41]
; %bb.914:                              ;   in Loop: Header=BB2_853 Depth=3
	v_bfe_u32 v11, v9, 16, 1
	v_add3_u32 v11, v9, v11, s55
                                        ; implicit-def: $vgpr9
; %bb.915:                              ;   in Loop: Header=BB2_853 Depth=3
	s_andn2_saveexec_b64 s[40:41], s[40:41]
; %bb.916:                              ;   in Loop: Header=BB2_853 Depth=3
	v_or_b32_e32 v11, 0x10000, v9
	v_cmp_eq_u32_sdwa vcc, v9, v2 src0_sel:WORD_0 src1_sel:DWORD
	v_cndmask_b32_e32 v11, v11, v9, vcc
; %bb.917:                              ;   in Loop: Header=BB2_853 Depth=3
	s_or_b64 exec, exec, s[40:41]
	v_lshrrev_b32_e32 v9, 16, v16
	v_and_or_b32 v9, v0, s64, v9
	v_lshrrev_b32_e32 v0, 16, v37
	v_and_or_b32 v8, v8, s64, v0
	;; [unrolled: 2-line block ×4, first 2 shown]
	s_mov_b64 s[30:31], 0
	s_mov_b64 s[94:95], -1
.LBB2_918:                              ;   Parent Loop BB2_47 Depth=1
                                        ;     Parent Loop BB2_775 Depth=2
                                        ;       Parent Loop BB2_853 Depth=3
                                        ; =>      This Inner Loop Header: Depth=4
	s_cmp_eq_u32 s30, 1
	s_cselect_b64 s[40:41], -1, 0
	v_cndmask_b32_e64 v16, v14, v30, s[40:41]
	v_cndmask_b32_e64 v17, v15, v32, s[40:41]
	v_add_co_u32_e32 v0, vcc, 0x400, v16
	s_cmp_eq_u32 s30, 0
	global_store_dwordx4 v[16:17], v[8:11], off glc slc
	v_addc_co_u32_e32 v16, vcc, 0, v17, vcc
	s_cselect_b64 vcc, -1, 0
	s_and_b64 s[42:43], exec, s[94:95]
	s_mov_b64 s[30:31], 1
	v_cndmask_b32_e64 v30, v30, v0, s[40:41]
	s_mov_b64 s[94:95], 0
	v_cndmask_b32_e64 v32, v32, v16, s[40:41]
	v_cndmask_b32_e32 v15, v15, v16, vcc
	v_cndmask_b32_e32 v14, v14, v0, vcc
	s_mov_b64 vcc, s[42:43]
	s_cbranch_vccnz .LBB2_918
; %bb.919:                              ;   in Loop: Header=BB2_853 Depth=3
	v_add_co_u32_e32 v55, vcc, v55, v31
	v_addc_co_u32_e32 v56, vcc, v56, v1, vcc
	v_add_co_u32_e32 v57, vcc, v57, v31
	v_addc_co_u32_e32 v58, vcc, v58, v1, vcc
	v_add_co_u32_e32 v14, vcc, v14, v35
	v_addc_co_u32_e32 v15, vcc, v15, v29, vcc
	v_add_co_u32_e32 v30, vcc, v30, v35
	v_addc_co_u32_e32 v32, vcc, v32, v29, vcc
	v_sub_u32_e32 v49, v49, v4
	v_cmp_gt_i32_e32 vcc, 16, v49
	s_or_b64 s[92:93], vcc, s[92:93]
	v_sub_u32_e32 v53, v53, v62
	s_andn2_b64 exec, exec, s[92:93]
	s_cbranch_execnz .LBB2_853
; %bb.920:                              ;   in Loop: Header=BB2_775 Depth=2
	s_or_b64 exec, exec, s[92:93]
	buffer_load_dword v56, off, s[0:3], s33 offset:112 ; 4-byte Folded Reload
.LBB2_921:                              ;   in Loop: Header=BB2_775 Depth=2
	s_or_b64 exec, exec, s[90:91]
	v_and_b32_e32 v0, 14, v48
	v_cndmask_b32_e64 v49, v19, v0, s[28:29]
	v_mov_b32_e32 v14, 0
	v_cmp_ne_u32_e32 vcc, 0, v49
	s_mov_b64 s[40:41], 0
                                        ; implicit-def: $vgpr15
                                        ; implicit-def: $vgpr30
	s_and_saveexec_b64 s[90:91], vcc
	s_cbranch_execz .LBB2_993
; %bb.922:                              ;   in Loop: Header=BB2_775 Depth=2
	buffer_load_dword v8, off, s[0:3], s33 offset:116 ; 4-byte Folded Reload
	v_sub_u32_e32 v0, v19, v0
	v_cndmask_b32_e64 v0, 0, v0, s[28:29]
	v_cmp_lt_i32_e32 vcc, 0, v53
	v_add_u32_e32 v23, v0, v23
	v_cndmask_b32_e32 v0, 0, v62, vcc
	v_sub_u32_e32 v0, v0, v53
	s_waitcnt vmcnt(0)
	v_lshl_or_b32 v0, v0, 6, v8
	v_ashrrev_i32_e32 v8, 31, v0
	v_lshrrev_b32_e32 v8, 26, v8
	v_add_u32_e32 v8, v0, v8
	v_ashrrev_i32_e32 v9, 6, v8
	v_and_b32_e32 v8, 0xffffffc0, v8
	v_sub_u32_e32 v40, v0, v8
	v_ashrrev_i32_e32 v8, 31, v49
	v_lshrrev_b32_e32 v8, 22, v8
	v_add_u32_e32 v8, v49, v8
	v_and_b32_e32 v41, 0xfffffc00, v8
	v_lshlrev_b32_e32 v0, 4, v40
	v_sub_u32_e32 v43, v49, v41
	v_lshl_add_u32 v0, v9, 10, v0
	v_ashrrev_i32_e32 v10, 10, v8
	v_cmp_lt_i32_e64 s[28:29], 15, v43
	v_sub_u32_e32 v19, v49, v0
	v_addc_co_u32_e64 v8, vcc, 0, v10, s[28:29]
	v_sub_u32_e32 v53, v8, v9
	v_cmp_lt_i32_e32 vcc, 15, v19
	s_and_saveexec_b64 s[92:93], vcc
	s_cbranch_execz .LBB2_992
; %bb.923:                              ;   in Loop: Header=BB2_775 Depth=2
	buffer_load_dword v8, off, s[0:3], s33 offset:136 ; 4-byte Folded Reload
	buffer_load_dword v9, off, s[0:3], s33 offset:140 ; 4-byte Folded Reload
	v_add_u32_e32 v0, v0, v23
	v_ashrrev_i32_e32 v10, 31, v0
	s_trap 2
	s_mov_b64 s[94:95], 0
	s_waitcnt vmcnt(1)
	v_add_co_u32_e32 v32, vcc, v0, v8
	s_waitcnt vmcnt(0)
	v_addc_co_u32_e32 v30, vcc, v10, v9, vcc
	ds_read_b64 v[8:9], v0
	v_add_co_u32_e32 v14, vcc, v0, v46
	v_addc_co_u32_e32 v15, vcc, v10, v47, vcc
	v_add_co_u32_e32 v55, vcc, v0, v44
	v_addc_co_u32_e32 v56, vcc, v10, v45, vcc
	s_waitcnt lgkmcnt(0)
	v_add_co_u32_e32 v57, vcc, v8, v0
	ds_read_b32 v0, v0
	v_addc_co_u32_e32 v58, vcc, v9, v10, vcc
	s_waitcnt lgkmcnt(0)
	v_lshlrev_b32_e32 v42, 16, v0
.LBB2_924:                              ;   Parent Loop BB2_47 Depth=1
                                        ;     Parent Loop BB2_775 Depth=2
                                        ; =>    This Loop Header: Depth=3
                                        ;         Child Loop BB2_989 Depth 4
	global_load_dwordx4 v[8:11], v[55:56], off glc slc
                                        ; implicit-def: $vgpr17
	s_waitcnt vmcnt(0)
	v_lshlrev_b32_e32 v0, 16, v8
	v_mul_f32_e32 v0, v42, v0
	v_and_b32_e32 v16, 0x7f800000, v0
	v_cmp_ne_u32_e32 vcc, s54, v16
	s_and_saveexec_b64 s[40:41], vcc
	s_xor_b64 s[40:41], exec, s[40:41]
; %bb.925:                              ;   in Loop: Header=BB2_924 Depth=3
	v_bfe_u32 v16, v0, 16, 1
	v_add3_u32 v17, v0, v16, s55
                                        ; implicit-def: $vgpr0
; %bb.926:                              ;   in Loop: Header=BB2_924 Depth=3
	s_andn2_saveexec_b64 s[40:41], s[40:41]
; %bb.927:                              ;   in Loop: Header=BB2_924 Depth=3
	v_or_b32_e32 v16, 0x10000, v0
	v_cmp_eq_u32_sdwa vcc, v0, v2 src0_sel:WORD_0 src1_sel:DWORD
	v_cndmask_b32_e32 v17, v16, v0, vcc
; %bb.928:                              ;   in Loop: Header=BB2_924 Depth=3
	s_or_b64 exec, exec, s[40:41]
	v_and_b32_e32 v0, 0xffff0000, v8
	v_mul_f32_e32 v0, v42, v0
	v_and_b32_e32 v8, 0x7f800000, v0
	v_cmp_ne_u32_e32 vcc, s54, v8
                                        ; implicit-def: $vgpr16
	s_and_saveexec_b64 s[40:41], vcc
	s_xor_b64 s[40:41], exec, s[40:41]
; %bb.929:                              ;   in Loop: Header=BB2_924 Depth=3
	v_bfe_u32 v8, v0, 16, 1
	v_add3_u32 v16, v0, v8, s55
                                        ; implicit-def: $vgpr0
; %bb.930:                              ;   in Loop: Header=BB2_924 Depth=3
	s_andn2_saveexec_b64 s[40:41], s[40:41]
; %bb.931:                              ;   in Loop: Header=BB2_924 Depth=3
	v_or_b32_e32 v8, 0x10000, v0
	v_cmp_eq_u32_sdwa vcc, v0, v2 src0_sel:WORD_0 src1_sel:DWORD
	v_cndmask_b32_e32 v16, v8, v0, vcc
; %bb.932:                              ;   in Loop: Header=BB2_924 Depth=3
	s_or_b64 exec, exec, s[40:41]
	v_lshlrev_b32_e32 v0, 16, v9
	v_mul_f32_e32 v0, v42, v0
	v_and_b32_e32 v8, 0x7f800000, v0
	v_cmp_ne_u32_e32 vcc, s54, v8
                                        ; implicit-def: $vgpr28
	s_and_saveexec_b64 s[40:41], vcc
	s_xor_b64 s[40:41], exec, s[40:41]
; %bb.933:                              ;   in Loop: Header=BB2_924 Depth=3
	v_bfe_u32 v8, v0, 16, 1
	v_add3_u32 v28, v0, v8, s55
                                        ; implicit-def: $vgpr0
; %bb.934:                              ;   in Loop: Header=BB2_924 Depth=3
	s_andn2_saveexec_b64 s[40:41], s[40:41]
; %bb.935:                              ;   in Loop: Header=BB2_924 Depth=3
	v_or_b32_e32 v8, 0x10000, v0
	v_cmp_eq_u32_sdwa vcc, v0, v2 src0_sel:WORD_0 src1_sel:DWORD
	v_cndmask_b32_e32 v28, v8, v0, vcc
; %bb.936:                              ;   in Loop: Header=BB2_924 Depth=3
	s_or_b64 exec, exec, s[40:41]
	v_and_b32_e32 v0, 0xffff0000, v9
	v_mul_f32_e32 v8, v42, v0
	v_and_b32_e32 v0, 0x7f800000, v8
	v_cmp_ne_u32_e32 vcc, s54, v0
                                        ; implicit-def: $vgpr0
	s_and_saveexec_b64 s[40:41], vcc
	s_xor_b64 s[40:41], exec, s[40:41]
; %bb.937:                              ;   in Loop: Header=BB2_924 Depth=3
	v_bfe_u32 v0, v8, 16, 1
	v_add3_u32 v0, v8, v0, s55
                                        ; implicit-def: $vgpr8
; %bb.938:                              ;   in Loop: Header=BB2_924 Depth=3
	s_andn2_saveexec_b64 s[40:41], s[40:41]
; %bb.939:                              ;   in Loop: Header=BB2_924 Depth=3
	v_or_b32_e32 v0, 0x10000, v8
	v_cmp_eq_u32_sdwa vcc, v8, v2 src0_sel:WORD_0 src1_sel:DWORD
	v_cndmask_b32_e32 v0, v0, v8, vcc
; %bb.940:                              ;   in Loop: Header=BB2_924 Depth=3
	s_or_b64 exec, exec, s[40:41]
	v_lshlrev_b32_e32 v8, 16, v10
	v_mul_f32_e32 v8, v42, v8
	v_and_b32_e32 v9, 0x7f800000, v8
	v_cmp_ne_u32_e32 vcc, s54, v9
                                        ; implicit-def: $vgpr33
	s_and_saveexec_b64 s[40:41], vcc
	s_xor_b64 s[40:41], exec, s[40:41]
; %bb.941:                              ;   in Loop: Header=BB2_924 Depth=3
	v_bfe_u32 v9, v8, 16, 1
	v_add3_u32 v33, v8, v9, s55
                                        ; implicit-def: $vgpr8
; %bb.942:                              ;   in Loop: Header=BB2_924 Depth=3
	s_andn2_saveexec_b64 s[40:41], s[40:41]
; %bb.943:                              ;   in Loop: Header=BB2_924 Depth=3
	v_or_b32_e32 v9, 0x10000, v8
	v_cmp_eq_u32_sdwa vcc, v8, v2 src0_sel:WORD_0 src1_sel:DWORD
	v_cndmask_b32_e32 v33, v9, v8, vcc
; %bb.944:                              ;   in Loop: Header=BB2_924 Depth=3
	s_or_b64 exec, exec, s[40:41]
	v_and_b32_e32 v8, 0xffff0000, v10
	v_mul_f32_e32 v8, v42, v8
	v_and_b32_e32 v9, 0x7f800000, v8
	v_cmp_ne_u32_e32 vcc, s54, v9
                                        ; implicit-def: $vgpr51
	s_and_saveexec_b64 s[40:41], vcc
	s_xor_b64 s[40:41], exec, s[40:41]
; %bb.945:                              ;   in Loop: Header=BB2_924 Depth=3
	v_bfe_u32 v9, v8, 16, 1
	v_add3_u32 v51, v8, v9, s55
                                        ; implicit-def: $vgpr8
; %bb.946:                              ;   in Loop: Header=BB2_924 Depth=3
	s_andn2_saveexec_b64 s[40:41], s[40:41]
; %bb.947:                              ;   in Loop: Header=BB2_924 Depth=3
	v_or_b32_e32 v9, 0x10000, v8
	v_cmp_eq_u32_sdwa vcc, v8, v2 src0_sel:WORD_0 src1_sel:DWORD
	v_cndmask_b32_e32 v51, v9, v8, vcc
; %bb.948:                              ;   in Loop: Header=BB2_924 Depth=3
	s_or_b64 exec, exec, s[40:41]
	v_lshlrev_b32_e32 v8, 16, v11
	v_mul_f32_e32 v8, v42, v8
	v_and_b32_e32 v9, 0x7f800000, v8
	v_cmp_ne_u32_e32 vcc, s54, v9
                                        ; implicit-def: $vgpr50
	s_and_saveexec_b64 s[40:41], vcc
	s_xor_b64 s[40:41], exec, s[40:41]
; %bb.949:                              ;   in Loop: Header=BB2_924 Depth=3
	v_bfe_u32 v9, v8, 16, 1
	v_add3_u32 v50, v8, v9, s55
                                        ; implicit-def: $vgpr8
; %bb.950:                              ;   in Loop: Header=BB2_924 Depth=3
	s_andn2_saveexec_b64 s[40:41], s[40:41]
; %bb.951:                              ;   in Loop: Header=BB2_924 Depth=3
	v_or_b32_e32 v9, 0x10000, v8
	v_cmp_eq_u32_sdwa vcc, v8, v2 src0_sel:WORD_0 src1_sel:DWORD
	v_cndmask_b32_e32 v50, v9, v8, vcc
; %bb.952:                              ;   in Loop: Header=BB2_924 Depth=3
	s_or_b64 exec, exec, s[40:41]
	v_and_b32_e32 v8, 0xffff0000, v11
	v_mul_f32_e32 v8, v42, v8
	v_and_b32_e32 v9, 0x7f800000, v8
	v_cmp_ne_u32_e32 vcc, s54, v9
                                        ; implicit-def: $vgpr36
	s_and_saveexec_b64 s[40:41], vcc
	s_xor_b64 s[40:41], exec, s[40:41]
; %bb.953:                              ;   in Loop: Header=BB2_924 Depth=3
	v_bfe_u32 v9, v8, 16, 1
	v_add3_u32 v36, v8, v9, s55
                                        ; implicit-def: $vgpr8
; %bb.954:                              ;   in Loop: Header=BB2_924 Depth=3
	s_andn2_saveexec_b64 s[40:41], s[40:41]
; %bb.955:                              ;   in Loop: Header=BB2_924 Depth=3
	v_or_b32_e32 v9, 0x10000, v8
	v_cmp_eq_u32_sdwa vcc, v8, v2 src0_sel:WORD_0 src1_sel:DWORD
	v_cndmask_b32_e32 v36, v9, v8, vcc
; %bb.956:                              ;   in Loop: Header=BB2_924 Depth=3
	s_or_b64 exec, exec, s[40:41]
	global_load_dwordx4 v[8:11], v[57:58], off glc slc
	v_and_b32_e32 v17, 0xffff0000, v17
                                        ; implicit-def: $vgpr37
	s_waitcnt vmcnt(0)
	v_lshlrev_b32_e32 v22, 16, v8
	v_add_f32_e32 v17, v17, v22
	v_and_b32_e32 v22, 0x7f800000, v17
	v_cmp_ne_u32_e32 vcc, s54, v22
	s_and_saveexec_b64 s[40:41], vcc
	s_xor_b64 s[40:41], exec, s[40:41]
; %bb.957:                              ;   in Loop: Header=BB2_924 Depth=3
	v_bfe_u32 v22, v17, 16, 1
	v_add3_u32 v37, v17, v22, s55
                                        ; implicit-def: $vgpr17
; %bb.958:                              ;   in Loop: Header=BB2_924 Depth=3
	s_andn2_saveexec_b64 s[40:41], s[40:41]
; %bb.959:                              ;   in Loop: Header=BB2_924 Depth=3
	v_or_b32_e32 v22, 0x10000, v17
	v_cmp_eq_u32_sdwa vcc, v17, v2 src0_sel:WORD_0 src1_sel:DWORD
	v_cndmask_b32_e32 v37, v22, v17, vcc
; %bb.960:                              ;   in Loop: Header=BB2_924 Depth=3
	s_or_b64 exec, exec, s[40:41]
	v_and_b32_e32 v16, 0xffff0000, v16
	v_and_b32_e32 v8, 0xffff0000, v8
	v_add_f32_e32 v16, v16, v8
	v_and_b32_e32 v8, 0x7f800000, v16
	v_cmp_ne_u32_e32 vcc, s54, v8
                                        ; implicit-def: $vgpr8
	s_and_saveexec_b64 s[40:41], vcc
	s_xor_b64 s[40:41], exec, s[40:41]
; %bb.961:                              ;   in Loop: Header=BB2_924 Depth=3
	v_bfe_u32 v8, v16, 16, 1
	v_add3_u32 v8, v16, v8, s55
                                        ; implicit-def: $vgpr16
; %bb.962:                              ;   in Loop: Header=BB2_924 Depth=3
	s_andn2_saveexec_b64 s[40:41], s[40:41]
; %bb.963:                              ;   in Loop: Header=BB2_924 Depth=3
	v_or_b32_e32 v8, 0x10000, v16
	v_cmp_eq_u32_sdwa vcc, v16, v2 src0_sel:WORD_0 src1_sel:DWORD
	v_cndmask_b32_e32 v8, v8, v16, vcc
; %bb.964:                              ;   in Loop: Header=BB2_924 Depth=3
	s_or_b64 exec, exec, s[40:41]
	v_and_b32_e32 v16, 0xffff0000, v28
	v_lshlrev_b32_e32 v17, 16, v9
	v_add_f32_e32 v17, v16, v17
	v_and_b32_e32 v16, 0x7f800000, v17
	v_cmp_ne_u32_e32 vcc, s54, v16
                                        ; implicit-def: $vgpr16
	s_and_saveexec_b64 s[40:41], vcc
	s_xor_b64 s[40:41], exec, s[40:41]
; %bb.965:                              ;   in Loop: Header=BB2_924 Depth=3
	v_bfe_u32 v16, v17, 16, 1
	v_add3_u32 v16, v17, v16, s55
                                        ; implicit-def: $vgpr17
; %bb.966:                              ;   in Loop: Header=BB2_924 Depth=3
	s_andn2_saveexec_b64 s[40:41], s[40:41]
; %bb.967:                              ;   in Loop: Header=BB2_924 Depth=3
	v_or_b32_e32 v16, 0x10000, v17
	v_cmp_eq_u32_sdwa vcc, v17, v2 src0_sel:WORD_0 src1_sel:DWORD
	v_cndmask_b32_e32 v16, v16, v17, vcc
; %bb.968:                              ;   in Loop: Header=BB2_924 Depth=3
	s_or_b64 exec, exec, s[40:41]
	v_and_b32_e32 v0, 0xffff0000, v0
	v_and_b32_e32 v9, 0xffff0000, v9
	v_add_f32_e32 v9, v0, v9
	v_and_b32_e32 v0, 0x7f800000, v9
	v_cmp_ne_u32_e32 vcc, s54, v0
                                        ; implicit-def: $vgpr0
	s_and_saveexec_b64 s[40:41], vcc
	s_xor_b64 s[40:41], exec, s[40:41]
; %bb.969:                              ;   in Loop: Header=BB2_924 Depth=3
	v_bfe_u32 v0, v9, 16, 1
	v_add3_u32 v0, v9, v0, s55
                                        ; implicit-def: $vgpr9
; %bb.970:                              ;   in Loop: Header=BB2_924 Depth=3
	s_andn2_saveexec_b64 s[40:41], s[40:41]
; %bb.971:                              ;   in Loop: Header=BB2_924 Depth=3
	v_or_b32_e32 v0, 0x10000, v9
	v_cmp_eq_u32_sdwa vcc, v9, v2 src0_sel:WORD_0 src1_sel:DWORD
	v_cndmask_b32_e32 v0, v0, v9, vcc
; %bb.972:                              ;   in Loop: Header=BB2_924 Depth=3
	s_or_b64 exec, exec, s[40:41]
	v_and_b32_e32 v9, 0xffff0000, v33
	v_lshlrev_b32_e32 v17, 16, v10
	v_add_f32_e32 v9, v9, v17
	v_and_b32_e32 v17, 0x7f800000, v9
	v_cmp_ne_u32_e32 vcc, s54, v17
                                        ; implicit-def: $vgpr17
	s_and_saveexec_b64 s[40:41], vcc
	s_xor_b64 s[40:41], exec, s[40:41]
; %bb.973:                              ;   in Loop: Header=BB2_924 Depth=3
	v_bfe_u32 v17, v9, 16, 1
	v_add3_u32 v17, v9, v17, s55
                                        ; implicit-def: $vgpr9
; %bb.974:                              ;   in Loop: Header=BB2_924 Depth=3
	s_andn2_saveexec_b64 s[40:41], s[40:41]
; %bb.975:                              ;   in Loop: Header=BB2_924 Depth=3
	v_or_b32_e32 v17, 0x10000, v9
	v_cmp_eq_u32_sdwa vcc, v9, v2 src0_sel:WORD_0 src1_sel:DWORD
	v_cndmask_b32_e32 v17, v17, v9, vcc
; %bb.976:                              ;   in Loop: Header=BB2_924 Depth=3
	s_or_b64 exec, exec, s[40:41]
	v_and_b32_e32 v9, 0xffff0000, v51
	v_and_b32_e32 v10, 0xffff0000, v10
	v_add_f32_e32 v9, v9, v10
	v_and_b32_e32 v10, 0x7f800000, v9
	v_cmp_ne_u32_e32 vcc, s54, v10
                                        ; implicit-def: $vgpr10
	s_and_saveexec_b64 s[40:41], vcc
	s_xor_b64 s[40:41], exec, s[40:41]
; %bb.977:                              ;   in Loop: Header=BB2_924 Depth=3
	v_bfe_u32 v10, v9, 16, 1
	v_add3_u32 v10, v9, v10, s55
                                        ; implicit-def: $vgpr9
; %bb.978:                              ;   in Loop: Header=BB2_924 Depth=3
	s_andn2_saveexec_b64 s[40:41], s[40:41]
; %bb.979:                              ;   in Loop: Header=BB2_924 Depth=3
	v_or_b32_e32 v10, 0x10000, v9
	v_cmp_eq_u32_sdwa vcc, v9, v2 src0_sel:WORD_0 src1_sel:DWORD
	v_cndmask_b32_e32 v10, v10, v9, vcc
; %bb.980:                              ;   in Loop: Header=BB2_924 Depth=3
	s_or_b64 exec, exec, s[40:41]
	v_and_b32_e32 v9, 0xffff0000, v50
	v_lshlrev_b32_e32 v22, 16, v11
	v_add_f32_e32 v9, v9, v22
	v_and_b32_e32 v22, 0x7f800000, v9
	v_cmp_ne_u32_e32 vcc, s54, v22
                                        ; implicit-def: $vgpr28
	s_and_saveexec_b64 s[40:41], vcc
	s_xor_b64 s[40:41], exec, s[40:41]
; %bb.981:                              ;   in Loop: Header=BB2_924 Depth=3
	v_bfe_u32 v22, v9, 16, 1
	v_add3_u32 v28, v9, v22, s55
                                        ; implicit-def: $vgpr9
; %bb.982:                              ;   in Loop: Header=BB2_924 Depth=3
	s_andn2_saveexec_b64 s[40:41], s[40:41]
; %bb.983:                              ;   in Loop: Header=BB2_924 Depth=3
	v_or_b32_e32 v22, 0x10000, v9
	v_cmp_eq_u32_sdwa vcc, v9, v2 src0_sel:WORD_0 src1_sel:DWORD
	v_cndmask_b32_e32 v28, v22, v9, vcc
; %bb.984:                              ;   in Loop: Header=BB2_924 Depth=3
	s_or_b64 exec, exec, s[40:41]
	v_and_b32_e32 v9, 0xffff0000, v36
	v_and_b32_e32 v11, 0xffff0000, v11
	v_add_f32_e32 v9, v9, v11
	v_and_b32_e32 v11, 0x7f800000, v9
	v_cmp_ne_u32_e32 vcc, s54, v11
                                        ; implicit-def: $vgpr11
	s_and_saveexec_b64 s[40:41], vcc
	s_xor_b64 s[40:41], exec, s[40:41]
; %bb.985:                              ;   in Loop: Header=BB2_924 Depth=3
	v_bfe_u32 v11, v9, 16, 1
	v_add3_u32 v11, v9, v11, s55
                                        ; implicit-def: $vgpr9
; %bb.986:                              ;   in Loop: Header=BB2_924 Depth=3
	s_andn2_saveexec_b64 s[40:41], s[40:41]
; %bb.987:                              ;   in Loop: Header=BB2_924 Depth=3
	v_or_b32_e32 v11, 0x10000, v9
	v_cmp_eq_u32_sdwa vcc, v9, v2 src0_sel:WORD_0 src1_sel:DWORD
	v_cndmask_b32_e32 v11, v11, v9, vcc
; %bb.988:                              ;   in Loop: Header=BB2_924 Depth=3
	s_or_b64 exec, exec, s[40:41]
	v_lshrrev_b32_e32 v9, 16, v16
	v_and_or_b32 v9, v0, s64, v9
	v_lshrrev_b32_e32 v0, 16, v37
	v_and_or_b32 v8, v8, s64, v0
	;; [unrolled: 2-line block ×4, first 2 shown]
	s_mov_b64 s[34:35], 0
	s_mov_b64 s[30:31], -1
.LBB2_989:                              ;   Parent Loop BB2_47 Depth=1
                                        ;     Parent Loop BB2_775 Depth=2
                                        ;       Parent Loop BB2_924 Depth=3
                                        ; =>      This Inner Loop Header: Depth=4
	s_cmp_eq_u32 s34, 1
	s_cselect_b64 s[40:41], -1, 0
	v_cndmask_b32_e64 v16, v32, v14, s[40:41]
	v_cndmask_b32_e64 v17, v30, v15, s[40:41]
	v_add_co_u32_e32 v0, vcc, 0x400, v16
	s_cmp_eq_u32 s34, 0
	global_store_dwordx4 v[16:17], v[8:11], off glc slc
	v_addc_co_u32_e32 v16, vcc, 0, v17, vcc
	s_cselect_b64 vcc, -1, 0
	s_and_b64 s[42:43], exec, s[30:31]
	s_mov_b64 s[34:35], 1
	v_cndmask_b32_e64 v14, v14, v0, s[40:41]
	s_mov_b64 s[30:31], 0
	v_cndmask_b32_e64 v15, v15, v16, s[40:41]
	v_cndmask_b32_e32 v30, v30, v16, vcc
	v_cndmask_b32_e32 v32, v32, v0, vcc
	s_mov_b64 vcc, s[42:43]
	s_cbranch_vccnz .LBB2_989
; %bb.990:                              ;   in Loop: Header=BB2_924 Depth=3
	v_add_co_u32_e32 v55, vcc, v55, v31
	v_addc_co_u32_e32 v56, vcc, v56, v1, vcc
	v_add_co_u32_e32 v57, vcc, v57, v31
	v_addc_co_u32_e32 v58, vcc, v58, v1, vcc
	;; [unrolled: 2-line block ×4, first 2 shown]
	v_sub_u32_e32 v19, v19, v4
	v_cmp_gt_i32_e32 vcc, 16, v19
	s_or_b64 s[94:95], vcc, s[94:95]
	v_sub_u32_e32 v53, v53, v62
	s_andn2_b64 exec, exec, s[94:95]
	s_cbranch_execnz .LBB2_924
; %bb.991:                              ;   in Loop: Header=BB2_775 Depth=2
	s_or_b64 exec, exec, s[94:95]
	buffer_load_dword v56, off, s[0:3], s33 offset:112 ; 4-byte Folded Reload
.LBB2_992:                              ;   in Loop: Header=BB2_775 Depth=2
	s_or_b64 exec, exec, s[92:93]
	v_and_b32_e32 v0, 14, v49
	v_cmp_lt_i32_e32 vcc, 0, v53
	v_sub_u32_e32 v8, v43, v0
	v_cndmask_b32_e64 v15, v43, v0, s[28:29]
	v_cndmask_b32_e32 v0, 0, v62, vcc
	v_cndmask_b32_e64 v8, 0, v8, s[28:29]
	v_sub_u32_e32 v0, v0, v53
	v_cmp_ne_u32_e32 vcc, 0, v15
	v_add3_u32 v14, v41, v23, v8
	v_lshl_add_u32 v30, v0, 6, v40
	s_and_b64 s[40:41], vcc, exec
.LBB2_993:                              ;   in Loop: Header=BB2_775 Depth=2
	s_or_b64 exec, exec, s[90:91]
	s_and_saveexec_b64 s[42:43], s[40:41]
	s_cbranch_execz .LBB2_1044
.LBB2_994:                              ;   in Loop: Header=BB2_775 Depth=2
	v_ashrrev_i32_e32 v0, 31, v30
	v_ashrrev_i32_e32 v8, 31, v15
	v_lshrrev_b32_e32 v0, 26, v0
	v_lshrrev_b32_e32 v8, 23, v8
	v_add_u32_e32 v0, v30, v0
	v_add_u32_e32 v8, v15, v8
	v_ashrrev_i32_e32 v19, 6, v0
	v_ashrrev_i32_e32 v36, 9, v8
	v_sub_u32_e32 v32, v36, v19
	v_cmp_lt_i32_e32 vcc, 0, v32
	s_and_saveexec_b64 s[28:29], vcc
	s_cbranch_execz .LBB2_1030
; %bb.995:                              ;   in Loop: Header=BB2_775 Depth=2
	v_and_b32_e32 v0, 0x7fffffc0, v0
	v_sub_u32_e32 v0, v30, v0
	v_lshlrev_b32_e32 v0, 1, v0
	v_lshlrev_b32_e32 v8, 9, v19
	v_add3_u32 v0, v0, v14, v8
	buffer_load_dword v8, off, s[0:3], s33 offset:136 ; 4-byte Folded Reload
	buffer_load_dword v9, off, s[0:3], s33 offset:140 ; 4-byte Folded Reload
	v_ashrrev_i32_e32 v22, 31, v0
	s_trap 2
	ds_read_b64 v[16:17], v0
	s_mov_b64 s[40:41], 0
	s_waitcnt vmcnt(0)
	v_add_co_u32_e32 v8, vcc, v0, v8
	v_addc_co_u32_e32 v9, vcc, v22, v9, vcc
	v_add_co_u32_e32 v10, vcc, v0, v46
	v_addc_co_u32_e32 v11, vcc, v22, v47, vcc
	;; [unrolled: 2-line block ×3, first 2 shown]
	s_waitcnt lgkmcnt(0)
	v_add_co_u32_e32 v57, vcc, v16, v0
	ds_read_b32 v0, v0
	v_addc_co_u32_e32 v58, vcc, v17, v22, vcc
	s_waitcnt lgkmcnt(0)
	v_lshlrev_b32_e32 v37, 16, v0
	s_branch .LBB2_997
.LBB2_996:                              ;   in Loop: Header=BB2_997 Depth=3
	s_or_b64 exec, exec, s[90:91]
	v_add_co_u32_e32 v55, vcc, v55, v5
	v_addc_co_u32_e32 v56, vcc, 0, v56, vcc
	v_add_co_u32_e32 v57, vcc, v57, v5
	v_lshrrev_b32_e32 v0, 16, v0
	v_addc_co_u32_e32 v58, vcc, 0, v58, vcc
	v_lshrrev_b32_e32 v17, 16, v17
	v_lshrrev_b32_e32 v16, 16, v16
	;; [unrolled: 1-line block ×3, first 2 shown]
	flat_store_short v[8:9], v0 glc slc
	flat_store_short v[8:9], v16 offset:128 glc slc
	flat_store_short v[8:9], v17 offset:256 glc slc
	;; [unrolled: 1-line block ×3, first 2 shown]
	flat_store_short v[10:11], v0 glc slc
	flat_store_short v[10:11], v16 offset:128 glc slc
	flat_store_short v[10:11], v17 offset:256 glc slc
	;; [unrolled: 1-line block ×3, first 2 shown]
	v_add_co_u32_e32 v8, vcc, v8, v5
	v_addc_co_u32_e32 v9, vcc, 0, v9, vcc
	v_sub_u32_e32 v32, v32, v62
	v_cmp_gt_i32_e32 vcc, 1, v32
	s_or_b64 s[40:41], vcc, s[40:41]
	v_add_co_u32_e32 v10, vcc, v10, v5
	v_addc_co_u32_e32 v11, vcc, 0, v11, vcc
	s_andn2_b64 exec, exec, s[40:41]
	s_cbranch_execz .LBB2_1029
.LBB2_997:                              ;   Parent Loop BB2_47 Depth=1
                                        ;     Parent Loop BB2_775 Depth=2
                                        ; =>    This Inner Loop Header: Depth=3
	flat_load_ushort v0, v[55:56] glc slc
	s_waitcnt vmcnt(0) lgkmcnt(0)
	v_lshlrev_b32_e32 v0, 16, v0
	v_mul_f32_e32 v16, v37, v0
	v_and_b32_e32 v0, 0x7f800000, v16
	v_cmp_ne_u32_e32 vcc, s54, v0
                                        ; implicit-def: $vgpr0
	s_and_saveexec_b64 s[90:91], vcc
	s_xor_b64 s[90:91], exec, s[90:91]
; %bb.998:                              ;   in Loop: Header=BB2_997 Depth=3
	v_bfe_u32 v0, v16, 16, 1
	v_add3_u32 v0, v16, v0, s55
                                        ; implicit-def: $vgpr16
; %bb.999:                              ;   in Loop: Header=BB2_997 Depth=3
	s_andn2_saveexec_b64 s[90:91], s[90:91]
; %bb.1000:                             ;   in Loop: Header=BB2_997 Depth=3
	v_or_b32_e32 v0, 0x10000, v16
	v_cmp_eq_u32_sdwa vcc, v16, v2 src0_sel:WORD_0 src1_sel:DWORD
	v_cndmask_b32_e32 v0, v0, v16, vcc
; %bb.1001:                             ;   in Loop: Header=BB2_997 Depth=3
	s_or_b64 exec, exec, s[90:91]
	flat_load_ushort v16, v[55:56] offset:128 glc slc
	s_waitcnt vmcnt(0) lgkmcnt(0)
	v_lshlrev_b32_e32 v16, 16, v16
	v_mul_f32_e32 v17, v37, v16
	v_and_b32_e32 v16, 0x7f800000, v17
	v_cmp_ne_u32_e32 vcc, s54, v16
                                        ; implicit-def: $vgpr16
	s_and_saveexec_b64 s[90:91], vcc
	s_xor_b64 s[90:91], exec, s[90:91]
; %bb.1002:                             ;   in Loop: Header=BB2_997 Depth=3
	v_bfe_u32 v16, v17, 16, 1
	v_add3_u32 v16, v17, v16, s55
                                        ; implicit-def: $vgpr17
; %bb.1003:                             ;   in Loop: Header=BB2_997 Depth=3
	s_andn2_saveexec_b64 s[90:91], s[90:91]
; %bb.1004:                             ;   in Loop: Header=BB2_997 Depth=3
	v_or_b32_e32 v16, 0x10000, v17
	v_cmp_eq_u32_sdwa vcc, v17, v2 src0_sel:WORD_0 src1_sel:DWORD
	v_cndmask_b32_e32 v16, v16, v17, vcc
; %bb.1005:                             ;   in Loop: Header=BB2_997 Depth=3
	s_or_b64 exec, exec, s[90:91]
	flat_load_ushort v17, v[55:56] offset:256 glc slc
	s_waitcnt vmcnt(0) lgkmcnt(0)
	v_lshlrev_b32_e32 v17, 16, v17
	v_mul_f32_e32 v28, v37, v17
	v_and_b32_e32 v17, 0x7f800000, v28
	v_cmp_ne_u32_e32 vcc, s54, v17
                                        ; implicit-def: $vgpr17
	s_and_saveexec_b64 s[90:91], vcc
	s_xor_b64 s[90:91], exec, s[90:91]
; %bb.1006:                             ;   in Loop: Header=BB2_997 Depth=3
	v_bfe_u32 v17, v28, 16, 1
	v_add3_u32 v17, v28, v17, s55
                                        ; implicit-def: $vgpr28
; %bb.1007:                             ;   in Loop: Header=BB2_997 Depth=3
	s_andn2_saveexec_b64 s[90:91], s[90:91]
; %bb.1008:                             ;   in Loop: Header=BB2_997 Depth=3
	v_or_b32_e32 v17, 0x10000, v28
	v_cmp_eq_u32_sdwa vcc, v28, v2 src0_sel:WORD_0 src1_sel:DWORD
	v_cndmask_b32_e32 v17, v17, v28, vcc
; %bb.1009:                             ;   in Loop: Header=BB2_997 Depth=3
	s_or_b64 exec, exec, s[90:91]
	flat_load_ushort v22, v[55:56] offset:384 glc slc
                                        ; implicit-def: $vgpr28
	s_waitcnt vmcnt(0) lgkmcnt(0)
	v_lshlrev_b32_e32 v22, 16, v22
	v_mul_f32_e32 v33, v37, v22
	v_and_b32_e32 v22, 0x7f800000, v33
	v_cmp_ne_u32_e32 vcc, s54, v22
	s_and_saveexec_b64 s[90:91], vcc
	s_xor_b64 s[90:91], exec, s[90:91]
; %bb.1010:                             ;   in Loop: Header=BB2_997 Depth=3
	v_bfe_u32 v22, v33, 16, 1
	v_add3_u32 v28, v33, v22, s55
                                        ; implicit-def: $vgpr33
; %bb.1011:                             ;   in Loop: Header=BB2_997 Depth=3
	s_andn2_saveexec_b64 s[90:91], s[90:91]
; %bb.1012:                             ;   in Loop: Header=BB2_997 Depth=3
	v_or_b32_e32 v22, 0x10000, v33
	v_cmp_eq_u32_sdwa vcc, v33, v2 src0_sel:WORD_0 src1_sel:DWORD
	v_cndmask_b32_e32 v28, v22, v33, vcc
; %bb.1013:                             ;   in Loop: Header=BB2_997 Depth=3
	s_or_b64 exec, exec, s[90:91]
	flat_load_ushort v22, v[57:58] glc slc
	flat_load_ushort v49, v[57:58] offset:256 glc slc
	flat_load_ushort v33, v[57:58] offset:384 glc slc
	;; [unrolled: 1-line block ×3, first 2 shown]
	v_and_b32_e32 v0, 0xffff0000, v0
	s_waitcnt vmcnt(0) lgkmcnt(0)
	v_lshlrev_b32_e32 v22, 16, v22
	v_add_f32_e32 v51, v0, v22
	v_and_b32_e32 v0, 0x7f800000, v51
	v_cmp_ne_u32_e32 vcc, s54, v0
                                        ; implicit-def: $vgpr0
	s_and_saveexec_b64 s[90:91], vcc
	s_xor_b64 s[90:91], exec, s[90:91]
; %bb.1014:                             ;   in Loop: Header=BB2_997 Depth=3
	v_bfe_u32 v0, v51, 16, 1
	v_add3_u32 v0, v51, v0, s55
                                        ; implicit-def: $vgpr51
; %bb.1015:                             ;   in Loop: Header=BB2_997 Depth=3
	s_andn2_saveexec_b64 s[90:91], s[90:91]
; %bb.1016:                             ;   in Loop: Header=BB2_997 Depth=3
	v_or_b32_e32 v0, 0x10000, v51
	v_cmp_eq_u32_sdwa vcc, v51, v2 src0_sel:WORD_0 src1_sel:DWORD
	v_cndmask_b32_e32 v0, v0, v51, vcc
; %bb.1017:                             ;   in Loop: Header=BB2_997 Depth=3
	s_or_b64 exec, exec, s[90:91]
	v_and_b32_e32 v16, 0xffff0000, v16
	v_lshlrev_b32_e32 v22, 16, v50
	v_add_f32_e32 v50, v16, v22
	v_and_b32_e32 v16, 0x7f800000, v50
	v_cmp_ne_u32_e32 vcc, s54, v16
                                        ; implicit-def: $vgpr16
	s_and_saveexec_b64 s[90:91], vcc
	s_xor_b64 s[90:91], exec, s[90:91]
; %bb.1018:                             ;   in Loop: Header=BB2_997 Depth=3
	v_bfe_u32 v16, v50, 16, 1
	v_add3_u32 v16, v50, v16, s55
                                        ; implicit-def: $vgpr50
; %bb.1019:                             ;   in Loop: Header=BB2_997 Depth=3
	s_andn2_saveexec_b64 s[90:91], s[90:91]
; %bb.1020:                             ;   in Loop: Header=BB2_997 Depth=3
	v_or_b32_e32 v16, 0x10000, v50
	v_cmp_eq_u32_sdwa vcc, v50, v2 src0_sel:WORD_0 src1_sel:DWORD
	v_cndmask_b32_e32 v16, v16, v50, vcc
; %bb.1021:                             ;   in Loop: Header=BB2_997 Depth=3
	s_or_b64 exec, exec, s[90:91]
	v_and_b32_e32 v17, 0xffff0000, v17
	v_lshlrev_b32_e32 v22, 16, v49
	v_add_f32_e32 v49, v17, v22
	v_and_b32_e32 v17, 0x7f800000, v49
	v_cmp_ne_u32_e32 vcc, s54, v17
                                        ; implicit-def: $vgpr17
	s_and_saveexec_b64 s[90:91], vcc
	s_xor_b64 s[90:91], exec, s[90:91]
; %bb.1022:                             ;   in Loop: Header=BB2_997 Depth=3
	v_bfe_u32 v17, v49, 16, 1
	v_add3_u32 v17, v49, v17, s55
                                        ; implicit-def: $vgpr49
; %bb.1023:                             ;   in Loop: Header=BB2_997 Depth=3
	s_andn2_saveexec_b64 s[90:91], s[90:91]
; %bb.1024:                             ;   in Loop: Header=BB2_997 Depth=3
	v_or_b32_e32 v17, 0x10000, v49
	v_cmp_eq_u32_sdwa vcc, v49, v2 src0_sel:WORD_0 src1_sel:DWORD
	v_cndmask_b32_e32 v17, v17, v49, vcc
; %bb.1025:                             ;   in Loop: Header=BB2_997 Depth=3
	s_or_b64 exec, exec, s[90:91]
	v_and_b32_e32 v22, 0xffff0000, v28
	v_lshlrev_b32_e32 v23, 16, v33
	v_add_f32_e32 v33, v22, v23
	v_and_b32_e32 v22, 0x7f800000, v33
	v_cmp_ne_u32_e32 vcc, s54, v22
                                        ; implicit-def: $vgpr28
	s_and_saveexec_b64 s[90:91], vcc
	s_xor_b64 s[90:91], exec, s[90:91]
; %bb.1026:                             ;   in Loop: Header=BB2_997 Depth=3
	v_bfe_u32 v22, v33, 16, 1
	v_add3_u32 v28, v33, v22, s55
                                        ; implicit-def: $vgpr33
; %bb.1027:                             ;   in Loop: Header=BB2_997 Depth=3
	s_andn2_saveexec_b64 s[90:91], s[90:91]
	s_cbranch_execz .LBB2_996
; %bb.1028:                             ;   in Loop: Header=BB2_997 Depth=3
	v_or_b32_e32 v22, 0x10000, v33
	v_cmp_eq_u32_sdwa vcc, v33, v2 src0_sel:WORD_0 src1_sel:DWORD
	v_cndmask_b32_e32 v28, v22, v33, vcc
	s_branch .LBB2_996
.LBB2_1029:                             ;   in Loop: Header=BB2_775 Depth=2
	s_or_b64 exec, exec, s[40:41]
	buffer_load_dword v56, off, s[0:3], s33 offset:112 ; 4-byte Folded Reload
.LBB2_1030:                             ;   in Loop: Header=BB2_775 Depth=2
	s_or_b64 exec, exec, s[28:29]
	v_lshlrev_b32_e32 v0, 9, v36
	v_cmp_ne_u32_e32 vcc, v15, v0
	s_and_b64 exec, exec, vcc
	s_cbranch_execz .LBB2_1044
; %bb.1031:                             ;   in Loop: Header=BB2_775 Depth=2
	v_lshlrev_b32_e32 v8, 6, v19
	v_sub_u32_e32 v8, v30, v8
	v_lshlrev_b32_e32 v9, 6, v32
	v_sub_u32_e32 v8, v8, v9
	v_ashrrev_i32_e32 v9, 31, v8
	v_lshrrev_b32_e32 v9, 26, v9
	v_add_u32_e32 v9, v8, v9
	v_and_b32_e32 v10, 0x7fffffc0, v9
	v_sub_u32_e32 v8, v8, v10
	v_lshlrev_b32_e32 v9, 1, v9
	v_and_b32_e32 v9, 0xffffff80, v9
	v_lshlrev_b32_e32 v8, 1, v8
	v_add3_u32 v8, v9, v8, v0
	v_sub_u32_e32 v0, v15, v8
	v_cmp_lt_i32_e32 vcc, 1, v0
	s_and_b64 exec, exec, vcc
	s_cbranch_execz .LBB2_1044
; %bb.1032:                             ;   in Loop: Header=BB2_775 Depth=2
	v_add_u32_e32 v19, v8, v14
	buffer_load_dword v8, off, s[0:3], s33 offset:136 ; 4-byte Folded Reload
	buffer_load_dword v9, off, s[0:3], s33 offset:140 ; 4-byte Folded Reload
	v_ashrrev_i32_e32 v22, 31, v19
	s_trap 2
	ds_read_b64 v[10:11], v0
	s_mov_b64 s[90:91], 0
	s_waitcnt vmcnt(0)
	v_add_co_u32_e32 v14, vcc, v19, v8
	v_addc_co_u32_e32 v15, vcc, v22, v9, vcc
	v_add_co_u32_e32 v16, vcc, v19, v46
	v_addc_co_u32_e32 v17, vcc, v22, v47, vcc
	;; [unrolled: 2-line block ×3, first 2 shown]
	s_waitcnt lgkmcnt(0)
	v_add_co_u32_e32 v10, vcc, v10, v19
	ds_read_b32 v19, v0
	v_addc_co_u32_e32 v11, vcc, v11, v22, vcc
	s_waitcnt lgkmcnt(0)
	v_lshlrev_b32_e32 v19, 16, v19
.LBB2_1033:                             ;   Parent Loop BB2_47 Depth=1
                                        ;     Parent Loop BB2_775 Depth=2
                                        ; =>    This Loop Header: Depth=3
                                        ;         Child Loop BB2_1042 Depth 4
	flat_load_ushort v22, v[8:9] glc slc
                                        ; implicit-def: $vgpr30
	s_waitcnt vmcnt(0) lgkmcnt(0)
	v_lshlrev_b32_e32 v22, 16, v22
	v_mul_f32_e32 v28, v19, v22
	v_and_b32_e32 v22, 0x7f800000, v28
	v_cmp_ne_u32_e32 vcc, s54, v22
	s_and_saveexec_b64 s[28:29], vcc
	s_xor_b64 s[28:29], exec, s[28:29]
; %bb.1034:                             ;   in Loop: Header=BB2_1033 Depth=3
	v_bfe_u32 v22, v28, 16, 1
	v_add3_u32 v30, v28, v22, s55
                                        ; implicit-def: $vgpr28
; %bb.1035:                             ;   in Loop: Header=BB2_1033 Depth=3
	s_andn2_saveexec_b64 s[28:29], s[28:29]
; %bb.1036:                             ;   in Loop: Header=BB2_1033 Depth=3
	v_or_b32_e32 v22, 0x10000, v28
	v_cmp_eq_u32_sdwa vcc, v28, v2 src0_sel:WORD_0 src1_sel:DWORD
	v_cndmask_b32_e32 v30, v22, v28, vcc
; %bb.1037:                             ;   in Loop: Header=BB2_1033 Depth=3
	s_or_b64 exec, exec, s[28:29]
	flat_load_ushort v22, v[10:11] glc slc
	v_and_b32_e32 v23, 0xffff0000, v30
                                        ; implicit-def: $vgpr30
	s_waitcnt vmcnt(0) lgkmcnt(0)
	v_lshlrev_b32_e32 v22, 16, v22
	v_add_f32_e32 v28, v23, v22
	v_and_b32_e32 v22, 0x7f800000, v28
	v_cmp_ne_u32_e32 vcc, s54, v22
	s_and_saveexec_b64 s[28:29], vcc
	s_xor_b64 s[28:29], exec, s[28:29]
; %bb.1038:                             ;   in Loop: Header=BB2_1033 Depth=3
	v_bfe_u32 v22, v28, 16, 1
	v_add3_u32 v30, v28, v22, s55
                                        ; implicit-def: $vgpr28
; %bb.1039:                             ;   in Loop: Header=BB2_1033 Depth=3
	s_andn2_saveexec_b64 s[28:29], s[28:29]
; %bb.1040:                             ;   in Loop: Header=BB2_1033 Depth=3
	v_or_b32_e32 v22, 0x10000, v28
	v_cmp_eq_u32_sdwa vcc, v28, v2 src0_sel:WORD_0 src1_sel:DWORD
	v_cndmask_b32_e32 v30, v22, v28, vcc
; %bb.1041:                             ;   in Loop: Header=BB2_1033 Depth=3
	s_or_b64 exec, exec, s[28:29]
	v_lshrrev_b32_e32 v28, 16, v30
	s_mov_b64 s[94:95], 0
	s_mov_b64 s[92:93], -1
.LBB2_1042:                             ;   Parent Loop BB2_47 Depth=1
                                        ;     Parent Loop BB2_775 Depth=2
                                        ;       Parent Loop BB2_1033 Depth=3
                                        ; =>      This Inner Loop Header: Depth=4
	s_cmp_eq_u32 s94, 1
	s_cselect_b64 s[28:29], -1, 0
	v_cndmask_b32_e64 v23, v15, v17, s[28:29]
	v_cndmask_b32_e64 v22, v14, v16, s[28:29]
	flat_store_short v[22:23], v28 glc slc
	v_add_co_u32_e32 v22, vcc, 0x80, v22
	s_cmp_eq_u32 s94, 0
	v_addc_co_u32_e32 v23, vcc, 0, v23, vcc
	s_cselect_b64 vcc, -1, 0
	s_and_b64 s[40:41], exec, s[92:93]
	s_mov_b64 s[94:95], 1
	v_cndmask_b32_e64 v16, v16, v22, s[28:29]
	s_mov_b64 s[92:93], 0
	v_cndmask_b32_e64 v17, v17, v23, s[28:29]
	v_cndmask_b32_e32 v15, v15, v23, vcc
	v_cndmask_b32_e32 v14, v14, v22, vcc
	s_mov_b64 vcc, s[40:41]
	s_cbranch_vccnz .LBB2_1042
; %bb.1043:                             ;   in Loop: Header=BB2_1033 Depth=3
	buffer_load_dword v22, off, s[0:3], s33 offset:80 ; 4-byte Folded Reload
	buffer_load_dword v23, off, s[0:3], s33 offset:84 ; 4-byte Folded Reload
	v_sub_u32_e32 v0, v0, v34
	s_waitcnt vmcnt(0)
	v_add_co_u32_e32 v8, vcc, v8, v22
	v_addc_co_u32_e32 v9, vcc, v9, v23, vcc
	v_add_co_u32_e32 v10, vcc, v10, v22
	v_addc_co_u32_e32 v11, vcc, v11, v23, vcc
	buffer_load_dword v23, off, s[0:3], s33 offset:76 ; 4-byte Folded Reload
	v_add_u32_e32 v22, 0xffffff80, v34
	v_add_co_u32_e32 v14, vcc, v14, v22
	s_waitcnt vmcnt(0)
	v_addc_co_u32_e32 v15, vcc, v15, v23, vcc
	v_cmp_gt_i32_e32 vcc, 2, v0
	s_or_b64 s[90:91], vcc, s[90:91]
	v_add_co_u32_e32 v16, vcc, v16, v22
	v_addc_co_u32_e32 v17, vcc, v17, v23, vcc
	s_andn2_b64 exec, exec, s[90:91]
	s_cbranch_execnz .LBB2_1033
.LBB2_1044:                             ;   in Loop: Header=BB2_775 Depth=2
	s_or_b64 exec, exec, s[42:43]
	s_mov_b64 s[28:29], 0
.LBB2_1045:                             ;   in Loop: Header=BB2_775 Depth=2
	buffer_load_dword v46, off, s[0:3], s33 offset:88 ; 4-byte Folded Reload
	buffer_load_dword v47, off, s[0:3], s33 offset:92 ; 4-byte Folded Reload
	s_and_b64 vcc, exec, s[28:29]
	s_cbranch_vccz .LBB2_1240
; %bb.1046:                             ;   in Loop: Header=BB2_775 Depth=2
	s_mov_b64 s[28:29], -1
	s_and_saveexec_b64 s[40:41], s[22:23]
	s_cbranch_execz .LBB2_1048
; %bb.1047:                             ;   in Loop: Header=BB2_775 Depth=2
	ds_read_b32 v0, v0 offset:720
	s_waitcnt lgkmcnt(0)
	v_and_b32_e32 v0, 15, v0
	v_cmp_eq_u32_e32 vcc, 0, v0
	s_orn2_b64 s[28:29], vcc, exec
.LBB2_1048:                             ;   in Loop: Header=BB2_775 Depth=2
	s_or_b64 exec, exec, s[40:41]
	s_and_saveexec_b64 s[40:41], s[18:19]
	s_cbranch_execz .LBB2_1050
; %bb.1049:                             ;   in Loop: Header=BB2_775 Depth=2
	ds_read_b32 v0, v0 offset:784
	s_waitcnt lgkmcnt(0)
	v_and_b32_e32 v0, 15, v0
	v_cmp_eq_u32_e32 vcc, 0, v0
	s_and_b64 s[42:43], s[28:29], vcc
	s_andn2_b64 s[28:29], s[28:29], exec
	s_and_b64 s[42:43], s[42:43], exec
	s_or_b64 s[28:29], s[28:29], s[42:43]
.LBB2_1050:                             ;   in Loop: Header=BB2_775 Depth=2
	s_or_b64 exec, exec, s[40:41]
	s_xor_b64 s[28:29], s[28:29], -1
	v_cndmask_b32_e64 v0, 0, 1, s[28:29]
	s_mov_b64 s[42:43], -1
	v_mov_b32_e32 v36, 0
	v_cmp_ne_u32_e32 vcc, 0, v0
	s_cbranch_vccz .LBB2_1052
; %bb.1051:                             ;   in Loop: Header=BB2_775 Depth=2
	s_waitcnt vmcnt(0)
	v_mov_b32_e32 v32, v56
	s_and_saveexec_b64 s[28:29], s[42:43]
	s_cbranch_execnz .LBB2_1191
	s_branch .LBB2_1239
.LBB2_1052:                             ;   in Loop: Header=BB2_775 Depth=2
	buffer_load_dword v0, off, s[0:3], s33 offset:104 ; 4-byte Folded Reload
	s_waitcnt vmcnt(0)
	v_sub_u32_e32 v14, v48, v0
	v_ashrrev_i32_e32 v0, 31, v48
	v_lshrrev_b32_e32 v0, 22, v0
	v_add_u32_e32 v0, v48, v0
	v_ashrrev_i32_e32 v8, 10, v0
	v_and_b32_e32 v15, 0xfffffc00, v0
	buffer_load_dword v0, off, s[0:3], s33 offset:108 ; 4-byte Folded Reload
	v_sub_u32_e32 v30, v48, v15
	v_cmp_lt_i32_e32 vcc, 15, v30
	s_waitcnt vmcnt(0)
	v_sub_u32_e32 v0, v8, v0
	v_addc_co_u32_e64 v19, s[28:29], 0, v0, vcc
	v_cmp_lt_i32_e64 s[28:29], 15, v14
	s_and_saveexec_b64 s[40:41], s[28:29]
	s_cbranch_execz .LBB2_1120
; %bb.1053:                             ;   in Loop: Header=BB2_775 Depth=2
	s_trap 2
	buffer_load_dword v10, off, s[0:3], s33 offset:104 ; 4-byte Folded Reload
	ds_read_b64 v[8:9], v0
	ds_read_b32 v0, v0
	s_mov_b64 s[42:43], 0
	s_waitcnt lgkmcnt(0)
	v_lshlrev_b32_e32 v32, 16, v0
	s_waitcnt vmcnt(0)
	v_add_co_u32_e64 v46, s[28:29], v44, v10
	v_addc_co_u32_e64 v47, s[28:29], 0, v45, s[28:29]
	v_add_co_u32_e64 v55, s[28:29], v8, v10
	v_addc_co_u32_e64 v56, s[28:29], 0, v9, s[28:29]
	buffer_load_dword v8, off, s[0:3], s33 offset:136 ; 4-byte Folded Reload
	buffer_load_dword v9, off, s[0:3], s33 offset:140 ; 4-byte Folded Reload
	s_waitcnt vmcnt(1)
	v_add_co_u32_e64 v57, s[28:29], v8, v10
	s_waitcnt vmcnt(0)
	v_addc_co_u32_e64 v58, s[28:29], 0, v9, s[28:29]
	s_branch .LBB2_1055
.LBB2_1054:                             ;   in Loop: Header=BB2_1055 Depth=3
	s_or_b64 exec, exec, s[90:91]
	v_lshrrev_b32_e32 v16, 16, v16
	v_and_or_b32 v41, v0, s64, v16
	v_lshrrev_b32_e32 v0, 16, v37
	v_add_co_u32_e64 v46, s[28:29], v46, v4
	v_and_or_b32 v40, v8, s64, v0
	v_lshrrev_b32_e32 v0, 16, v9
	v_addc_co_u32_e64 v47, s[28:29], 0, v47, s[28:29]
	v_and_or_b32 v42, v10, s64, v0
	v_lshrrev_b32_e32 v0, 16, v17
	v_add_co_u32_e64 v55, s[28:29], v55, v4
	v_and_or_b32 v43, v11, s64, v0
	v_addc_co_u32_e64 v56, s[28:29], 0, v56, s[28:29]
	global_store_dwordx4 v[57:58], v[40:43], off glc slc
	v_add_co_u32_e64 v57, s[28:29], v57, v4
	v_addc_co_u32_e64 v58, s[28:29], 0, v58, s[28:29]
	v_sub_u32_e32 v14, v14, v4
	v_cmp_gt_i32_e64 s[28:29], 16, v14
	s_or_b64 s[42:43], s[28:29], s[42:43]
	v_sub_u32_e32 v19, v19, v62
	s_andn2_b64 exec, exec, s[42:43]
	s_cbranch_execz .LBB2_1119
.LBB2_1055:                             ;   Parent Loop BB2_47 Depth=1
                                        ;     Parent Loop BB2_775 Depth=2
                                        ; =>    This Inner Loop Header: Depth=3
	global_load_dwordx4 v[8:11], v[46:47], off glc slc
                                        ; implicit-def: $vgpr17
	s_waitcnt vmcnt(0)
	v_lshlrev_b32_e32 v0, 16, v8
	v_mul_f32_e32 v0, v32, v0
	v_and_b32_e32 v16, 0x7f800000, v0
	v_cmp_ne_u32_e64 s[28:29], s54, v16
	s_and_saveexec_b64 s[90:91], s[28:29]
	s_xor_b64 s[28:29], exec, s[90:91]
; %bb.1056:                             ;   in Loop: Header=BB2_1055 Depth=3
	v_bfe_u32 v16, v0, 16, 1
	v_add3_u32 v17, v0, v16, s55
                                        ; implicit-def: $vgpr0
; %bb.1057:                             ;   in Loop: Header=BB2_1055 Depth=3
	s_andn2_saveexec_b64 s[90:91], s[28:29]
; %bb.1058:                             ;   in Loop: Header=BB2_1055 Depth=3
	v_or_b32_e32 v16, 0x10000, v0
	v_cmp_eq_u32_sdwa s[28:29], v0, v2 src0_sel:WORD_0 src1_sel:DWORD
	v_cndmask_b32_e64 v17, v16, v0, s[28:29]
; %bb.1059:                             ;   in Loop: Header=BB2_1055 Depth=3
	s_or_b64 exec, exec, s[90:91]
	v_and_b32_e32 v0, 0xffff0000, v8
	v_mul_f32_e32 v0, v32, v0
	v_and_b32_e32 v8, 0x7f800000, v0
	v_cmp_ne_u32_e64 s[28:29], s54, v8
                                        ; implicit-def: $vgpr16
	s_and_saveexec_b64 s[90:91], s[28:29]
	s_xor_b64 s[28:29], exec, s[90:91]
; %bb.1060:                             ;   in Loop: Header=BB2_1055 Depth=3
	v_bfe_u32 v8, v0, 16, 1
	v_add3_u32 v16, v0, v8, s55
                                        ; implicit-def: $vgpr0
; %bb.1061:                             ;   in Loop: Header=BB2_1055 Depth=3
	s_andn2_saveexec_b64 s[90:91], s[28:29]
; %bb.1062:                             ;   in Loop: Header=BB2_1055 Depth=3
	v_or_b32_e32 v8, 0x10000, v0
	v_cmp_eq_u32_sdwa s[28:29], v0, v2 src0_sel:WORD_0 src1_sel:DWORD
	v_cndmask_b32_e64 v16, v8, v0, s[28:29]
; %bb.1063:                             ;   in Loop: Header=BB2_1055 Depth=3
	s_or_b64 exec, exec, s[90:91]
	v_lshlrev_b32_e32 v0, 16, v9
	v_mul_f32_e32 v0, v32, v0
	v_and_b32_e32 v8, 0x7f800000, v0
	v_cmp_ne_u32_e64 s[28:29], s54, v8
                                        ; implicit-def: $vgpr28
	s_and_saveexec_b64 s[90:91], s[28:29]
	s_xor_b64 s[28:29], exec, s[90:91]
; %bb.1064:                             ;   in Loop: Header=BB2_1055 Depth=3
	v_bfe_u32 v8, v0, 16, 1
	v_add3_u32 v28, v0, v8, s55
                                        ; implicit-def: $vgpr0
; %bb.1065:                             ;   in Loop: Header=BB2_1055 Depth=3
	s_andn2_saveexec_b64 s[90:91], s[28:29]
; %bb.1066:                             ;   in Loop: Header=BB2_1055 Depth=3
	v_or_b32_e32 v8, 0x10000, v0
	v_cmp_eq_u32_sdwa s[28:29], v0, v2 src0_sel:WORD_0 src1_sel:DWORD
	v_cndmask_b32_e64 v28, v8, v0, s[28:29]
; %bb.1067:                             ;   in Loop: Header=BB2_1055 Depth=3
	s_or_b64 exec, exec, s[90:91]
	v_and_b32_e32 v0, 0xffff0000, v9
	v_mul_f32_e32 v8, v32, v0
	v_and_b32_e32 v0, 0x7f800000, v8
	v_cmp_ne_u32_e64 s[28:29], s54, v0
                                        ; implicit-def: $vgpr0
	s_and_saveexec_b64 s[90:91], s[28:29]
	s_xor_b64 s[28:29], exec, s[90:91]
; %bb.1068:                             ;   in Loop: Header=BB2_1055 Depth=3
	v_bfe_u32 v0, v8, 16, 1
	v_add3_u32 v0, v8, v0, s55
                                        ; implicit-def: $vgpr8
; %bb.1069:                             ;   in Loop: Header=BB2_1055 Depth=3
	s_andn2_saveexec_b64 s[90:91], s[28:29]
; %bb.1070:                             ;   in Loop: Header=BB2_1055 Depth=3
	v_or_b32_e32 v0, 0x10000, v8
	v_cmp_eq_u32_sdwa s[28:29], v8, v2 src0_sel:WORD_0 src1_sel:DWORD
	v_cndmask_b32_e64 v0, v0, v8, s[28:29]
; %bb.1071:                             ;   in Loop: Header=BB2_1055 Depth=3
	s_or_b64 exec, exec, s[90:91]
	v_lshlrev_b32_e32 v8, 16, v10
	v_mul_f32_e32 v8, v32, v8
	v_and_b32_e32 v9, 0x7f800000, v8
	v_cmp_ne_u32_e64 s[28:29], s54, v9
                                        ; implicit-def: $vgpr33
	s_and_saveexec_b64 s[90:91], s[28:29]
	s_xor_b64 s[28:29], exec, s[90:91]
; %bb.1072:                             ;   in Loop: Header=BB2_1055 Depth=3
	v_bfe_u32 v9, v8, 16, 1
	v_add3_u32 v33, v8, v9, s55
                                        ; implicit-def: $vgpr8
; %bb.1073:                             ;   in Loop: Header=BB2_1055 Depth=3
	s_andn2_saveexec_b64 s[90:91], s[28:29]
; %bb.1074:                             ;   in Loop: Header=BB2_1055 Depth=3
	v_or_b32_e32 v9, 0x10000, v8
	v_cmp_eq_u32_sdwa s[28:29], v8, v2 src0_sel:WORD_0 src1_sel:DWORD
	v_cndmask_b32_e64 v33, v9, v8, s[28:29]
; %bb.1075:                             ;   in Loop: Header=BB2_1055 Depth=3
	s_or_b64 exec, exec, s[90:91]
	v_and_b32_e32 v8, 0xffff0000, v10
	v_mul_f32_e32 v8, v32, v8
	v_and_b32_e32 v9, 0x7f800000, v8
	v_cmp_ne_u32_e64 s[28:29], s54, v9
                                        ; implicit-def: $vgpr50
	s_and_saveexec_b64 s[90:91], s[28:29]
	s_xor_b64 s[28:29], exec, s[90:91]
; %bb.1076:                             ;   in Loop: Header=BB2_1055 Depth=3
	v_bfe_u32 v9, v8, 16, 1
	v_add3_u32 v50, v8, v9, s55
                                        ; implicit-def: $vgpr8
; %bb.1077:                             ;   in Loop: Header=BB2_1055 Depth=3
	s_andn2_saveexec_b64 s[90:91], s[28:29]
; %bb.1078:                             ;   in Loop: Header=BB2_1055 Depth=3
	v_or_b32_e32 v9, 0x10000, v8
	v_cmp_eq_u32_sdwa s[28:29], v8, v2 src0_sel:WORD_0 src1_sel:DWORD
	v_cndmask_b32_e64 v50, v9, v8, s[28:29]
; %bb.1079:                             ;   in Loop: Header=BB2_1055 Depth=3
	s_or_b64 exec, exec, s[90:91]
	v_lshlrev_b32_e32 v8, 16, v11
	v_mul_f32_e32 v8, v32, v8
	v_and_b32_e32 v9, 0x7f800000, v8
	v_cmp_ne_u32_e64 s[28:29], s54, v9
                                        ; implicit-def: $vgpr49
	s_and_saveexec_b64 s[90:91], s[28:29]
	s_xor_b64 s[28:29], exec, s[90:91]
; %bb.1080:                             ;   in Loop: Header=BB2_1055 Depth=3
	v_bfe_u32 v9, v8, 16, 1
	v_add3_u32 v49, v8, v9, s55
                                        ; implicit-def: $vgpr8
; %bb.1081:                             ;   in Loop: Header=BB2_1055 Depth=3
	s_andn2_saveexec_b64 s[90:91], s[28:29]
; %bb.1082:                             ;   in Loop: Header=BB2_1055 Depth=3
	v_or_b32_e32 v9, 0x10000, v8
	v_cmp_eq_u32_sdwa s[28:29], v8, v2 src0_sel:WORD_0 src1_sel:DWORD
	v_cndmask_b32_e64 v49, v9, v8, s[28:29]
; %bb.1083:                             ;   in Loop: Header=BB2_1055 Depth=3
	s_or_b64 exec, exec, s[90:91]
	v_and_b32_e32 v8, 0xffff0000, v11
	v_mul_f32_e32 v8, v32, v8
	v_and_b32_e32 v9, 0x7f800000, v8
	v_cmp_ne_u32_e64 s[28:29], s54, v9
                                        ; implicit-def: $vgpr36
	s_and_saveexec_b64 s[90:91], s[28:29]
	s_xor_b64 s[28:29], exec, s[90:91]
; %bb.1084:                             ;   in Loop: Header=BB2_1055 Depth=3
	v_bfe_u32 v9, v8, 16, 1
	v_add3_u32 v36, v8, v9, s55
                                        ; implicit-def: $vgpr8
; %bb.1085:                             ;   in Loop: Header=BB2_1055 Depth=3
	s_andn2_saveexec_b64 s[90:91], s[28:29]
; %bb.1086:                             ;   in Loop: Header=BB2_1055 Depth=3
	v_or_b32_e32 v9, 0x10000, v8
	v_cmp_eq_u32_sdwa s[28:29], v8, v2 src0_sel:WORD_0 src1_sel:DWORD
	v_cndmask_b32_e64 v36, v9, v8, s[28:29]
; %bb.1087:                             ;   in Loop: Header=BB2_1055 Depth=3
	s_or_b64 exec, exec, s[90:91]
	global_load_dwordx4 v[8:11], v[55:56], off glc slc
	v_and_b32_e32 v17, 0xffff0000, v17
                                        ; implicit-def: $vgpr37
	s_waitcnt vmcnt(0)
	v_lshlrev_b32_e32 v22, 16, v8
	v_add_f32_e32 v17, v17, v22
	v_and_b32_e32 v22, 0x7f800000, v17
	v_cmp_ne_u32_e64 s[28:29], s54, v22
	s_and_saveexec_b64 s[90:91], s[28:29]
	s_xor_b64 s[28:29], exec, s[90:91]
; %bb.1088:                             ;   in Loop: Header=BB2_1055 Depth=3
	v_bfe_u32 v22, v17, 16, 1
	v_add3_u32 v37, v17, v22, s55
                                        ; implicit-def: $vgpr17
; %bb.1089:                             ;   in Loop: Header=BB2_1055 Depth=3
	s_andn2_saveexec_b64 s[90:91], s[28:29]
; %bb.1090:                             ;   in Loop: Header=BB2_1055 Depth=3
	v_or_b32_e32 v22, 0x10000, v17
	v_cmp_eq_u32_sdwa s[28:29], v17, v2 src0_sel:WORD_0 src1_sel:DWORD
	v_cndmask_b32_e64 v37, v22, v17, s[28:29]
; %bb.1091:                             ;   in Loop: Header=BB2_1055 Depth=3
	s_or_b64 exec, exec, s[90:91]
	v_and_b32_e32 v16, 0xffff0000, v16
	v_and_b32_e32 v8, 0xffff0000, v8
	v_add_f32_e32 v16, v16, v8
	v_and_b32_e32 v8, 0x7f800000, v16
	v_cmp_ne_u32_e64 s[28:29], s54, v8
                                        ; implicit-def: $vgpr8
	s_and_saveexec_b64 s[90:91], s[28:29]
	s_xor_b64 s[28:29], exec, s[90:91]
; %bb.1092:                             ;   in Loop: Header=BB2_1055 Depth=3
	v_bfe_u32 v8, v16, 16, 1
	v_add3_u32 v8, v16, v8, s55
                                        ; implicit-def: $vgpr16
; %bb.1093:                             ;   in Loop: Header=BB2_1055 Depth=3
	s_andn2_saveexec_b64 s[90:91], s[28:29]
; %bb.1094:                             ;   in Loop: Header=BB2_1055 Depth=3
	v_or_b32_e32 v8, 0x10000, v16
	v_cmp_eq_u32_sdwa s[28:29], v16, v2 src0_sel:WORD_0 src1_sel:DWORD
	v_cndmask_b32_e64 v8, v8, v16, s[28:29]
; %bb.1095:                             ;   in Loop: Header=BB2_1055 Depth=3
	s_or_b64 exec, exec, s[90:91]
	v_and_b32_e32 v16, 0xffff0000, v28
	v_lshlrev_b32_e32 v17, 16, v9
	v_add_f32_e32 v17, v16, v17
	v_and_b32_e32 v16, 0x7f800000, v17
	v_cmp_ne_u32_e64 s[28:29], s54, v16
                                        ; implicit-def: $vgpr16
	s_and_saveexec_b64 s[90:91], s[28:29]
	s_xor_b64 s[28:29], exec, s[90:91]
; %bb.1096:                             ;   in Loop: Header=BB2_1055 Depth=3
	v_bfe_u32 v16, v17, 16, 1
	v_add3_u32 v16, v17, v16, s55
                                        ; implicit-def: $vgpr17
; %bb.1097:                             ;   in Loop: Header=BB2_1055 Depth=3
	s_andn2_saveexec_b64 s[90:91], s[28:29]
; %bb.1098:                             ;   in Loop: Header=BB2_1055 Depth=3
	v_or_b32_e32 v16, 0x10000, v17
	v_cmp_eq_u32_sdwa s[28:29], v17, v2 src0_sel:WORD_0 src1_sel:DWORD
	v_cndmask_b32_e64 v16, v16, v17, s[28:29]
; %bb.1099:                             ;   in Loop: Header=BB2_1055 Depth=3
	s_or_b64 exec, exec, s[90:91]
	v_and_b32_e32 v0, 0xffff0000, v0
	v_and_b32_e32 v9, 0xffff0000, v9
	v_add_f32_e32 v9, v0, v9
	v_and_b32_e32 v0, 0x7f800000, v9
	v_cmp_ne_u32_e64 s[28:29], s54, v0
                                        ; implicit-def: $vgpr0
	s_and_saveexec_b64 s[90:91], s[28:29]
	s_xor_b64 s[28:29], exec, s[90:91]
; %bb.1100:                             ;   in Loop: Header=BB2_1055 Depth=3
	v_bfe_u32 v0, v9, 16, 1
	v_add3_u32 v0, v9, v0, s55
                                        ; implicit-def: $vgpr9
; %bb.1101:                             ;   in Loop: Header=BB2_1055 Depth=3
	s_andn2_saveexec_b64 s[90:91], s[28:29]
; %bb.1102:                             ;   in Loop: Header=BB2_1055 Depth=3
	v_or_b32_e32 v0, 0x10000, v9
	v_cmp_eq_u32_sdwa s[28:29], v9, v2 src0_sel:WORD_0 src1_sel:DWORD
	v_cndmask_b32_e64 v0, v0, v9, s[28:29]
; %bb.1103:                             ;   in Loop: Header=BB2_1055 Depth=3
	s_or_b64 exec, exec, s[90:91]
	v_and_b32_e32 v9, 0xffff0000, v33
	v_lshlrev_b32_e32 v17, 16, v10
	v_add_f32_e32 v17, v9, v17
	v_and_b32_e32 v9, 0x7f800000, v17
	v_cmp_ne_u32_e64 s[28:29], s54, v9
                                        ; implicit-def: $vgpr9
	s_and_saveexec_b64 s[90:91], s[28:29]
	s_xor_b64 s[28:29], exec, s[90:91]
; %bb.1104:                             ;   in Loop: Header=BB2_1055 Depth=3
	v_bfe_u32 v9, v17, 16, 1
	v_add3_u32 v9, v17, v9, s55
                                        ; implicit-def: $vgpr17
; %bb.1105:                             ;   in Loop: Header=BB2_1055 Depth=3
	s_andn2_saveexec_b64 s[90:91], s[28:29]
; %bb.1106:                             ;   in Loop: Header=BB2_1055 Depth=3
	v_or_b32_e32 v9, 0x10000, v17
	v_cmp_eq_u32_sdwa s[28:29], v17, v2 src0_sel:WORD_0 src1_sel:DWORD
	v_cndmask_b32_e64 v9, v9, v17, s[28:29]
; %bb.1107:                             ;   in Loop: Header=BB2_1055 Depth=3
	s_or_b64 exec, exec, s[90:91]
	v_and_b32_e32 v17, 0xffff0000, v50
	v_and_b32_e32 v10, 0xffff0000, v10
	v_add_f32_e32 v17, v17, v10
	v_and_b32_e32 v10, 0x7f800000, v17
	v_cmp_ne_u32_e64 s[28:29], s54, v10
                                        ; implicit-def: $vgpr10
	s_and_saveexec_b64 s[90:91], s[28:29]
	s_xor_b64 s[28:29], exec, s[90:91]
; %bb.1108:                             ;   in Loop: Header=BB2_1055 Depth=3
	v_bfe_u32 v10, v17, 16, 1
	v_add3_u32 v10, v17, v10, s55
                                        ; implicit-def: $vgpr17
; %bb.1109:                             ;   in Loop: Header=BB2_1055 Depth=3
	s_andn2_saveexec_b64 s[90:91], s[28:29]
; %bb.1110:                             ;   in Loop: Header=BB2_1055 Depth=3
	v_or_b32_e32 v10, 0x10000, v17
	v_cmp_eq_u32_sdwa s[28:29], v17, v2 src0_sel:WORD_0 src1_sel:DWORD
	v_cndmask_b32_e64 v10, v10, v17, s[28:29]
; %bb.1111:                             ;   in Loop: Header=BB2_1055 Depth=3
	s_or_b64 exec, exec, s[90:91]
	v_and_b32_e32 v17, 0xffff0000, v49
	v_lshlrev_b32_e32 v22, 16, v11
	v_add_f32_e32 v28, v17, v22
	v_and_b32_e32 v17, 0x7f800000, v28
	v_cmp_ne_u32_e64 s[28:29], s54, v17
                                        ; implicit-def: $vgpr17
	s_and_saveexec_b64 s[90:91], s[28:29]
	s_xor_b64 s[28:29], exec, s[90:91]
; %bb.1112:                             ;   in Loop: Header=BB2_1055 Depth=3
	v_bfe_u32 v17, v28, 16, 1
	v_add3_u32 v17, v28, v17, s55
                                        ; implicit-def: $vgpr28
; %bb.1113:                             ;   in Loop: Header=BB2_1055 Depth=3
	s_andn2_saveexec_b64 s[90:91], s[28:29]
; %bb.1114:                             ;   in Loop: Header=BB2_1055 Depth=3
	v_or_b32_e32 v17, 0x10000, v28
	v_cmp_eq_u32_sdwa s[28:29], v28, v2 src0_sel:WORD_0 src1_sel:DWORD
	v_cndmask_b32_e64 v17, v17, v28, s[28:29]
; %bb.1115:                             ;   in Loop: Header=BB2_1055 Depth=3
	s_or_b64 exec, exec, s[90:91]
	v_and_b32_e32 v22, 0xffff0000, v36
	v_and_b32_e32 v11, 0xffff0000, v11
	v_add_f32_e32 v28, v22, v11
	v_and_b32_e32 v11, 0x7f800000, v28
	v_cmp_ne_u32_e64 s[28:29], s54, v11
                                        ; implicit-def: $vgpr11
	s_and_saveexec_b64 s[90:91], s[28:29]
	s_xor_b64 s[28:29], exec, s[90:91]
; %bb.1116:                             ;   in Loop: Header=BB2_1055 Depth=3
	v_bfe_u32 v11, v28, 16, 1
	v_add3_u32 v11, v28, v11, s55
                                        ; implicit-def: $vgpr28
; %bb.1117:                             ;   in Loop: Header=BB2_1055 Depth=3
	s_andn2_saveexec_b64 s[90:91], s[28:29]
	s_cbranch_execz .LBB2_1054
; %bb.1118:                             ;   in Loop: Header=BB2_1055 Depth=3
	v_or_b32_e32 v11, 0x10000, v28
	v_cmp_eq_u32_sdwa s[28:29], v28, v2 src0_sel:WORD_0 src1_sel:DWORD
	v_cndmask_b32_e64 v11, v11, v28, s[28:29]
	s_branch .LBB2_1054
.LBB2_1119:                             ;   in Loop: Header=BB2_775 Depth=2
	s_or_b64 exec, exec, s[42:43]
	buffer_load_dword v56, off, s[0:3], s33 offset:112 ; 4-byte Folded Reload
	buffer_load_dword v46, off, s[0:3], s33 offset:88 ; 4-byte Folded Reload
	;; [unrolled: 1-line block ×3, first 2 shown]
.LBB2_1120:                             ;   in Loop: Header=BB2_775 Depth=2
	s_or_b64 exec, exec, s[40:41]
	v_and_b32_e32 v0, 14, v48
	v_cndmask_b32_e32 v14, v30, v0, vcc
	v_mov_b32_e32 v36, 0
	v_cmp_ne_u32_e64 s[28:29], 0, v14
	s_mov_b64 s[42:43], 0
                                        ; implicit-def: $vgpr48
                                        ; implicit-def: $vgpr32
	s_and_saveexec_b64 s[40:41], s[28:29]
	s_cbranch_execz .LBB2_1190
; %bb.1121:                             ;   in Loop: Header=BB2_775 Depth=2
	buffer_load_dword v8, off, s[0:3], s33 offset:116 ; 4-byte Folded Reload
	v_sub_u32_e32 v0, v30, v0
	v_cndmask_b32_e32 v0, 0, v0, vcc
	v_cmp_lt_i32_e32 vcc, 0, v19
	v_add_u32_e32 v15, v0, v15
	v_cndmask_b32_e32 v0, 0, v62, vcc
	v_sub_u32_e32 v0, v0, v19
	s_waitcnt vmcnt(0)
	v_lshl_or_b32 v0, v0, 6, v8
	v_ashrrev_i32_e32 v8, 31, v0
	v_lshrrev_b32_e32 v8, 26, v8
	v_add_u32_e32 v8, v0, v8
	v_ashrrev_i32_e32 v9, 6, v8
	v_and_b32_e32 v8, 0xffffffc0, v8
	v_sub_u32_e32 v19, v0, v8
	v_ashrrev_i32_e32 v8, 31, v14
	v_lshrrev_b32_e32 v8, 22, v8
	v_add_u32_e32 v8, v14, v8
	v_and_b32_e32 v30, 0xfffffc00, v8
	v_lshlrev_b32_e32 v0, 4, v19
	v_sub_u32_e32 v32, v14, v30
	v_lshl_add_u32 v0, v9, 10, v0
	v_ashrrev_i32_e32 v10, 10, v8
	v_cmp_lt_i32_e32 vcc, 15, v32
	v_sub_u32_e32 v48, v14, v0
	v_addc_co_u32_e64 v8, s[28:29], 0, v10, vcc
	v_sub_u32_e32 v49, v8, v9
	v_cmp_lt_i32_e64 s[28:29], 15, v48
	s_and_saveexec_b64 s[42:43], s[28:29]
	s_cbranch_execz .LBB2_1189
; %bb.1122:                             ;   in Loop: Header=BB2_775 Depth=2
	v_add_u32_e32 v0, v0, v15
	s_trap 2
	ds_read_b64 v[8:9], v0
	ds_read_b32 v11, v0
	v_ashrrev_i32_e32 v10, 31, v0
	v_add_co_u32_e64 v46, s[28:29], v0, v44
	v_addc_co_u32_e64 v47, s[28:29], v10, v45, s[28:29]
	s_waitcnt lgkmcnt(0)
	v_add_co_u32_e64 v55, s[28:29], v8, v0
	v_addc_co_u32_e64 v56, s[28:29], v9, v10, s[28:29]
	buffer_load_dword v8, off, s[0:3], s33 offset:136 ; 4-byte Folded Reload
	buffer_load_dword v9, off, s[0:3], s33 offset:140 ; 4-byte Folded Reload
	v_lshlrev_b32_e32 v36, 16, v11
	s_mov_b64 s[90:91], 0
	s_waitcnt vmcnt(1)
	v_add_co_u32_e64 v57, s[28:29], v0, v8
	s_waitcnt vmcnt(0)
	v_addc_co_u32_e64 v58, s[28:29], v10, v9, s[28:29]
	s_branch .LBB2_1124
.LBB2_1123:                             ;   in Loop: Header=BB2_1124 Depth=3
	s_or_b64 exec, exec, s[92:93]
	v_lshrrev_b32_e32 v16, 16, v16
	v_and_or_b32 v41, v0, s64, v16
	v_lshrrev_b32_e32 v0, 16, v53
	v_add_co_u32_e64 v46, s[28:29], v46, v4
	v_and_or_b32 v40, v8, s64, v0
	v_lshrrev_b32_e32 v0, 16, v9
	v_addc_co_u32_e64 v47, s[28:29], 0, v47, s[28:29]
	v_and_or_b32 v42, v10, s64, v0
	v_lshrrev_b32_e32 v0, 16, v17
	v_add_co_u32_e64 v55, s[28:29], v55, v4
	v_and_or_b32 v43, v11, s64, v0
	v_addc_co_u32_e64 v56, s[28:29], 0, v56, s[28:29]
	global_store_dwordx4 v[57:58], v[40:43], off glc slc
	v_add_co_u32_e64 v57, s[28:29], v57, v4
	v_addc_co_u32_e64 v58, s[28:29], 0, v58, s[28:29]
	v_sub_u32_e32 v48, v48, v4
	v_cmp_gt_i32_e64 s[28:29], 16, v48
	s_or_b64 s[90:91], s[28:29], s[90:91]
	v_sub_u32_e32 v49, v49, v62
	s_andn2_b64 exec, exec, s[90:91]
	s_cbranch_execz .LBB2_1188
.LBB2_1124:                             ;   Parent Loop BB2_47 Depth=1
                                        ;     Parent Loop BB2_775 Depth=2
                                        ; =>    This Inner Loop Header: Depth=3
	global_load_dwordx4 v[8:11], v[46:47], off glc slc
                                        ; implicit-def: $vgpr17
	s_waitcnt vmcnt(0)
	v_lshlrev_b32_e32 v0, 16, v8
	v_mul_f32_e32 v0, v36, v0
	v_and_b32_e32 v16, 0x7f800000, v0
	v_cmp_ne_u32_e64 s[28:29], s54, v16
	s_and_saveexec_b64 s[92:93], s[28:29]
	s_xor_b64 s[28:29], exec, s[92:93]
; %bb.1125:                             ;   in Loop: Header=BB2_1124 Depth=3
	v_bfe_u32 v16, v0, 16, 1
	v_add3_u32 v17, v0, v16, s55
                                        ; implicit-def: $vgpr0
; %bb.1126:                             ;   in Loop: Header=BB2_1124 Depth=3
	s_andn2_saveexec_b64 s[92:93], s[28:29]
; %bb.1127:                             ;   in Loop: Header=BB2_1124 Depth=3
	v_or_b32_e32 v16, 0x10000, v0
	v_cmp_eq_u32_sdwa s[28:29], v0, v2 src0_sel:WORD_0 src1_sel:DWORD
	v_cndmask_b32_e64 v17, v16, v0, s[28:29]
; %bb.1128:                             ;   in Loop: Header=BB2_1124 Depth=3
	s_or_b64 exec, exec, s[92:93]
	v_and_b32_e32 v0, 0xffff0000, v8
	v_mul_f32_e32 v0, v36, v0
	v_and_b32_e32 v8, 0x7f800000, v0
	v_cmp_ne_u32_e64 s[28:29], s54, v8
                                        ; implicit-def: $vgpr16
	s_and_saveexec_b64 s[92:93], s[28:29]
	s_xor_b64 s[28:29], exec, s[92:93]
; %bb.1129:                             ;   in Loop: Header=BB2_1124 Depth=3
	v_bfe_u32 v8, v0, 16, 1
	v_add3_u32 v16, v0, v8, s55
                                        ; implicit-def: $vgpr0
; %bb.1130:                             ;   in Loop: Header=BB2_1124 Depth=3
	s_andn2_saveexec_b64 s[92:93], s[28:29]
; %bb.1131:                             ;   in Loop: Header=BB2_1124 Depth=3
	v_or_b32_e32 v8, 0x10000, v0
	v_cmp_eq_u32_sdwa s[28:29], v0, v2 src0_sel:WORD_0 src1_sel:DWORD
	v_cndmask_b32_e64 v16, v8, v0, s[28:29]
; %bb.1132:                             ;   in Loop: Header=BB2_1124 Depth=3
	s_or_b64 exec, exec, s[92:93]
	v_lshlrev_b32_e32 v0, 16, v9
	v_mul_f32_e32 v0, v36, v0
	v_and_b32_e32 v8, 0x7f800000, v0
	v_cmp_ne_u32_e64 s[28:29], s54, v8
                                        ; implicit-def: $vgpr28
	s_and_saveexec_b64 s[92:93], s[28:29]
	s_xor_b64 s[28:29], exec, s[92:93]
; %bb.1133:                             ;   in Loop: Header=BB2_1124 Depth=3
	v_bfe_u32 v8, v0, 16, 1
	v_add3_u32 v28, v0, v8, s55
                                        ; implicit-def: $vgpr0
; %bb.1134:                             ;   in Loop: Header=BB2_1124 Depth=3
	s_andn2_saveexec_b64 s[92:93], s[28:29]
; %bb.1135:                             ;   in Loop: Header=BB2_1124 Depth=3
	v_or_b32_e32 v8, 0x10000, v0
	v_cmp_eq_u32_sdwa s[28:29], v0, v2 src0_sel:WORD_0 src1_sel:DWORD
	v_cndmask_b32_e64 v28, v8, v0, s[28:29]
; %bb.1136:                             ;   in Loop: Header=BB2_1124 Depth=3
	s_or_b64 exec, exec, s[92:93]
	v_and_b32_e32 v0, 0xffff0000, v9
	v_mul_f32_e32 v8, v36, v0
	v_and_b32_e32 v0, 0x7f800000, v8
	v_cmp_ne_u32_e64 s[28:29], s54, v0
                                        ; implicit-def: $vgpr0
	s_and_saveexec_b64 s[92:93], s[28:29]
	s_xor_b64 s[28:29], exec, s[92:93]
; %bb.1137:                             ;   in Loop: Header=BB2_1124 Depth=3
	v_bfe_u32 v0, v8, 16, 1
	v_add3_u32 v0, v8, v0, s55
                                        ; implicit-def: $vgpr8
; %bb.1138:                             ;   in Loop: Header=BB2_1124 Depth=3
	s_andn2_saveexec_b64 s[92:93], s[28:29]
; %bb.1139:                             ;   in Loop: Header=BB2_1124 Depth=3
	v_or_b32_e32 v0, 0x10000, v8
	v_cmp_eq_u32_sdwa s[28:29], v8, v2 src0_sel:WORD_0 src1_sel:DWORD
	v_cndmask_b32_e64 v0, v0, v8, s[28:29]
; %bb.1140:                             ;   in Loop: Header=BB2_1124 Depth=3
	s_or_b64 exec, exec, s[92:93]
	v_lshlrev_b32_e32 v8, 16, v10
	v_mul_f32_e32 v8, v36, v8
	v_and_b32_e32 v9, 0x7f800000, v8
	v_cmp_ne_u32_e64 s[28:29], s54, v9
                                        ; implicit-def: $vgpr33
	s_and_saveexec_b64 s[92:93], s[28:29]
	s_xor_b64 s[28:29], exec, s[92:93]
; %bb.1141:                             ;   in Loop: Header=BB2_1124 Depth=3
	v_bfe_u32 v9, v8, 16, 1
	v_add3_u32 v33, v8, v9, s55
                                        ; implicit-def: $vgpr8
; %bb.1142:                             ;   in Loop: Header=BB2_1124 Depth=3
	s_andn2_saveexec_b64 s[92:93], s[28:29]
; %bb.1143:                             ;   in Loop: Header=BB2_1124 Depth=3
	v_or_b32_e32 v9, 0x10000, v8
	v_cmp_eq_u32_sdwa s[28:29], v8, v2 src0_sel:WORD_0 src1_sel:DWORD
	v_cndmask_b32_e64 v33, v9, v8, s[28:29]
; %bb.1144:                             ;   in Loop: Header=BB2_1124 Depth=3
	s_or_b64 exec, exec, s[92:93]
	v_and_b32_e32 v8, 0xffff0000, v10
	v_mul_f32_e32 v8, v36, v8
	v_and_b32_e32 v9, 0x7f800000, v8
	v_cmp_ne_u32_e64 s[28:29], s54, v9
                                        ; implicit-def: $vgpr51
	s_and_saveexec_b64 s[92:93], s[28:29]
	s_xor_b64 s[28:29], exec, s[92:93]
; %bb.1145:                             ;   in Loop: Header=BB2_1124 Depth=3
	v_bfe_u32 v9, v8, 16, 1
	v_add3_u32 v51, v8, v9, s55
                                        ; implicit-def: $vgpr8
; %bb.1146:                             ;   in Loop: Header=BB2_1124 Depth=3
	s_andn2_saveexec_b64 s[92:93], s[28:29]
; %bb.1147:                             ;   in Loop: Header=BB2_1124 Depth=3
	v_or_b32_e32 v9, 0x10000, v8
	v_cmp_eq_u32_sdwa s[28:29], v8, v2 src0_sel:WORD_0 src1_sel:DWORD
	v_cndmask_b32_e64 v51, v9, v8, s[28:29]
; %bb.1148:                             ;   in Loop: Header=BB2_1124 Depth=3
	s_or_b64 exec, exec, s[92:93]
	v_lshlrev_b32_e32 v8, 16, v11
	v_mul_f32_e32 v8, v36, v8
	v_and_b32_e32 v9, 0x7f800000, v8
	v_cmp_ne_u32_e64 s[28:29], s54, v9
                                        ; implicit-def: $vgpr50
	s_and_saveexec_b64 s[92:93], s[28:29]
	s_xor_b64 s[28:29], exec, s[92:93]
; %bb.1149:                             ;   in Loop: Header=BB2_1124 Depth=3
	v_bfe_u32 v9, v8, 16, 1
	v_add3_u32 v50, v8, v9, s55
                                        ; implicit-def: $vgpr8
; %bb.1150:                             ;   in Loop: Header=BB2_1124 Depth=3
	s_andn2_saveexec_b64 s[92:93], s[28:29]
; %bb.1151:                             ;   in Loop: Header=BB2_1124 Depth=3
	v_or_b32_e32 v9, 0x10000, v8
	v_cmp_eq_u32_sdwa s[28:29], v8, v2 src0_sel:WORD_0 src1_sel:DWORD
	v_cndmask_b32_e64 v50, v9, v8, s[28:29]
; %bb.1152:                             ;   in Loop: Header=BB2_1124 Depth=3
	s_or_b64 exec, exec, s[92:93]
	v_and_b32_e32 v8, 0xffff0000, v11
	v_mul_f32_e32 v8, v36, v8
	v_and_b32_e32 v9, 0x7f800000, v8
	v_cmp_ne_u32_e64 s[28:29], s54, v9
                                        ; implicit-def: $vgpr37
	s_and_saveexec_b64 s[92:93], s[28:29]
	s_xor_b64 s[28:29], exec, s[92:93]
; %bb.1153:                             ;   in Loop: Header=BB2_1124 Depth=3
	v_bfe_u32 v9, v8, 16, 1
	v_add3_u32 v37, v8, v9, s55
                                        ; implicit-def: $vgpr8
; %bb.1154:                             ;   in Loop: Header=BB2_1124 Depth=3
	s_andn2_saveexec_b64 s[92:93], s[28:29]
; %bb.1155:                             ;   in Loop: Header=BB2_1124 Depth=3
	v_or_b32_e32 v9, 0x10000, v8
	v_cmp_eq_u32_sdwa s[28:29], v8, v2 src0_sel:WORD_0 src1_sel:DWORD
	v_cndmask_b32_e64 v37, v9, v8, s[28:29]
; %bb.1156:                             ;   in Loop: Header=BB2_1124 Depth=3
	s_or_b64 exec, exec, s[92:93]
	global_load_dwordx4 v[8:11], v[55:56], off glc slc
	v_and_b32_e32 v17, 0xffff0000, v17
                                        ; implicit-def: $vgpr53
	s_waitcnt vmcnt(0)
	v_lshlrev_b32_e32 v22, 16, v8
	v_add_f32_e32 v17, v17, v22
	v_and_b32_e32 v22, 0x7f800000, v17
	v_cmp_ne_u32_e64 s[28:29], s54, v22
	s_and_saveexec_b64 s[92:93], s[28:29]
	s_xor_b64 s[28:29], exec, s[92:93]
; %bb.1157:                             ;   in Loop: Header=BB2_1124 Depth=3
	v_bfe_u32 v22, v17, 16, 1
	v_add3_u32 v53, v17, v22, s55
                                        ; implicit-def: $vgpr17
; %bb.1158:                             ;   in Loop: Header=BB2_1124 Depth=3
	s_andn2_saveexec_b64 s[92:93], s[28:29]
; %bb.1159:                             ;   in Loop: Header=BB2_1124 Depth=3
	v_or_b32_e32 v22, 0x10000, v17
	v_cmp_eq_u32_sdwa s[28:29], v17, v2 src0_sel:WORD_0 src1_sel:DWORD
	v_cndmask_b32_e64 v53, v22, v17, s[28:29]
; %bb.1160:                             ;   in Loop: Header=BB2_1124 Depth=3
	s_or_b64 exec, exec, s[92:93]
	v_and_b32_e32 v16, 0xffff0000, v16
	v_and_b32_e32 v8, 0xffff0000, v8
	v_add_f32_e32 v16, v16, v8
	v_and_b32_e32 v8, 0x7f800000, v16
	v_cmp_ne_u32_e64 s[28:29], s54, v8
                                        ; implicit-def: $vgpr8
	s_and_saveexec_b64 s[92:93], s[28:29]
	s_xor_b64 s[28:29], exec, s[92:93]
; %bb.1161:                             ;   in Loop: Header=BB2_1124 Depth=3
	v_bfe_u32 v8, v16, 16, 1
	v_add3_u32 v8, v16, v8, s55
                                        ; implicit-def: $vgpr16
; %bb.1162:                             ;   in Loop: Header=BB2_1124 Depth=3
	s_andn2_saveexec_b64 s[92:93], s[28:29]
; %bb.1163:                             ;   in Loop: Header=BB2_1124 Depth=3
	v_or_b32_e32 v8, 0x10000, v16
	v_cmp_eq_u32_sdwa s[28:29], v16, v2 src0_sel:WORD_0 src1_sel:DWORD
	v_cndmask_b32_e64 v8, v8, v16, s[28:29]
; %bb.1164:                             ;   in Loop: Header=BB2_1124 Depth=3
	s_or_b64 exec, exec, s[92:93]
	v_and_b32_e32 v16, 0xffff0000, v28
	v_lshlrev_b32_e32 v17, 16, v9
	v_add_f32_e32 v17, v16, v17
	v_and_b32_e32 v16, 0x7f800000, v17
	v_cmp_ne_u32_e64 s[28:29], s54, v16
                                        ; implicit-def: $vgpr16
	s_and_saveexec_b64 s[92:93], s[28:29]
	s_xor_b64 s[28:29], exec, s[92:93]
; %bb.1165:                             ;   in Loop: Header=BB2_1124 Depth=3
	v_bfe_u32 v16, v17, 16, 1
	v_add3_u32 v16, v17, v16, s55
                                        ; implicit-def: $vgpr17
; %bb.1166:                             ;   in Loop: Header=BB2_1124 Depth=3
	s_andn2_saveexec_b64 s[92:93], s[28:29]
; %bb.1167:                             ;   in Loop: Header=BB2_1124 Depth=3
	v_or_b32_e32 v16, 0x10000, v17
	v_cmp_eq_u32_sdwa s[28:29], v17, v2 src0_sel:WORD_0 src1_sel:DWORD
	v_cndmask_b32_e64 v16, v16, v17, s[28:29]
; %bb.1168:                             ;   in Loop: Header=BB2_1124 Depth=3
	s_or_b64 exec, exec, s[92:93]
	v_and_b32_e32 v0, 0xffff0000, v0
	v_and_b32_e32 v9, 0xffff0000, v9
	v_add_f32_e32 v9, v0, v9
	v_and_b32_e32 v0, 0x7f800000, v9
	v_cmp_ne_u32_e64 s[28:29], s54, v0
                                        ; implicit-def: $vgpr0
	s_and_saveexec_b64 s[92:93], s[28:29]
	s_xor_b64 s[28:29], exec, s[92:93]
; %bb.1169:                             ;   in Loop: Header=BB2_1124 Depth=3
	v_bfe_u32 v0, v9, 16, 1
	v_add3_u32 v0, v9, v0, s55
                                        ; implicit-def: $vgpr9
; %bb.1170:                             ;   in Loop: Header=BB2_1124 Depth=3
	s_andn2_saveexec_b64 s[92:93], s[28:29]
; %bb.1171:                             ;   in Loop: Header=BB2_1124 Depth=3
	v_or_b32_e32 v0, 0x10000, v9
	v_cmp_eq_u32_sdwa s[28:29], v9, v2 src0_sel:WORD_0 src1_sel:DWORD
	v_cndmask_b32_e64 v0, v0, v9, s[28:29]
; %bb.1172:                             ;   in Loop: Header=BB2_1124 Depth=3
	s_or_b64 exec, exec, s[92:93]
	v_and_b32_e32 v9, 0xffff0000, v33
	v_lshlrev_b32_e32 v17, 16, v10
	v_add_f32_e32 v17, v9, v17
	v_and_b32_e32 v9, 0x7f800000, v17
	v_cmp_ne_u32_e64 s[28:29], s54, v9
                                        ; implicit-def: $vgpr9
	s_and_saveexec_b64 s[92:93], s[28:29]
	s_xor_b64 s[28:29], exec, s[92:93]
; %bb.1173:                             ;   in Loop: Header=BB2_1124 Depth=3
	v_bfe_u32 v9, v17, 16, 1
	v_add3_u32 v9, v17, v9, s55
                                        ; implicit-def: $vgpr17
; %bb.1174:                             ;   in Loop: Header=BB2_1124 Depth=3
	s_andn2_saveexec_b64 s[92:93], s[28:29]
; %bb.1175:                             ;   in Loop: Header=BB2_1124 Depth=3
	v_or_b32_e32 v9, 0x10000, v17
	v_cmp_eq_u32_sdwa s[28:29], v17, v2 src0_sel:WORD_0 src1_sel:DWORD
	v_cndmask_b32_e64 v9, v9, v17, s[28:29]
; %bb.1176:                             ;   in Loop: Header=BB2_1124 Depth=3
	s_or_b64 exec, exec, s[92:93]
	v_and_b32_e32 v17, 0xffff0000, v51
	v_and_b32_e32 v10, 0xffff0000, v10
	v_add_f32_e32 v17, v17, v10
	v_and_b32_e32 v10, 0x7f800000, v17
	v_cmp_ne_u32_e64 s[28:29], s54, v10
                                        ; implicit-def: $vgpr10
	s_and_saveexec_b64 s[92:93], s[28:29]
	s_xor_b64 s[28:29], exec, s[92:93]
; %bb.1177:                             ;   in Loop: Header=BB2_1124 Depth=3
	v_bfe_u32 v10, v17, 16, 1
	v_add3_u32 v10, v17, v10, s55
                                        ; implicit-def: $vgpr17
; %bb.1178:                             ;   in Loop: Header=BB2_1124 Depth=3
	s_andn2_saveexec_b64 s[92:93], s[28:29]
; %bb.1179:                             ;   in Loop: Header=BB2_1124 Depth=3
	v_or_b32_e32 v10, 0x10000, v17
	v_cmp_eq_u32_sdwa s[28:29], v17, v2 src0_sel:WORD_0 src1_sel:DWORD
	v_cndmask_b32_e64 v10, v10, v17, s[28:29]
; %bb.1180:                             ;   in Loop: Header=BB2_1124 Depth=3
	s_or_b64 exec, exec, s[92:93]
	v_and_b32_e32 v17, 0xffff0000, v50
	v_lshlrev_b32_e32 v22, 16, v11
	v_add_f32_e32 v28, v17, v22
	v_and_b32_e32 v17, 0x7f800000, v28
	v_cmp_ne_u32_e64 s[28:29], s54, v17
                                        ; implicit-def: $vgpr17
	s_and_saveexec_b64 s[92:93], s[28:29]
	s_xor_b64 s[28:29], exec, s[92:93]
; %bb.1181:                             ;   in Loop: Header=BB2_1124 Depth=3
	v_bfe_u32 v17, v28, 16, 1
	v_add3_u32 v17, v28, v17, s55
                                        ; implicit-def: $vgpr28
; %bb.1182:                             ;   in Loop: Header=BB2_1124 Depth=3
	s_andn2_saveexec_b64 s[92:93], s[28:29]
; %bb.1183:                             ;   in Loop: Header=BB2_1124 Depth=3
	v_or_b32_e32 v17, 0x10000, v28
	v_cmp_eq_u32_sdwa s[28:29], v28, v2 src0_sel:WORD_0 src1_sel:DWORD
	v_cndmask_b32_e64 v17, v17, v28, s[28:29]
; %bb.1184:                             ;   in Loop: Header=BB2_1124 Depth=3
	s_or_b64 exec, exec, s[92:93]
	v_and_b32_e32 v22, 0xffff0000, v37
	v_and_b32_e32 v11, 0xffff0000, v11
	v_add_f32_e32 v28, v22, v11
	v_and_b32_e32 v11, 0x7f800000, v28
	v_cmp_ne_u32_e64 s[28:29], s54, v11
                                        ; implicit-def: $vgpr11
	s_and_saveexec_b64 s[92:93], s[28:29]
	s_xor_b64 s[28:29], exec, s[92:93]
; %bb.1185:                             ;   in Loop: Header=BB2_1124 Depth=3
	v_bfe_u32 v11, v28, 16, 1
	v_add3_u32 v11, v28, v11, s55
                                        ; implicit-def: $vgpr28
; %bb.1186:                             ;   in Loop: Header=BB2_1124 Depth=3
	s_andn2_saveexec_b64 s[92:93], s[28:29]
	s_cbranch_execz .LBB2_1123
; %bb.1187:                             ;   in Loop: Header=BB2_1124 Depth=3
	v_or_b32_e32 v11, 0x10000, v28
	v_cmp_eq_u32_sdwa s[28:29], v28, v2 src0_sel:WORD_0 src1_sel:DWORD
	v_cndmask_b32_e64 v11, v11, v28, s[28:29]
	s_branch .LBB2_1123
.LBB2_1188:                             ;   in Loop: Header=BB2_775 Depth=2
	s_or_b64 exec, exec, s[90:91]
	buffer_load_dword v56, off, s[0:3], s33 offset:112 ; 4-byte Folded Reload
	buffer_load_dword v46, off, s[0:3], s33 offset:88 ; 4-byte Folded Reload
	;; [unrolled: 1-line block ×3, first 2 shown]
.LBB2_1189:                             ;   in Loop: Header=BB2_775 Depth=2
	s_or_b64 exec, exec, s[42:43]
	v_and_b32_e32 v0, 14, v14
	v_sub_u32_e32 v8, v32, v0
	v_cndmask_b32_e32 v8, 0, v8, vcc
	v_cndmask_b32_e32 v48, v32, v0, vcc
	v_cmp_lt_i32_e32 vcc, 0, v49
	v_cndmask_b32_e32 v0, 0, v62, vcc
	v_sub_u32_e32 v0, v0, v49
	v_cmp_ne_u32_e32 vcc, 0, v48
	v_add3_u32 v36, v30, v15, v8
	v_lshl_add_u32 v32, v0, 6, v19
	s_and_b64 s[42:43], vcc, exec
.LBB2_1190:                             ;   in Loop: Header=BB2_775 Depth=2
	s_or_b64 exec, exec, s[40:41]
	s_and_saveexec_b64 s[28:29], s[42:43]
	s_cbranch_execz .LBB2_1239
.LBB2_1191:                             ;   in Loop: Header=BB2_775 Depth=2
	v_ashrrev_i32_e32 v0, 31, v32
	v_ashrrev_i32_e32 v8, 31, v48
	v_lshrrev_b32_e32 v0, 26, v0
	v_lshrrev_b32_e32 v8, 23, v8
	v_add_u32_e32 v0, v32, v0
	v_add_u32_e32 v8, v48, v8
	v_ashrrev_i32_e32 v14, 6, v0
	v_ashrrev_i32_e32 v19, 9, v8
	v_sub_u32_e32 v15, v19, v14
	v_cmp_lt_i32_e32 vcc, 0, v15
	s_and_saveexec_b64 s[40:41], vcc
	s_cbranch_execz .LBB2_1227
; %bb.1192:                             ;   in Loop: Header=BB2_775 Depth=2
	v_and_b32_e32 v0, 0x7fffffc0, v0
	v_sub_u32_e32 v0, v32, v0
	v_lshlrev_b32_e32 v0, 1, v0
	v_lshlrev_b32_e32 v8, 9, v14
	v_add3_u32 v0, v0, v36, v8
	s_trap 2
	ds_read_b64 v[10:11], v0
	ds_read_b32 v23, v0
	buffer_load_dword v16, off, s[0:3], s33 offset:136 ; 4-byte Folded Reload
	buffer_load_dword v17, off, s[0:3], s33 offset:140 ; 4-byte Folded Reload
	v_ashrrev_i32_e32 v22, 31, v0
	v_add_co_u32_e32 v8, vcc, v0, v44
	v_addc_co_u32_e32 v9, vcc, v22, v45, vcc
	s_waitcnt lgkmcnt(0)
	v_add_co_u32_e32 v10, vcc, v10, v0
	v_addc_co_u32_e32 v11, vcc, v11, v22, vcc
	v_lshlrev_b32_e32 v30, 16, v23
	s_mov_b64 s[42:43], 0
	s_waitcnt vmcnt(1)
	v_add_co_u32_e32 v46, vcc, v0, v16
	s_waitcnt vmcnt(0)
	v_addc_co_u32_e32 v47, vcc, v22, v17, vcc
	s_branch .LBB2_1194
.LBB2_1193:                             ;   in Loop: Header=BB2_1194 Depth=3
	s_or_b64 exec, exec, s[90:91]
	v_add_co_u32_e32 v8, vcc, v8, v5
	v_addc_co_u32_e32 v9, vcc, 0, v9, vcc
	v_add_co_u32_e32 v10, vcc, v10, v5
	v_addc_co_u32_e32 v11, vcc, 0, v11, vcc
	v_sub_u32_e32 v15, v15, v62
	v_cmp_gt_i32_e32 vcc, 1, v15
	flat_store_short_d16_hi v[46:47], v0 glc slc
	flat_store_short_d16_hi v[46:47], v16 offset:128 glc slc
	flat_store_short_d16_hi v[46:47], v17 offset:256 glc slc
	;; [unrolled: 1-line block ×3, first 2 shown]
	s_or_b64 s[42:43], vcc, s[42:43]
	v_add_co_u32_e32 v46, vcc, v46, v5
	v_addc_co_u32_e32 v47, vcc, 0, v47, vcc
	s_andn2_b64 exec, exec, s[42:43]
	s_cbranch_execz .LBB2_1226
.LBB2_1194:                             ;   Parent Loop BB2_47 Depth=1
                                        ;     Parent Loop BB2_775 Depth=2
                                        ; =>    This Inner Loop Header: Depth=3
	flat_load_ushort v0, v[8:9] glc slc
	s_waitcnt vmcnt(0) lgkmcnt(0)
	v_lshlrev_b32_e32 v0, 16, v0
	v_mul_f32_e32 v16, v30, v0
	v_and_b32_e32 v0, 0x7f800000, v16
	v_cmp_ne_u32_e32 vcc, s54, v0
                                        ; implicit-def: $vgpr0
	s_and_saveexec_b64 s[90:91], vcc
	s_xor_b64 s[90:91], exec, s[90:91]
; %bb.1195:                             ;   in Loop: Header=BB2_1194 Depth=3
	v_bfe_u32 v0, v16, 16, 1
	v_add3_u32 v0, v16, v0, s55
                                        ; implicit-def: $vgpr16
; %bb.1196:                             ;   in Loop: Header=BB2_1194 Depth=3
	s_andn2_saveexec_b64 s[90:91], s[90:91]
; %bb.1197:                             ;   in Loop: Header=BB2_1194 Depth=3
	v_or_b32_e32 v0, 0x10000, v16
	v_cmp_eq_u32_sdwa vcc, v16, v2 src0_sel:WORD_0 src1_sel:DWORD
	v_cndmask_b32_e32 v0, v0, v16, vcc
; %bb.1198:                             ;   in Loop: Header=BB2_1194 Depth=3
	s_or_b64 exec, exec, s[90:91]
	flat_load_ushort v16, v[8:9] offset:128 glc slc
	s_waitcnt vmcnt(0) lgkmcnt(0)
	v_lshlrev_b32_e32 v16, 16, v16
	v_mul_f32_e32 v17, v30, v16
	v_and_b32_e32 v16, 0x7f800000, v17
	v_cmp_ne_u32_e32 vcc, s54, v16
                                        ; implicit-def: $vgpr16
	s_and_saveexec_b64 s[90:91], vcc
	s_xor_b64 s[90:91], exec, s[90:91]
; %bb.1199:                             ;   in Loop: Header=BB2_1194 Depth=3
	v_bfe_u32 v16, v17, 16, 1
	v_add3_u32 v16, v17, v16, s55
                                        ; implicit-def: $vgpr17
; %bb.1200:                             ;   in Loop: Header=BB2_1194 Depth=3
	s_andn2_saveexec_b64 s[90:91], s[90:91]
; %bb.1201:                             ;   in Loop: Header=BB2_1194 Depth=3
	v_or_b32_e32 v16, 0x10000, v17
	v_cmp_eq_u32_sdwa vcc, v17, v2 src0_sel:WORD_0 src1_sel:DWORD
	v_cndmask_b32_e32 v16, v16, v17, vcc
; %bb.1202:                             ;   in Loop: Header=BB2_1194 Depth=3
	s_or_b64 exec, exec, s[90:91]
	flat_load_ushort v17, v[8:9] offset:256 glc slc
	s_waitcnt vmcnt(0) lgkmcnt(0)
	v_lshlrev_b32_e32 v17, 16, v17
	v_mul_f32_e32 v28, v30, v17
	v_and_b32_e32 v17, 0x7f800000, v28
	v_cmp_ne_u32_e32 vcc, s54, v17
                                        ; implicit-def: $vgpr17
	s_and_saveexec_b64 s[90:91], vcc
	s_xor_b64 s[90:91], exec, s[90:91]
; %bb.1203:                             ;   in Loop: Header=BB2_1194 Depth=3
	v_bfe_u32 v17, v28, 16, 1
	v_add3_u32 v17, v28, v17, s55
                                        ; implicit-def: $vgpr28
; %bb.1204:                             ;   in Loop: Header=BB2_1194 Depth=3
	s_andn2_saveexec_b64 s[90:91], s[90:91]
; %bb.1205:                             ;   in Loop: Header=BB2_1194 Depth=3
	v_or_b32_e32 v17, 0x10000, v28
	v_cmp_eq_u32_sdwa vcc, v28, v2 src0_sel:WORD_0 src1_sel:DWORD
	v_cndmask_b32_e32 v17, v17, v28, vcc
; %bb.1206:                             ;   in Loop: Header=BB2_1194 Depth=3
	s_or_b64 exec, exec, s[90:91]
	flat_load_ushort v22, v[8:9] offset:384 glc slc
                                        ; implicit-def: $vgpr28
	s_waitcnt vmcnt(0) lgkmcnt(0)
	v_lshlrev_b32_e32 v22, 16, v22
	v_mul_f32_e32 v33, v30, v22
	v_and_b32_e32 v22, 0x7f800000, v33
	v_cmp_ne_u32_e32 vcc, s54, v22
	s_and_saveexec_b64 s[90:91], vcc
	s_xor_b64 s[90:91], exec, s[90:91]
; %bb.1207:                             ;   in Loop: Header=BB2_1194 Depth=3
	v_bfe_u32 v22, v33, 16, 1
	v_add3_u32 v28, v33, v22, s55
                                        ; implicit-def: $vgpr33
; %bb.1208:                             ;   in Loop: Header=BB2_1194 Depth=3
	s_andn2_saveexec_b64 s[90:91], s[90:91]
; %bb.1209:                             ;   in Loop: Header=BB2_1194 Depth=3
	v_or_b32_e32 v22, 0x10000, v33
	v_cmp_eq_u32_sdwa vcc, v33, v2 src0_sel:WORD_0 src1_sel:DWORD
	v_cndmask_b32_e32 v28, v22, v33, vcc
; %bb.1210:                             ;   in Loop: Header=BB2_1194 Depth=3
	s_or_b64 exec, exec, s[90:91]
	flat_load_ushort v22, v[10:11] glc slc
	flat_load_ushort v37, v[10:11] offset:256 glc slc
	flat_load_ushort v33, v[10:11] offset:384 glc slc
	;; [unrolled: 1-line block ×3, first 2 shown]
	v_and_b32_e32 v0, 0xffff0000, v0
	s_waitcnt vmcnt(0) lgkmcnt(0)
	v_lshlrev_b32_e32 v22, 16, v22
	v_add_f32_e32 v50, v0, v22
	v_and_b32_e32 v0, 0x7f800000, v50
	v_cmp_ne_u32_e32 vcc, s54, v0
                                        ; implicit-def: $vgpr0
	s_and_saveexec_b64 s[90:91], vcc
	s_xor_b64 s[90:91], exec, s[90:91]
; %bb.1211:                             ;   in Loop: Header=BB2_1194 Depth=3
	v_bfe_u32 v0, v50, 16, 1
	v_add3_u32 v0, v50, v0, s55
                                        ; implicit-def: $vgpr50
; %bb.1212:                             ;   in Loop: Header=BB2_1194 Depth=3
	s_andn2_saveexec_b64 s[90:91], s[90:91]
; %bb.1213:                             ;   in Loop: Header=BB2_1194 Depth=3
	v_or_b32_e32 v0, 0x10000, v50
	v_cmp_eq_u32_sdwa vcc, v50, v2 src0_sel:WORD_0 src1_sel:DWORD
	v_cndmask_b32_e32 v0, v0, v50, vcc
; %bb.1214:                             ;   in Loop: Header=BB2_1194 Depth=3
	s_or_b64 exec, exec, s[90:91]
	v_and_b32_e32 v16, 0xffff0000, v16
	v_lshlrev_b32_e32 v22, 16, v49
	v_add_f32_e32 v49, v16, v22
	v_and_b32_e32 v16, 0x7f800000, v49
	v_cmp_ne_u32_e32 vcc, s54, v16
                                        ; implicit-def: $vgpr16
	s_and_saveexec_b64 s[90:91], vcc
	s_xor_b64 s[90:91], exec, s[90:91]
; %bb.1215:                             ;   in Loop: Header=BB2_1194 Depth=3
	v_bfe_u32 v16, v49, 16, 1
	v_add3_u32 v16, v49, v16, s55
                                        ; implicit-def: $vgpr49
; %bb.1216:                             ;   in Loop: Header=BB2_1194 Depth=3
	s_andn2_saveexec_b64 s[90:91], s[90:91]
; %bb.1217:                             ;   in Loop: Header=BB2_1194 Depth=3
	v_or_b32_e32 v16, 0x10000, v49
	v_cmp_eq_u32_sdwa vcc, v49, v2 src0_sel:WORD_0 src1_sel:DWORD
	v_cndmask_b32_e32 v16, v16, v49, vcc
; %bb.1218:                             ;   in Loop: Header=BB2_1194 Depth=3
	s_or_b64 exec, exec, s[90:91]
	v_and_b32_e32 v17, 0xffff0000, v17
	v_lshlrev_b32_e32 v22, 16, v37
	v_add_f32_e32 v37, v17, v22
	v_and_b32_e32 v17, 0x7f800000, v37
	v_cmp_ne_u32_e32 vcc, s54, v17
                                        ; implicit-def: $vgpr17
	s_and_saveexec_b64 s[90:91], vcc
	s_xor_b64 s[90:91], exec, s[90:91]
; %bb.1219:                             ;   in Loop: Header=BB2_1194 Depth=3
	v_bfe_u32 v17, v37, 16, 1
	v_add3_u32 v17, v37, v17, s55
                                        ; implicit-def: $vgpr37
; %bb.1220:                             ;   in Loop: Header=BB2_1194 Depth=3
	s_andn2_saveexec_b64 s[90:91], s[90:91]
; %bb.1221:                             ;   in Loop: Header=BB2_1194 Depth=3
	v_or_b32_e32 v17, 0x10000, v37
	v_cmp_eq_u32_sdwa vcc, v37, v2 src0_sel:WORD_0 src1_sel:DWORD
	v_cndmask_b32_e32 v17, v17, v37, vcc
; %bb.1222:                             ;   in Loop: Header=BB2_1194 Depth=3
	s_or_b64 exec, exec, s[90:91]
	v_and_b32_e32 v22, 0xffff0000, v28
	v_lshlrev_b32_e32 v23, 16, v33
	v_add_f32_e32 v33, v22, v23
	v_and_b32_e32 v22, 0x7f800000, v33
	v_cmp_ne_u32_e32 vcc, s54, v22
                                        ; implicit-def: $vgpr28
	s_and_saveexec_b64 s[90:91], vcc
	s_xor_b64 s[90:91], exec, s[90:91]
; %bb.1223:                             ;   in Loop: Header=BB2_1194 Depth=3
	v_bfe_u32 v22, v33, 16, 1
	v_add3_u32 v28, v33, v22, s55
                                        ; implicit-def: $vgpr33
; %bb.1224:                             ;   in Loop: Header=BB2_1194 Depth=3
	s_andn2_saveexec_b64 s[90:91], s[90:91]
	s_cbranch_execz .LBB2_1193
; %bb.1225:                             ;   in Loop: Header=BB2_1194 Depth=3
	v_or_b32_e32 v22, 0x10000, v33
	v_cmp_eq_u32_sdwa vcc, v33, v2 src0_sel:WORD_0 src1_sel:DWORD
	v_cndmask_b32_e32 v28, v22, v33, vcc
	s_branch .LBB2_1193
.LBB2_1226:                             ;   in Loop: Header=BB2_775 Depth=2
	s_or_b64 exec, exec, s[42:43]
	buffer_load_dword v46, off, s[0:3], s33 offset:88 ; 4-byte Folded Reload
	buffer_load_dword v47, off, s[0:3], s33 offset:92 ; 4-byte Folded Reload
.LBB2_1227:                             ;   in Loop: Header=BB2_775 Depth=2
	s_or_b64 exec, exec, s[40:41]
	v_lshlrev_b32_e32 v0, 9, v19
	v_cmp_ne_u32_e32 vcc, v48, v0
	s_and_b64 exec, exec, vcc
	s_cbranch_execz .LBB2_1239
; %bb.1228:                             ;   in Loop: Header=BB2_775 Depth=2
	v_lshlrev_b32_e32 v8, 6, v14
	v_sub_u32_e32 v8, v32, v8
	v_lshlrev_b32_e32 v9, 6, v15
	v_sub_u32_e32 v8, v8, v9
	v_ashrrev_i32_e32 v9, 31, v8
	v_lshrrev_b32_e32 v9, 26, v9
	v_add_u32_e32 v9, v8, v9
	v_and_b32_e32 v10, 0x7fffffc0, v9
	v_sub_u32_e32 v8, v8, v10
	v_lshlrev_b32_e32 v9, 1, v9
	v_and_b32_e32 v9, 0xffffff80, v9
	v_lshlrev_b32_e32 v8, 1, v8
	v_add3_u32 v8, v9, v8, v0
	v_sub_u32_e32 v0, v48, v8
	v_cmp_lt_i32_e32 vcc, 1, v0
	s_and_b64 exec, exec, vcc
	s_cbranch_execz .LBB2_1239
; %bb.1229:                             ;   in Loop: Header=BB2_775 Depth=2
	s_trap 2
	ds_read_b64 v[10:11], v0
	buffer_load_dword v14, off, s[0:3], s33 offset:136 ; 4-byte Folded Reload
	buffer_load_dword v15, off, s[0:3], s33 offset:140 ; 4-byte Folded Reload
	v_add_u32_e32 v16, v8, v36
	v_ashrrev_i32_e32 v17, 31, v16
	v_add_co_u32_e32 v8, vcc, v16, v44
	v_addc_co_u32_e32 v9, vcc, v17, v45, vcc
	s_waitcnt lgkmcnt(0)
	v_add_co_u32_e32 v10, vcc, v10, v16
	v_addc_co_u32_e32 v11, vcc, v11, v17, vcc
	s_mov_b64 s[40:41], 0
	s_waitcnt vmcnt(0)
	v_add_co_u32_e32 v42, vcc, v16, v14
	ds_read_b32 v14, v0
	v_addc_co_u32_e32 v43, vcc, v17, v15, vcc
	s_waitcnt lgkmcnt(0)
	v_lshlrev_b32_e32 v14, 16, v14
	s_branch .LBB2_1231
.LBB2_1230:                             ;   in Loop: Header=BB2_1231 Depth=3
	s_or_b64 exec, exec, s[42:43]
	v_add_co_u32_e32 v8, vcc, v8, v34
	v_addc_co_u32_e32 v9, vcc, 0, v9, vcc
	v_add_co_u32_e32 v10, vcc, v10, v34
	v_addc_co_u32_e32 v11, vcc, 0, v11, vcc
	v_sub_u32_e32 v0, v0, v34
	v_cmp_gt_i32_e32 vcc, 2, v0
	flat_store_short_d16_hi v[42:43], v16 glc slc
	s_or_b64 s[40:41], vcc, s[40:41]
	v_add_co_u32_e32 v42, vcc, v42, v34
	v_addc_co_u32_e32 v43, vcc, 0, v43, vcc
	s_andn2_b64 exec, exec, s[40:41]
	s_cbranch_execz .LBB2_1239
.LBB2_1231:                             ;   Parent Loop BB2_47 Depth=1
                                        ;     Parent Loop BB2_775 Depth=2
                                        ; =>    This Inner Loop Header: Depth=3
	flat_load_ushort v15, v[8:9] glc slc
	s_waitcnt vmcnt(0) lgkmcnt(0)
	v_lshlrev_b32_e32 v15, 16, v15
	v_mul_f32_e32 v15, v14, v15
	v_and_b32_e32 v16, 0x7f800000, v15
	v_cmp_ne_u32_e32 vcc, s54, v16
                                        ; implicit-def: $vgpr16
	s_and_saveexec_b64 s[42:43], vcc
	s_xor_b64 s[42:43], exec, s[42:43]
; %bb.1232:                             ;   in Loop: Header=BB2_1231 Depth=3
	v_bfe_u32 v16, v15, 16, 1
	v_add3_u32 v16, v15, v16, s55
                                        ; implicit-def: $vgpr15
; %bb.1233:                             ;   in Loop: Header=BB2_1231 Depth=3
	s_andn2_saveexec_b64 s[42:43], s[42:43]
; %bb.1234:                             ;   in Loop: Header=BB2_1231 Depth=3
	v_or_b32_e32 v16, 0x10000, v15
	v_cmp_eq_u32_sdwa vcc, v15, v2 src0_sel:WORD_0 src1_sel:DWORD
	v_cndmask_b32_e32 v16, v16, v15, vcc
; %bb.1235:                             ;   in Loop: Header=BB2_1231 Depth=3
	s_or_b64 exec, exec, s[42:43]
	flat_load_ushort v15, v[10:11] glc slc
	v_and_b32_e32 v16, 0xffff0000, v16
	s_waitcnt vmcnt(0) lgkmcnt(0)
	v_lshlrev_b32_e32 v15, 16, v15
	v_add_f32_e32 v15, v16, v15
	v_and_b32_e32 v16, 0x7f800000, v15
	v_cmp_ne_u32_e32 vcc, s54, v16
                                        ; implicit-def: $vgpr16
	s_and_saveexec_b64 s[42:43], vcc
	s_xor_b64 s[42:43], exec, s[42:43]
; %bb.1236:                             ;   in Loop: Header=BB2_1231 Depth=3
	v_bfe_u32 v16, v15, 16, 1
	v_add3_u32 v16, v15, v16, s55
                                        ; implicit-def: $vgpr15
; %bb.1237:                             ;   in Loop: Header=BB2_1231 Depth=3
	s_andn2_saveexec_b64 s[42:43], s[42:43]
	s_cbranch_execz .LBB2_1230
; %bb.1238:                             ;   in Loop: Header=BB2_1231 Depth=3
	v_or_b32_e32 v16, 0x10000, v15
	v_cmp_eq_u32_sdwa vcc, v15, v2 src0_sel:WORD_0 src1_sel:DWORD
	v_cndmask_b32_e32 v16, v16, v15, vcc
	s_branch .LBB2_1230
.LBB2_1239:                             ;   in Loop: Header=BB2_775 Depth=2
	s_or_b64 exec, exec, s[28:29]
.LBB2_1240:                             ;   in Loop: Header=BB2_775 Depth=2
	v_cmp_lt_i32_e64 s[28:29], 0, v59
	s_and_saveexec_b64 s[40:41], s[10:11]
	s_cbranch_execz .LBB2_1259
.LBB2_1241:                             ;   in Loop: Header=BB2_775 Depth=2
	s_and_saveexec_b64 s[42:43], s[56:57]
	s_xor_b64 s[42:43], exec, s[42:43]
	s_cbranch_execz .LBB2_1256
; %bb.1242:                             ;   in Loop: Header=BB2_775 Depth=2
	s_and_saveexec_b64 s[90:91], s[16:17]
	s_cbranch_execz .LBB2_1255
; %bb.1243:                             ;   in Loop: Header=BB2_775 Depth=2
	s_mov_b64 s[94:95], exec
	v_mbcnt_lo_u32_b32 v0, s94, 0
	v_mbcnt_hi_u32_b32 v0, s95, v0
	v_cmp_eq_u32_e32 vcc, 0, v0
	s_waitcnt vmcnt(0) lgkmcnt(0)
	buffer_wbinvl1_vol
	s_and_saveexec_b64 s[92:93], vcc
	s_cbranch_execz .LBB2_1245
; %bb.1244:                             ;   in Loop: Header=BB2_775 Depth=2
	s_bcnt1_i32_b64 s94, s[94:95]
	v_mov_b32_e32 v8, s94
	v_mov_b32_e32 v9, v2
	ds_add_u64 v0, v[8:9]
	s_trap 2
.LBB2_1245:                             ;   in Loop: Header=BB2_775 Depth=2
	s_or_b64 exec, exec, s[92:93]
	s_trap 2
	ds_read_b64 v[8:9], v0
	s_waitcnt lgkmcnt(0)
	v_add_co_u32_e32 v12, vcc, v12, v62
	v_addc_co_u32_e32 v13, vcc, 0, v13, vcc
	v_cmp_lt_u64_e32 vcc, v[8:9], v[12:13]
	s_and_saveexec_b64 s[92:93], vcc
	s_cbranch_execz .LBB2_1254
; %bb.1246:                             ;   in Loop: Header=BB2_775 Depth=2
	s_mov_b32 s48, 0
	s_mov_b64 s[94:95], 0
                                        ; implicit-def: $sgpr30_sgpr31
                                        ; implicit-def: $sgpr34_sgpr35
	s_branch .LBB2_1248
.LBB2_1247:                             ;   in Loop: Header=BB2_1248 Depth=3
	s_or_b64 exec, exec, s[38:39]
	s_and_b64 vcc, exec, vcc
	s_or_b64 s[94:95], vcc, s[94:95]
	s_andn2_b64 vcc, s[30:31], exec
	s_and_b64 s[30:31], s[34:35], exec
	s_or_b64 s[30:31], vcc, s[30:31]
	s_andn2_b64 exec, exec, s[94:95]
	s_cbranch_execz .LBB2_1252
.LBB2_1248:                             ;   Parent Loop BB2_47 Depth=1
                                        ;     Parent Loop BB2_775 Depth=2
                                        ; =>    This Inner Loop Header: Depth=3
	s_add_i32 s48, s48, 1
	s_cmpk_lg_i32 s48, 0x2710
	s_cselect_b64 s[36:37], -1, 0
	s_and_b64 vcc, exec, s[36:37]
	s_cbranch_vccz .LBB2_1250
; %bb.1249:                             ;   in Loop: Header=BB2_1248 Depth=3
	s_mov_b64 vcc, -1
	s_or_b64 s[34:35], s[34:35], exec
	s_and_saveexec_b64 s[38:39], s[36:37]
	s_cbranch_execz .LBB2_1247
	s_branch .LBB2_1251
.LBB2_1250:                             ;   in Loop: Header=BB2_1248 Depth=3
	s_trap 2
	ds_read_b64 v[8:9], v0
	s_andn2_b64 s[36:37], s[36:37], exec
	s_mov_b32 s48, 0
	s_waitcnt lgkmcnt(0)
	flat_load_dword v0, v[8:9] glc
	s_waitcnt vmcnt(0) lgkmcnt(0)
	buffer_wbinvl1_vol
	v_cmp_eq_u32_e32 vcc, 0, v0
	s_and_b64 vcc, vcc, exec
	s_or_b64 s[36:37], s[36:37], vcc
	s_mov_b64 vcc, -1
	s_or_b64 s[34:35], s[34:35], exec
	s_and_saveexec_b64 s[38:39], s[36:37]
	s_cbranch_execz .LBB2_1247
.LBB2_1251:                             ;   in Loop: Header=BB2_1248 Depth=3
	s_sleep 1
	s_trap 2
	ds_read_b64 v[8:9], v0
	s_waitcnt lgkmcnt(0)
	s_andn2_b64 s[34:35], s[34:35], exec
	v_cmp_ge_u64_e32 vcc, v[8:9], v[12:13]
	s_orn2_b64 vcc, vcc, exec
	s_branch .LBB2_1247
.LBB2_1252:                             ;   in Loop: Header=BB2_775 Depth=2
	s_or_b64 exec, exec, s[94:95]
	s_and_saveexec_b64 s[94:95], s[30:31]
	s_xor_b64 s[94:95], exec, s[94:95]
	s_cbranch_execz .LBB2_1254
; %bb.1253:                             ;   in Loop: Header=BB2_775 Depth=2
	ds_write_b32 v0, v18
	s_trap 2
.LBB2_1254:                             ;   in Loop: Header=BB2_775 Depth=2
	s_or_b64 exec, exec, s[92:93]
	;;#ASMSTART
	s_wakeup
	;;#ASMEND
.LBB2_1255:                             ;   in Loop: Header=BB2_775 Depth=2
	s_or_b64 exec, exec, s[90:91]
.LBB2_1256:                             ;   in Loop: Header=BB2_775 Depth=2
	s_andn2_saveexec_b64 s[42:43], s[42:43]
	s_cbranch_execz .LBB2_1258
; %bb.1257:                             ;   in Loop: Header=BB2_775 Depth=2
	s_waitcnt vmcnt(0) lgkmcnt(0)
	buffer_wbinvl1_vol
	s_barrier
.LBB2_1258:                             ;   in Loop: Header=BB2_775 Depth=2
	s_or_b64 exec, exec, s[42:43]
.LBB2_1259:                             ;   in Loop: Header=BB2_775 Depth=2
	s_or_b64 exec, exec, s[40:41]
	v_and_b32_e32 v0, 16, v60
	s_and_saveexec_b64 s[40:41], s[24:25]
	s_xor_b64 s[40:41], exec, s[40:41]
	s_cbranch_execz .LBB2_1263
; %bb.1260:                             ;   in Loop: Header=BB2_775 Depth=2
	v_and_b32_e32 v8, 16, v60
	v_cmp_ne_u32_e32 vcc, 0, v8
	v_and_b32_e32 v0, 16, v60
	s_and_b64 s[42:43], vcc, s[28:29]
	s_and_saveexec_b64 s[28:29], s[42:43]
	s_cbranch_execz .LBB2_1262
; %bb.1261:                             ;   in Loop: Header=BB2_775 Depth=2
	v_mov_b32_e32 v0, 1
	s_waitcnt vmcnt(0) lgkmcnt(0)
	buffer_wbinvl1_vol
.LBB2_1262:                             ;   in Loop: Header=BB2_775 Depth=2
	s_or_b64 exec, exec, s[28:29]
.LBB2_1263:                             ;   in Loop: Header=BB2_775 Depth=2
	s_andn2_saveexec_b64 s[28:29], s[40:41]
	s_cbranch_execz .LBB2_1282
; %bb.1264:                             ;   in Loop: Header=BB2_775 Depth=2
	s_and_saveexec_b64 s[40:41], s[56:57]
	s_xor_b64 s[40:41], exec, s[40:41]
	s_cbranch_execz .LBB2_1279
; %bb.1265:                             ;   in Loop: Header=BB2_775 Depth=2
	s_and_saveexec_b64 s[42:43], s[16:17]
	s_cbranch_execz .LBB2_1278
; %bb.1266:                             ;   in Loop: Header=BB2_775 Depth=2
	s_mov_b64 s[92:93], exec
	v_mbcnt_lo_u32_b32 v8, s92, 0
	v_mbcnt_hi_u32_b32 v8, s93, v8
	v_cmp_eq_u32_e32 vcc, 0, v8
	;;#ASMSTART
	s_waitcnt lgkmcnt(0) vmcnt(0)
	;;#ASMEND
	s_and_saveexec_b64 s[90:91], vcc
	s_cbranch_execz .LBB2_1268
; %bb.1267:                             ;   in Loop: Header=BB2_775 Depth=2
	s_bcnt1_i32_b64 s92, s[92:93]
	v_mov_b32_e32 v8, s92
	v_mov_b32_e32 v9, v2
	s_waitcnt lgkmcnt(0)
	ds_add_u64 v0, v[8:9]
	s_trap 2
.LBB2_1268:                             ;   in Loop: Header=BB2_775 Depth=2
	s_or_b64 exec, exec, s[90:91]
	s_trap 2
	ds_read_b64 v[8:9], v0
	s_waitcnt lgkmcnt(0)
	v_add_co_u32_e32 v12, vcc, v12, v62
	v_addc_co_u32_e32 v13, vcc, 0, v13, vcc
	v_cmp_lt_u64_e32 vcc, v[8:9], v[12:13]
	s_and_saveexec_b64 s[90:91], vcc
	s_cbranch_execz .LBB2_1277
; %bb.1269:                             ;   in Loop: Header=BB2_775 Depth=2
	s_mov_b32 s38, 0
	s_mov_b64 s[92:93], 0
                                        ; implicit-def: $sgpr94_sgpr95
                                        ; implicit-def: $sgpr30_sgpr31
	s_branch .LBB2_1271
.LBB2_1270:                             ;   in Loop: Header=BB2_1271 Depth=3
	s_or_b64 exec, exec, s[36:37]
	s_and_b64 vcc, exec, vcc
	s_or_b64 s[92:93], vcc, s[92:93]
	s_andn2_b64 s[94:95], s[94:95], exec
	s_and_b64 vcc, s[30:31], exec
	s_or_b64 s[94:95], s[94:95], vcc
	s_andn2_b64 exec, exec, s[92:93]
	s_cbranch_execz .LBB2_1275
.LBB2_1271:                             ;   Parent Loop BB2_47 Depth=1
                                        ;     Parent Loop BB2_775 Depth=2
                                        ; =>    This Inner Loop Header: Depth=3
	s_add_i32 s38, s38, 1
	s_cmpk_lg_i32 s38, 0x2710
	s_cselect_b64 s[34:35], -1, 0
	s_and_b64 vcc, exec, s[34:35]
	s_cbranch_vccz .LBB2_1273
; %bb.1272:                             ;   in Loop: Header=BB2_1271 Depth=3
	s_mov_b64 vcc, -1
	s_or_b64 s[30:31], s[30:31], exec
	s_and_saveexec_b64 s[36:37], s[34:35]
	s_cbranch_execz .LBB2_1270
	s_branch .LBB2_1274
.LBB2_1273:                             ;   in Loop: Header=BB2_1271 Depth=3
	s_trap 2
	ds_read_b64 v[8:9], v0
	s_andn2_b64 s[34:35], s[34:35], exec
	s_mov_b32 s38, 0
	s_waitcnt vmcnt(0) lgkmcnt(0)
	flat_load_dword v8, v[8:9] glc
	s_waitcnt vmcnt(0) lgkmcnt(0)
	buffer_wbinvl1_vol
	v_cmp_eq_u32_e32 vcc, 0, v8
	s_and_b64 vcc, vcc, exec
	s_or_b64 s[34:35], s[34:35], vcc
	s_mov_b64 vcc, -1
	s_or_b64 s[30:31], s[30:31], exec
	s_and_saveexec_b64 s[36:37], s[34:35]
	s_cbranch_execz .LBB2_1270
.LBB2_1274:                             ;   in Loop: Header=BB2_1271 Depth=3
	s_sleep 1
	s_trap 2
	ds_read_b64 v[8:9], v0
	s_waitcnt lgkmcnt(0)
	s_andn2_b64 s[30:31], s[30:31], exec
	v_cmp_ge_u64_e32 vcc, v[8:9], v[12:13]
	s_orn2_b64 vcc, vcc, exec
	s_branch .LBB2_1270
.LBB2_1275:                             ;   in Loop: Header=BB2_775 Depth=2
	s_or_b64 exec, exec, s[92:93]
	s_and_saveexec_b64 s[92:93], s[94:95]
	s_xor_b64 s[92:93], exec, s[92:93]
	s_cbranch_execz .LBB2_1277
; %bb.1276:                             ;   in Loop: Header=BB2_775 Depth=2
	ds_write_b32 v0, v18
	s_trap 2
.LBB2_1277:                             ;   in Loop: Header=BB2_775 Depth=2
	s_or_b64 exec, exec, s[90:91]
	;;#ASMSTART
	s_wakeup
	;;#ASMEND
.LBB2_1278:                             ;   in Loop: Header=BB2_775 Depth=2
	s_or_b64 exec, exec, s[42:43]
.LBB2_1279:                             ;   in Loop: Header=BB2_775 Depth=2
	s_andn2_saveexec_b64 s[40:41], s[40:41]
	s_cbranch_execz .LBB2_1281
; %bb.1280:                             ;   in Loop: Header=BB2_775 Depth=2
	;;#ASMSTART
	s_waitcnt lgkmcnt(0) vmcnt(0)
	;;#ASMEND
	s_waitcnt vmcnt(0) lgkmcnt(0)
	s_barrier
.LBB2_1281:                             ;   in Loop: Header=BB2_775 Depth=2
	s_or_b64 exec, exec, s[40:41]
.LBB2_1282:                             ;   in Loop: Header=BB2_775 Depth=2
	s_or_b64 exec, exec, s[28:29]
	v_cmp_ne_u32_e32 vcc, 0, v0
	s_xor_b64 s[28:29], s[12:13], -1
	s_and_b64 s[40:41], vcc, s[28:29]
	s_and_saveexec_b64 s[28:29], s[40:41]
	s_cbranch_execz .LBB2_1284
; %bb.1283:                             ;   in Loop: Header=BB2_775 Depth=2
	s_waitcnt vmcnt(0)
	flat_store_dword v[46:47], v18
.LBB2_1284:                             ;   in Loop: Header=BB2_775 Depth=2
	s_or_b64 exec, exec, s[28:29]
	v_and_b32_e32 v0, 48, v60
	v_cmp_ne_u32_e32 vcc, 0, v0
	s_and_saveexec_b64 s[28:29], vcc
	s_cbranch_execz .LBB2_774
; %bb.1285:                             ;   in Loop: Header=BB2_775 Depth=2
	v_add_co_u32_e32 v38, vcc, 2, v38
	v_addc_co_u32_e32 v39, vcc, 0, v39, vcc
	flat_store_dwordx2 v[20:21], v[38:39]
	s_branch .LBB2_774
.LBB2_1286:                             ;   in Loop: Header=BB2_47 Depth=1
	s_or_b64 exec, exec, s[76:77]
	v_cmp_gt_i32_e32 vcc, 2, v0
	s_and_saveexec_b64 s[40:41], vcc
	s_cbranch_execz .LBB2_1362
.LBB2_1287:                             ;   in Loop: Header=BB2_47 Depth=1
	v_cmp_eq_u32_e64 s[76:77], 0, v0
	s_mov_b64 s[42:43], 0
	s_branch .LBB2_1289
.LBB2_1288:                             ;   in Loop: Header=BB2_1289 Depth=2
	s_or_b64 exec, exec, s[28:29]
	v_add_u32_e32 v54, v52, v54
	s_mov_b64 s[76:77], 0
	s_andn2_b64 exec, exec, s[42:43]
	s_cbranch_execz .LBB2_1363
.LBB2_1289:                             ;   Parent Loop BB2_47 Depth=1
                                        ; =>  This Loop Header: Depth=2
                                        ;       Child Loop BB2_1295 Depth 3
                                        ;       Child Loop BB2_1323 Depth 3
	;; [unrolled: 1-line block ×3, first 2 shown]
	v_sub_u32_e32 v0, v3, v54
	v_min_i32_e32 v52, v52, v0
	v_and_b32_e32 v0, 12, v60
	v_cmp_ne_u32_e32 vcc, 0, v0
	s_and_saveexec_b64 s[78:79], vcc
	s_cbranch_execz .LBB2_1315
; %bb.1290:                             ;   in Loop: Header=BB2_1289 Depth=2
	v_and_b32_e32 v0, 8, v60
	s_waitcnt vmcnt(0) lgkmcnt(0)
	v_add_co_u32_e32 v10, vcc, v26, v0
	v_addc_co_u32_e32 v11, vcc, 0, v27, vcc
	v_add_co_u32_e32 v8, vcc, 2, v38
	v_addc_co_u32_e32 v9, vcc, 0, v39, vcc
	v_cmp_lt_u64_e32 vcc, v[10:11], v[8:9]
	s_and_saveexec_b64 s[88:89], vcc
	s_cbranch_execz .LBB2_1302
; %bb.1291:                             ;   in Loop: Header=BB2_1289 Depth=2
	v_and_b32_e32 v10, 64, v60
	s_mov_b32 s75, 0
	v_cmp_eq_u32_e32 vcc, 0, v10
	s_mov_b64 s[90:91], 0
                                        ; implicit-def: $sgpr92_sgpr93
                                        ; implicit-def: $sgpr94_sgpr95
                                        ; implicit-def: $sgpr30_sgpr31
	s_branch .LBB2_1295
.LBB2_1292:                             ;   in Loop: Header=BB2_1295 Depth=3
	s_waitcnt vmcnt(0) lgkmcnt(0)
	v_add_co_u32_e64 v14, s[28:29], v26, v0
	v_addc_co_u32_e64 v15, s[28:29], 0, v27, s[28:29]
	v_cmp_ge_u64_e64 s[28:29], v[14:15], v[8:9]
	s_or_b64 s[38:39], s[38:39], exec
	s_orn2_b64 s[36:37], s[28:29], exec
.LBB2_1293:                             ;   in Loop: Header=BB2_1295 Depth=3
	s_or_b64 exec, exec, s[50:51]
	s_andn2_b64 s[28:29], s[30:31], exec
	s_and_b64 s[30:31], s[38:39], exec
	s_or_b64 s[30:31], s[28:29], s[30:31]
	s_andn2_b64 s[28:29], s[94:95], exec
	s_and_b64 s[94:95], s[36:37], exec
	s_or_b64 s[94:95], s[28:29], s[94:95]
.LBB2_1294:                             ;   in Loop: Header=BB2_1295 Depth=3
	s_or_b64 exec, exec, s[34:35]
	s_and_b64 s[28:29], exec, s[94:95]
	s_or_b64 s[90:91], s[28:29], s[90:91]
	s_andn2_b64 s[28:29], s[92:93], exec
	s_and_b64 s[92:93], s[30:31], exec
	s_or_b64 s[92:93], s[28:29], s[92:93]
	s_andn2_b64 exec, exec, s[90:91]
	s_cbranch_execz .LBB2_1299
.LBB2_1295:                             ;   Parent Loop BB2_47 Depth=1
                                        ;     Parent Loop BB2_1289 Depth=2
                                        ; =>    This Inner Loop Header: Depth=3
	s_sleep 1
	s_waitcnt vmcnt(0) lgkmcnt(0)
	flat_load_dwordx2 v[26:27], v[20:21] glc
	s_or_b64 s[30:31], s[30:31], exec
	s_or_b64 s[94:95], s[94:95], exec
                                        ; implicit-def: $vgpr10
	s_and_saveexec_b64 s[34:35], vcc
	s_cbranch_execz .LBB2_1294
; %bb.1296:                             ;   in Loop: Header=BB2_1295 Depth=3
	s_cmpk_lt_i32 s75, 0x270f
	s_cselect_b64 s[48:49], -1, 0
	s_cmpk_gt_i32 s75, 0x270e
	s_mov_b64 s[36:37], -1
	s_cbranch_scc0 .LBB2_1298
; %bb.1297:                             ;   in Loop: Header=BB2_1295 Depth=3
	s_trap 2
	ds_read_b64 v[10:11], v0
	s_andn2_b64 s[48:49], s[48:49], exec
	s_mov_b32 s75, 0
	s_mov_b64 s[38:39], 0
	s_waitcnt vmcnt(0) lgkmcnt(0)
	flat_load_dword v10, v[10:11] glc
	s_waitcnt vmcnt(0) lgkmcnt(0)
	buffer_wbinvl1_vol
	v_cmp_eq_u32_e64 s[28:29], 0, v10
	s_and_b64 s[28:29], s[28:29], exec
	s_or_b64 s[48:49], s[48:49], s[28:29]
	s_and_saveexec_b64 s[50:51], s[48:49]
	s_cbranch_execz .LBB2_1293
	s_branch .LBB2_1292
.LBB2_1298:                             ;   in Loop: Header=BB2_1295 Depth=3
	s_add_i32 s75, s75, 1
	s_mov_b64 s[38:39], -1
                                        ; implicit-def: $vgpr10
	s_and_saveexec_b64 s[50:51], s[48:49]
	s_cbranch_execz .LBB2_1293
	s_branch .LBB2_1292
.LBB2_1299:                             ;   in Loop: Header=BB2_1289 Depth=2
	s_or_b64 exec, exec, s[90:91]
	s_xor_b64 s[28:29], s[92:93], -1
	s_and_saveexec_b64 s[90:91], s[28:29]
	s_xor_b64 s[28:29], exec, s[90:91]
	s_cbranch_execz .LBB2_1301
; %bb.1300:                             ;   in Loop: Header=BB2_1289 Depth=2
	v_or_b32_e32 v60, 64, v60
	s_waitcnt lgkmcnt(0)
	ds_write_b32 v0, v10
	s_trap 2
.LBB2_1301:                             ;   in Loop: Header=BB2_1289 Depth=2
	s_or_b64 exec, exec, s[28:29]
.LBB2_1302:                             ;   in Loop: Header=BB2_1289 Depth=2
	s_or_b64 exec, exec, s[88:89]
	v_and_b32_e32 v10, 0x108, v60
	v_cmp_ne_u32_e32 vcc, s65, v10
	;;#ASMSTART
	s_wakeup
	;;#ASMEND
                                        ; implicit-def: $vgpr10_vgpr11
	s_and_saveexec_b64 s[28:29], vcc
	s_xor_b64 s[28:29], exec, s[28:29]
; %bb.1303:                             ;   in Loop: Header=BB2_1289 Depth=2
	v_and_b32_e32 v10, 7, v38
	v_mov_b32_e32 v11, v2
                                        ; implicit-def: $vgpr38_vgpr39
; %bb.1304:                             ;   in Loop: Header=BB2_1289 Depth=2
	s_andn2_saveexec_b64 s[28:29], s[28:29]
	s_cbranch_execz .LBB2_1306
; %bb.1305:                             ;   in Loop: Header=BB2_1289 Depth=2
	buffer_load_dword v14, off, s[0:3], s33 offset:60 ; 4-byte Folded Reload
	buffer_load_dword v15, off, s[0:3], s33 offset:64 ; 4-byte Folded Reload
	;; [unrolled: 1-line block ×4, first 2 shown]
	v_and_b32_e32 v10, 7, v38
	v_ashrrev_i32_e32 v53, 31, v52
	s_waitcnt vmcnt(0)
	v_lshlrev_b64 v[16:17], 1, v[52:53]
	v_mov_b32_e32 v11, v2
	v_mad_u64_u32 v[14:15], s[88:89], v10, 24, v[14:15]
	flat_store_dwordx2 v[14:15], v[16:17] offset:8
.LBB2_1306:                             ;   in Loop: Header=BB2_1289 Depth=2
	s_or_b64 exec, exec, s[28:29]
	v_and_b32_e32 v14, 0x100, v60
	v_cmp_ne_u32_e32 vcc, 0, v14
	s_mov_b64 s[28:29], -1
                                        ; implicit-def: $vgpr38_vgpr39
	s_and_saveexec_b64 s[88:89], vcc
	s_cbranch_execz .LBB2_1310
; %bb.1307:                             ;   in Loop: Header=BB2_1289 Depth=2
	buffer_load_dword v14, off, s[0:3], s33 offset:60 ; 4-byte Folded Reload
	buffer_load_dword v15, off, s[0:3], s33 offset:64 ; 4-byte Folded Reload
	;; [unrolled: 1-line block ×4, first 2 shown]
                                        ; implicit-def: $vgpr38_vgpr39
	s_waitcnt vmcnt(0)
	v_mad_u64_u32 v[40:41], s[28:29], v10, 24, v[14:15]
	v_mov_b32_e32 v14, v41
	v_mad_u64_u32 v[14:15], s[28:29], v11, 24, v[14:15]
	v_mov_b32_e32 v41, v14
	flat_load_dword v14, v[40:41]
	s_waitcnt vmcnt(0) lgkmcnt(0)
	v_cmp_ne_u32_e32 vcc, 1, v14
	v_cmp_eq_u32_e64 s[28:29], 1, v14
	s_and_saveexec_b64 s[90:91], s[28:29]
	s_cbranch_execz .LBB2_1309
; %bb.1308:                             ;   in Loop: Header=BB2_1289 Depth=2
	flat_load_dword v14, v[40:41] offset:4 glc
	s_waitcnt vmcnt(0) lgkmcnt(0)
	v_ashrrev_i32_e32 v15, 31, v14
	v_lshrrev_b64 v[38:39], 1, v[14:15]
.LBB2_1309:                             ;   in Loop: Header=BB2_1289 Depth=2
	s_or_b64 exec, exec, s[90:91]
	s_orn2_b64 s[28:29], vcc, exec
.LBB2_1310:                             ;   in Loop: Header=BB2_1289 Depth=2
	s_or_b64 exec, exec, s[88:89]
	s_and_saveexec_b64 s[88:89], s[28:29]
	s_cbranch_execz .LBB2_1312
; %bb.1311:                             ;   in Loop: Header=BB2_1289 Depth=2
	v_ashrrev_i32_e32 v14, 31, v61
	v_mul_lo_u32 v11, v11, v61
	v_mul_lo_u32 v14, v10, v14
	v_mad_u64_u32 v[38:39], s[28:29], v10, v61, 0
	v_add3_u32 v39, v39, v14, v11
.LBB2_1312:                             ;   in Loop: Header=BB2_1289 Depth=2
	s_or_b64 exec, exec, s[88:89]
	v_cmp_eq_u32_e32 vcc, 0, v0
	v_mov_b32_e32 v0, 0x90
	v_mov_b32_e32 v10, 0xd0
	v_cndmask_b32_e32 v0, v10, v0, vcc
	v_lshlrev_b64 v[10:11], 1, v[38:39]
	v_add_u32_e32 v0, v0, v0
	v_add_co_u32_e32 v10, vcc, v6, v10
	v_addc_co_u32_e32 v11, vcc, v7, v11, vcc
	ds_write_b64 v0, v[10:11] offset:584
	v_and_b32_e32 v0, 0x2000, v60
	v_cmp_ne_u32_e32 vcc, 0, v0
	s_and_saveexec_b64 s[28:29], vcc
	s_cbranch_execz .LBB2_1314
; %bb.1313:                             ;   in Loop: Header=BB2_1289 Depth=2
	ds_read_b64 v[10:11], v0 offset:872
	s_waitcnt lgkmcnt(0)
	v_add_co_u32_e32 v10, vcc, 1, v10
	v_addc_co_u32_e32 v11, vcc, 0, v11, vcc
	ds_write_b64 v0, v[10:11] offset:872
.LBB2_1314:                             ;   in Loop: Header=BB2_1289 Depth=2
	s_or_b64 exec, exec, s[28:29]
	v_mov_b32_e32 v39, v9
	v_mov_b32_e32 v38, v8
.LBB2_1315:                             ;   in Loop: Header=BB2_1289 Depth=2
	s_or_b64 exec, exec, s[78:79]
	s_xor_b64 s[28:29], s[76:77], -1
	s_and_b64 s[28:29], exec, s[28:29]
	s_or_b64 s[42:43], s[28:29], s[42:43]
	s_and_saveexec_b64 s[28:29], s[10:11]
	s_cbranch_execz .LBB2_1334
; %bb.1316:                             ;   in Loop: Header=BB2_1289 Depth=2
	s_and_saveexec_b64 s[76:77], s[56:57]
	s_xor_b64 s[76:77], exec, s[76:77]
	s_cbranch_execz .LBB2_1331
; %bb.1317:                             ;   in Loop: Header=BB2_1289 Depth=2
	s_and_saveexec_b64 s[78:79], s[16:17]
	s_cbranch_execz .LBB2_1330
; %bb.1318:                             ;   in Loop: Header=BB2_1289 Depth=2
	s_mov_b64 s[90:91], exec
	v_mbcnt_lo_u32_b32 v0, s90, 0
	v_mbcnt_hi_u32_b32 v0, s91, v0
	v_cmp_eq_u32_e32 vcc, 0, v0
	s_waitcnt vmcnt(0) lgkmcnt(0)
	buffer_wbinvl1_vol
	s_and_saveexec_b64 s[88:89], vcc
	s_cbranch_execz .LBB2_1320
; %bb.1319:                             ;   in Loop: Header=BB2_1289 Depth=2
	s_bcnt1_i32_b64 s75, s[90:91]
	v_mov_b32_e32 v8, s75
	v_mov_b32_e32 v9, v2
	ds_add_u64 v0, v[8:9]
	s_trap 2
.LBB2_1320:                             ;   in Loop: Header=BB2_1289 Depth=2
	s_or_b64 exec, exec, s[88:89]
	s_trap 2
	ds_read_b64 v[8:9], v0
	s_waitcnt lgkmcnt(0)
	v_add_co_u32_e32 v12, vcc, v12, v62
	v_addc_co_u32_e32 v13, vcc, 0, v13, vcc
	v_cmp_lt_u64_e32 vcc, v[8:9], v[12:13]
	s_and_saveexec_b64 s[88:89], vcc
	s_cbranch_execz .LBB2_1329
; %bb.1321:                             ;   in Loop: Header=BB2_1289 Depth=2
	s_mov_b32 s75, 0
	s_mov_b64 s[90:91], 0
                                        ; implicit-def: $sgpr92_sgpr93
                                        ; implicit-def: $sgpr94_sgpr95
	s_branch .LBB2_1323
.LBB2_1322:                             ;   in Loop: Header=BB2_1323 Depth=3
	s_or_b64 exec, exec, s[34:35]
	s_and_b64 vcc, exec, vcc
	s_or_b64 s[90:91], vcc, s[90:91]
	s_andn2_b64 s[92:93], s[92:93], exec
	s_and_b64 vcc, s[94:95], exec
	s_or_b64 s[92:93], s[92:93], vcc
	s_andn2_b64 exec, exec, s[90:91]
	s_cbranch_execz .LBB2_1327
.LBB2_1323:                             ;   Parent Loop BB2_47 Depth=1
                                        ;     Parent Loop BB2_1289 Depth=2
                                        ; =>    This Inner Loop Header: Depth=3
	s_add_i32 s75, s75, 1
	s_cmpk_lg_i32 s75, 0x2710
	s_cselect_b64 s[30:31], -1, 0
	s_and_b64 vcc, exec, s[30:31]
	s_cbranch_vccz .LBB2_1325
; %bb.1324:                             ;   in Loop: Header=BB2_1323 Depth=3
	s_mov_b64 vcc, -1
	s_or_b64 s[94:95], s[94:95], exec
	s_and_saveexec_b64 s[34:35], s[30:31]
	s_cbranch_execz .LBB2_1322
	s_branch .LBB2_1326
.LBB2_1325:                             ;   in Loop: Header=BB2_1323 Depth=3
	s_trap 2
	ds_read_b64 v[8:9], v0
	s_andn2_b64 s[30:31], s[30:31], exec
	s_mov_b32 s75, 0
	s_waitcnt lgkmcnt(0)
	flat_load_dword v0, v[8:9] glc
	s_waitcnt vmcnt(0) lgkmcnt(0)
	buffer_wbinvl1_vol
	v_cmp_eq_u32_e32 vcc, 0, v0
	s_and_b64 vcc, vcc, exec
	s_or_b64 s[30:31], s[30:31], vcc
	s_mov_b64 vcc, -1
	s_or_b64 s[94:95], s[94:95], exec
	s_and_saveexec_b64 s[34:35], s[30:31]
	s_cbranch_execz .LBB2_1322
.LBB2_1326:                             ;   in Loop: Header=BB2_1323 Depth=3
	s_sleep 1
	s_trap 2
	ds_read_b64 v[8:9], v0
	s_waitcnt lgkmcnt(0)
	s_andn2_b64 s[94:95], s[94:95], exec
	v_cmp_ge_u64_e32 vcc, v[8:9], v[12:13]
	s_orn2_b64 vcc, vcc, exec
	s_branch .LBB2_1322
.LBB2_1327:                             ;   in Loop: Header=BB2_1289 Depth=2
	s_or_b64 exec, exec, s[90:91]
	s_and_saveexec_b64 s[90:91], s[92:93]
	s_xor_b64 s[90:91], exec, s[90:91]
	s_cbranch_execz .LBB2_1329
; %bb.1328:                             ;   in Loop: Header=BB2_1289 Depth=2
	ds_write_b32 v0, v18
	s_trap 2
.LBB2_1329:                             ;   in Loop: Header=BB2_1289 Depth=2
	s_or_b64 exec, exec, s[88:89]
	;;#ASMSTART
	s_wakeup
	;;#ASMEND
.LBB2_1330:                             ;   in Loop: Header=BB2_1289 Depth=2
	s_or_b64 exec, exec, s[78:79]
.LBB2_1331:                             ;   in Loop: Header=BB2_1289 Depth=2
	s_andn2_saveexec_b64 s[76:77], s[76:77]
	s_cbranch_execz .LBB2_1333
; %bb.1332:                             ;   in Loop: Header=BB2_1289 Depth=2
	s_waitcnt vmcnt(0) lgkmcnt(0)
	buffer_wbinvl1_vol
	s_barrier
.LBB2_1333:                             ;   in Loop: Header=BB2_1289 Depth=2
	s_or_b64 exec, exec, s[76:77]
.LBB2_1334:                             ;   in Loop: Header=BB2_1289 Depth=2
	s_or_b64 exec, exec, s[28:29]
	v_and_b32_e32 v0, 16, v60
	s_and_saveexec_b64 s[28:29], s[24:25]
	s_xor_b64 s[28:29], exec, s[28:29]
	s_cbranch_execz .LBB2_1338
; %bb.1335:                             ;   in Loop: Header=BB2_1289 Depth=2
	s_trap 2
	ds_read_b32 v0, v0
	v_cmp_lt_i32_e32 vcc, 0, v52
	v_and_b32_e32 v8, 16, v60
	s_waitcnt lgkmcnt(0)
	v_readfirstlane_b32 s75, v0
	s_cmp_eq_u32 s75, 0
	s_cselect_b64 s[76:77], -1, 0
	s_and_b64 s[76:77], vcc, s[76:77]
	v_cmp_ne_u32_e32 vcc, 0, v8
	v_and_b32_e32 v0, 16, v60
	s_and_b64 s[78:79], vcc, s[76:77]
	s_and_saveexec_b64 s[76:77], s[78:79]
	s_cbranch_execz .LBB2_1337
; %bb.1336:                             ;   in Loop: Header=BB2_1289 Depth=2
	v_mov_b32_e32 v0, 1
	s_waitcnt vmcnt(0)
	buffer_wbinvl1_vol
.LBB2_1337:                             ;   in Loop: Header=BB2_1289 Depth=2
	s_or_b64 exec, exec, s[76:77]
.LBB2_1338:                             ;   in Loop: Header=BB2_1289 Depth=2
	s_andn2_saveexec_b64 s[28:29], s[28:29]
	s_cbranch_execz .LBB2_1357
; %bb.1339:                             ;   in Loop: Header=BB2_1289 Depth=2
	s_and_saveexec_b64 s[76:77], s[56:57]
	s_xor_b64 s[76:77], exec, s[76:77]
	s_cbranch_execz .LBB2_1354
; %bb.1340:                             ;   in Loop: Header=BB2_1289 Depth=2
	s_and_saveexec_b64 s[78:79], s[16:17]
	s_cbranch_execz .LBB2_1353
; %bb.1341:                             ;   in Loop: Header=BB2_1289 Depth=2
	s_mov_b64 s[90:91], exec
	v_mbcnt_lo_u32_b32 v8, s90, 0
	v_mbcnt_hi_u32_b32 v8, s91, v8
	v_cmp_eq_u32_e32 vcc, 0, v8
	;;#ASMSTART
	s_waitcnt lgkmcnt(0) vmcnt(0)
	;;#ASMEND
	s_and_saveexec_b64 s[88:89], vcc
	s_cbranch_execz .LBB2_1343
; %bb.1342:                             ;   in Loop: Header=BB2_1289 Depth=2
	s_bcnt1_i32_b64 s75, s[90:91]
	v_mov_b32_e32 v8, s75
	v_mov_b32_e32 v9, v2
	s_waitcnt lgkmcnt(0)
	ds_add_u64 v0, v[8:9]
	s_trap 2
.LBB2_1343:                             ;   in Loop: Header=BB2_1289 Depth=2
	s_or_b64 exec, exec, s[88:89]
	s_trap 2
	ds_read_b64 v[8:9], v0
	s_waitcnt lgkmcnt(0)
	v_add_co_u32_e32 v12, vcc, v12, v62
	v_addc_co_u32_e32 v13, vcc, 0, v13, vcc
	v_cmp_lt_u64_e32 vcc, v[8:9], v[12:13]
	s_and_saveexec_b64 s[88:89], vcc
	s_cbranch_execz .LBB2_1352
; %bb.1344:                             ;   in Loop: Header=BB2_1289 Depth=2
	s_mov_b32 s75, 0
	s_mov_b64 s[90:91], 0
                                        ; implicit-def: $sgpr92_sgpr93
                                        ; implicit-def: $sgpr94_sgpr95
	s_branch .LBB2_1346
.LBB2_1345:                             ;   in Loop: Header=BB2_1346 Depth=3
	s_or_b64 exec, exec, s[34:35]
	s_and_b64 vcc, exec, vcc
	s_or_b64 s[90:91], vcc, s[90:91]
	s_andn2_b64 s[92:93], s[92:93], exec
	s_and_b64 vcc, s[94:95], exec
	s_or_b64 s[92:93], s[92:93], vcc
	s_andn2_b64 exec, exec, s[90:91]
	s_cbranch_execz .LBB2_1350
.LBB2_1346:                             ;   Parent Loop BB2_47 Depth=1
                                        ;     Parent Loop BB2_1289 Depth=2
                                        ; =>    This Inner Loop Header: Depth=3
	s_add_i32 s75, s75, 1
	s_cmpk_lg_i32 s75, 0x2710
	s_cselect_b64 s[30:31], -1, 0
	s_and_b64 vcc, exec, s[30:31]
	s_cbranch_vccz .LBB2_1348
; %bb.1347:                             ;   in Loop: Header=BB2_1346 Depth=3
	s_mov_b64 vcc, -1
	s_or_b64 s[94:95], s[94:95], exec
	s_and_saveexec_b64 s[34:35], s[30:31]
	s_cbranch_execz .LBB2_1345
	s_branch .LBB2_1349
.LBB2_1348:                             ;   in Loop: Header=BB2_1346 Depth=3
	s_trap 2
	ds_read_b64 v[8:9], v0
	s_andn2_b64 s[30:31], s[30:31], exec
	s_mov_b32 s75, 0
	s_waitcnt vmcnt(0) lgkmcnt(0)
	flat_load_dword v8, v[8:9] glc
	s_waitcnt vmcnt(0) lgkmcnt(0)
	buffer_wbinvl1_vol
	v_cmp_eq_u32_e32 vcc, 0, v8
	s_and_b64 vcc, vcc, exec
	s_or_b64 s[30:31], s[30:31], vcc
	s_mov_b64 vcc, -1
	s_or_b64 s[94:95], s[94:95], exec
	s_and_saveexec_b64 s[34:35], s[30:31]
	s_cbranch_execz .LBB2_1345
.LBB2_1349:                             ;   in Loop: Header=BB2_1346 Depth=3
	s_sleep 1
	s_trap 2
	ds_read_b64 v[8:9], v0
	s_waitcnt lgkmcnt(0)
	s_andn2_b64 s[94:95], s[94:95], exec
	v_cmp_ge_u64_e32 vcc, v[8:9], v[12:13]
	s_orn2_b64 vcc, vcc, exec
	s_branch .LBB2_1345
.LBB2_1350:                             ;   in Loop: Header=BB2_1289 Depth=2
	s_or_b64 exec, exec, s[90:91]
	s_and_saveexec_b64 s[90:91], s[92:93]
	s_xor_b64 s[90:91], exec, s[90:91]
	s_cbranch_execz .LBB2_1352
; %bb.1351:                             ;   in Loop: Header=BB2_1289 Depth=2
	ds_write_b32 v0, v18
	s_trap 2
.LBB2_1352:                             ;   in Loop: Header=BB2_1289 Depth=2
	s_or_b64 exec, exec, s[88:89]
	;;#ASMSTART
	s_wakeup
	;;#ASMEND
.LBB2_1353:                             ;   in Loop: Header=BB2_1289 Depth=2
	s_or_b64 exec, exec, s[78:79]
.LBB2_1354:                             ;   in Loop: Header=BB2_1289 Depth=2
	s_andn2_saveexec_b64 s[76:77], s[76:77]
	s_cbranch_execz .LBB2_1356
; %bb.1355:                             ;   in Loop: Header=BB2_1289 Depth=2
	;;#ASMSTART
	s_waitcnt lgkmcnt(0) vmcnt(0)
	;;#ASMEND
	s_waitcnt vmcnt(0) lgkmcnt(0)
	s_barrier
.LBB2_1356:                             ;   in Loop: Header=BB2_1289 Depth=2
	s_or_b64 exec, exec, s[76:77]
.LBB2_1357:                             ;   in Loop: Header=BB2_1289 Depth=2
	s_or_b64 exec, exec, s[28:29]
	v_cmp_ne_u32_e32 vcc, 0, v0
	s_xor_b64 s[28:29], s[12:13], -1
	s_and_b64 s[76:77], vcc, s[28:29]
	s_and_saveexec_b64 s[28:29], s[76:77]
	s_cbranch_execz .LBB2_1359
; %bb.1358:                             ;   in Loop: Header=BB2_1289 Depth=2
	s_waitcnt vmcnt(0)
	flat_store_dword v[46:47], v18
.LBB2_1359:                             ;   in Loop: Header=BB2_1289 Depth=2
	s_or_b64 exec, exec, s[28:29]
	v_and_b32_e32 v0, 48, v60
	v_cmp_ne_u32_e32 vcc, 0, v0
	s_and_saveexec_b64 s[28:29], vcc
	s_cbranch_execz .LBB2_1288
; %bb.1360:                             ;   in Loop: Header=BB2_1289 Depth=2
	v_add_co_u32_e32 v38, vcc, 2, v38
	v_addc_co_u32_e32 v39, vcc, 0, v39, vcc
	flat_store_dwordx2 v[20:21], v[38:39]
	s_branch .LBB2_1288
.LBB2_1361:                             ;   in Loop: Header=BB2_47 Depth=1
	s_or_b64 exec, exec, s[78:79]
	s_or_b64 exec, exec, s[76:77]
	v_cmp_gt_i32_e32 vcc, 2, v0
	s_and_saveexec_b64 s[40:41], vcc
	s_cbranch_execnz .LBB2_1287
.LBB2_1362:                             ;   in Loop: Header=BB2_47 Depth=1
	s_or_b64 exec, exec, s[40:41]
	s_and_b64 vcc, exec, s[26:27]
	v_lshlrev_b32_e32 v33, 11, v62
	s_cbranch_vccz .LBB2_1364
	s_branch .LBB2_1622
.LBB2_1363:                             ;   in Loop: Header=BB2_47 Depth=1
	s_or_b64 exec, exec, s[42:43]
	s_or_b64 exec, exec, s[40:41]
	s_and_b64 vcc, exec, s[26:27]
	v_lshlrev_b32_e32 v33, 11, v62
	s_cbranch_vccnz .LBB2_1622
.LBB2_1364:                             ;   in Loop: Header=BB2_47 Depth=1
	s_mov_b32 s75, 1
.LBB2_1365:                             ;   Parent Loop BB2_47 Depth=1
                                        ; =>  This Loop Header: Depth=2
                                        ;       Child Loop BB2_1368 Depth 3
                                        ;         Child Loop BB2_1376 Depth 4
                                        ;         Child Loop BB2_1404 Depth 4
	;; [unrolled: 1-line block ×4, first 2 shown]
                                        ;           Child Loop BB2_1447 Depth 5
                                        ;         Child Loop BB2_1453 Depth 4
                                        ;           Child Loop BB2_1454 Depth 5
                                        ;         Child Loop BB2_1461 Depth 4
                                        ;         Child Loop BB2_1466 Depth 4
                                        ;           Child Loop BB2_1467 Depth 5
                                        ;         Child Loop BB2_1479 Depth 4
                                        ;         Child Loop BB2_1484 Depth 4
	;; [unrolled: 1-line block ×6, first 2 shown]
                                        ;       Child Loop BB2_1547 Depth 3
                                        ;         Child Loop BB2_1553 Depth 4
                                        ;         Child Loop BB2_1581 Depth 4
	;; [unrolled: 1-line block ×3, first 2 shown]
	buffer_load_dword v14, off, s[0:3], s33 offset:128 ; 4-byte Folded Reload
	buffer_load_dword v15, off, s[0:3], s33 offset:132 ; 4-byte Folded Reload
	;; [unrolled: 1-line block ×4, first 2 shown]
	s_sub_i32 s26, s68, s75
	s_cmp_ge_i32 s26, s52
	s_cselect_b32 s27, s52, 0
	s_sub_i32 s26, s26, s27
	s_ashr_i32 s28, s26, 31
	v_mov_b32_e32 v54, 0
	s_waitcnt vmcnt(0)
	v_mul_lo_u32 v3, v14, s28
	v_mul_lo_u32 v0, v15, s26
	v_mad_u64_u32 v[8:9], s[26:27], v14, s26, 0
	v_add3_u32 v9, v9, v3, v0
	v_sub_co_u32_e32 v10, vcc, v10, v8
	v_subb_co_u32_e32 v11, vcc, v11, v9, vcc
	v_cmp_lt_i64_e32 vcc, v[14:15], v[10:11]
	v_cndmask_b32_e32 v0, v10, v14, vcc
	v_max_i32_e32 v3, 0, v0
	v_add_u32_e32 v10, 31, v3
	v_lshrrev_b32_e32 v10, 1, v10
	v_and_b32_e32 v10, 0x3ffffff0, v10
	v_cmp_lt_i32_e32 vcc, 0, v0
	v_max_i32_e32 v52, s71, v10
	s_and_b64 s[26:27], s[72:73], vcc
	v_mov_b32_e32 v0, 0
	s_and_saveexec_b64 s[42:43], s[26:27]
	s_cbranch_execz .LBB2_1544
; %bb.1366:                             ;   in Loop: Header=BB2_1365 Depth=2
	buffer_load_dword v10, off, s[0:3], s33 offset:96 ; 4-byte Folded Reload
	buffer_load_dword v11, off, s[0:3], s33 offset:100 ; 4-byte Folded Reload
	s_mov_b32 s50, 1
	s_mov_b64 s[78:79], -1
	v_mov_b32_e32 v54, 0
	s_mov_b64 s[76:77], 0
	s_waitcnt vmcnt(0)
	v_add_co_u32_e32 v8, vcc, v8, v10
	v_addc_co_u32_e32 v9, vcc, v9, v11, vcc
	v_lshlrev_b64 v[40:41], 1, v[8:9]
	s_branch .LBB2_1368
.LBB2_1367:                             ;   in Loop: Header=BB2_1368 Depth=3
	s_or_b64 exec, exec, s[26:27]
	v_add_u32_e32 v54, v52, v54
	v_cmp_ge_i32_e32 vcc, v54, v3
	s_xor_b64 s[26:27], s[78:79], -1
	s_or_b64 s[26:27], s[26:27], vcc
	s_and_b64 s[26:27], exec, s[26:27]
	s_or_b64 s[76:77], s[26:27], s[76:77]
	s_mov_b64 s[78:79], 0
	v_mov_b32_e32 v0, s50
	s_mov_b32 s50, 2
	s_andn2_b64 exec, exec, s[76:77]
	s_cbranch_execz .LBB2_1543
.LBB2_1368:                             ;   Parent Loop BB2_47 Depth=1
                                        ;     Parent Loop BB2_1365 Depth=2
                                        ; =>    This Loop Header: Depth=3
                                        ;         Child Loop BB2_1376 Depth 4
                                        ;         Child Loop BB2_1404 Depth 4
	;; [unrolled: 1-line block ×4, first 2 shown]
                                        ;           Child Loop BB2_1447 Depth 5
                                        ;         Child Loop BB2_1453 Depth 4
                                        ;           Child Loop BB2_1454 Depth 5
                                        ;         Child Loop BB2_1461 Depth 4
                                        ;         Child Loop BB2_1466 Depth 4
                                        ;           Child Loop BB2_1467 Depth 5
                                        ;         Child Loop BB2_1479 Depth 4
                                        ;         Child Loop BB2_1484 Depth 4
	;; [unrolled: 1-line block ×6, first 2 shown]
	s_and_saveexec_b64 s[26:27], s[4:5]
	s_cbranch_execz .LBB2_1370
; %bb.1369:                             ;   in Loop: Header=BB2_1368 Depth=3
	s_trap 2
	ds_read_b128 v[8:11], v0
	v_ashrrev_i32_e32 v55, 31, v54
	s_waitcnt lgkmcnt(0)
	v_add_co_u32_e32 v0, vcc, v8, v40
	v_addc_co_u32_e32 v15, vcc, v9, v41, vcc
	v_lshlrev_b64 v[8:9], 1, v[54:55]
	v_add_co_u32_e32 v14, vcc, v0, v8
	v_addc_co_u32_e32 v15, vcc, v15, v9, vcc
	ds_write_b64 v0, v[14:15]
	v_add_co_u32_e32 v0, vcc, v10, v40
	v_addc_co_u32_e32 v14, vcc, v11, v41, vcc
	v_add_co_u32_e32 v0, vcc, v0, v8
	v_addc_co_u32_e32 v8, vcc, v14, v9, vcc
	v_cmp_ne_u64_e32 vcc, 0, v[10:11]
	v_cndmask_b32_e32 v9, 0, v8, vcc
	v_cndmask_b32_e32 v8, 0, v0, vcc
	ds_write_b64 v0, v[8:9]
.LBB2_1370:                             ;   in Loop: Header=BB2_1368 Depth=3
	s_or_b64 exec, exec, s[26:27]
	v_sub_u32_e32 v0, v3, v54
	v_min_i32_e32 v52, v52, v0
	v_and_b32_e32 v0, 12, v60
	v_cmp_ne_u32_e32 vcc, 0, v0
	s_and_saveexec_b64 s[28:29], vcc
	s_cbranch_execz .LBB2_1396
; %bb.1371:                             ;   in Loop: Header=BB2_1368 Depth=3
	v_and_b32_e32 v0, 8, v60
	s_waitcnt vmcnt(0) lgkmcnt(0)
	v_add_co_u32_e32 v10, vcc, v26, v0
	v_addc_co_u32_e32 v11, vcc, 0, v27, vcc
	v_add_co_u32_e32 v8, vcc, 2, v38
	v_addc_co_u32_e32 v9, vcc, 0, v39, vcc
	v_cmp_lt_u64_e32 vcc, v[10:11], v[8:9]
	s_and_saveexec_b64 s[40:41], vcc
	s_cbranch_execz .LBB2_1383
; %bb.1372:                             ;   in Loop: Header=BB2_1368 Depth=3
	v_and_b32_e32 v10, 64, v60
	s_mov_b32 s51, 0
	v_cmp_eq_u32_e32 vcc, 0, v10
	s_mov_b64 s[88:89], 0
                                        ; implicit-def: $sgpr90_sgpr91
                                        ; implicit-def: $sgpr92_sgpr93
                                        ; implicit-def: $sgpr94_sgpr95
	s_branch .LBB2_1376
.LBB2_1373:                             ;   in Loop: Header=BB2_1376 Depth=4
	s_waitcnt vmcnt(0) lgkmcnt(0)
	v_add_co_u32_e64 v14, s[26:27], v26, v0
	v_addc_co_u32_e64 v15, s[26:27], 0, v27, s[26:27]
	v_cmp_ge_u64_e64 s[26:27], v[14:15], v[8:9]
	s_or_b64 s[36:37], s[36:37], exec
	s_orn2_b64 s[34:35], s[26:27], exec
.LBB2_1374:                             ;   in Loop: Header=BB2_1376 Depth=4
	s_or_b64 exec, exec, s[48:49]
	s_andn2_b64 s[26:27], s[94:95], exec
	s_and_b64 s[94:95], s[36:37], exec
	s_or_b64 s[94:95], s[26:27], s[94:95]
	s_andn2_b64 s[26:27], s[92:93], exec
	s_and_b64 s[92:93], s[34:35], exec
	s_or_b64 s[92:93], s[26:27], s[92:93]
.LBB2_1375:                             ;   in Loop: Header=BB2_1376 Depth=4
	s_or_b64 exec, exec, s[30:31]
	s_and_b64 s[26:27], exec, s[92:93]
	s_or_b64 s[88:89], s[26:27], s[88:89]
	s_andn2_b64 s[26:27], s[90:91], exec
	s_and_b64 s[90:91], s[94:95], exec
	s_or_b64 s[90:91], s[26:27], s[90:91]
	s_andn2_b64 exec, exec, s[88:89]
	s_cbranch_execz .LBB2_1380
.LBB2_1376:                             ;   Parent Loop BB2_47 Depth=1
                                        ;     Parent Loop BB2_1365 Depth=2
                                        ;       Parent Loop BB2_1368 Depth=3
                                        ; =>      This Inner Loop Header: Depth=4
	s_sleep 1
	s_waitcnt vmcnt(0) lgkmcnt(0)
	flat_load_dwordx2 v[26:27], v[20:21] glc
	s_or_b64 s[94:95], s[94:95], exec
	s_or_b64 s[92:93], s[92:93], exec
                                        ; implicit-def: $vgpr10
	s_and_saveexec_b64 s[30:31], vcc
	s_cbranch_execz .LBB2_1375
; %bb.1377:                             ;   in Loop: Header=BB2_1376 Depth=4
	s_cmpk_lt_i32 s51, 0x270f
	s_cselect_b64 s[38:39], -1, 0
	s_cmpk_gt_i32 s51, 0x270e
	s_mov_b64 s[34:35], -1
	s_cbranch_scc0 .LBB2_1379
; %bb.1378:                             ;   in Loop: Header=BB2_1376 Depth=4
	s_trap 2
	ds_read_b64 v[10:11], v0
	s_andn2_b64 s[38:39], s[38:39], exec
	s_mov_b32 s51, 0
	s_mov_b64 s[36:37], 0
	s_waitcnt vmcnt(0) lgkmcnt(0)
	flat_load_dword v10, v[10:11] glc
	s_waitcnt vmcnt(0) lgkmcnt(0)
	buffer_wbinvl1_vol
	v_cmp_eq_u32_e64 s[26:27], 0, v10
	s_and_b64 s[26:27], s[26:27], exec
	s_or_b64 s[38:39], s[38:39], s[26:27]
	s_and_saveexec_b64 s[48:49], s[38:39]
	s_cbranch_execz .LBB2_1374
	s_branch .LBB2_1373
.LBB2_1379:                             ;   in Loop: Header=BB2_1376 Depth=4
	s_add_i32 s51, s51, 1
	s_mov_b64 s[36:37], -1
                                        ; implicit-def: $vgpr10
	s_and_saveexec_b64 s[48:49], s[38:39]
	s_cbranch_execz .LBB2_1374
	s_branch .LBB2_1373
.LBB2_1380:                             ;   in Loop: Header=BB2_1368 Depth=3
	s_or_b64 exec, exec, s[88:89]
	s_xor_b64 s[26:27], s[90:91], -1
	s_and_saveexec_b64 s[88:89], s[26:27]
	s_xor_b64 s[26:27], exec, s[88:89]
	s_cbranch_execz .LBB2_1382
; %bb.1381:                             ;   in Loop: Header=BB2_1368 Depth=3
	v_or_b32_e32 v60, 64, v60
	s_waitcnt lgkmcnt(0)
	ds_write_b32 v0, v10
	s_trap 2
.LBB2_1382:                             ;   in Loop: Header=BB2_1368 Depth=3
	s_or_b64 exec, exec, s[26:27]
.LBB2_1383:                             ;   in Loop: Header=BB2_1368 Depth=3
	s_or_b64 exec, exec, s[40:41]
	v_and_b32_e32 v10, 0x108, v60
	v_cmp_ne_u32_e32 vcc, s65, v10
	;;#ASMSTART
	s_wakeup
	;;#ASMEND
                                        ; implicit-def: $vgpr10_vgpr11
	s_and_saveexec_b64 s[26:27], vcc
	s_xor_b64 s[26:27], exec, s[26:27]
; %bb.1384:                             ;   in Loop: Header=BB2_1368 Depth=3
	v_and_b32_e32 v10, 7, v38
	v_mov_b32_e32 v11, v2
                                        ; implicit-def: $vgpr38_vgpr39
; %bb.1385:                             ;   in Loop: Header=BB2_1368 Depth=3
	s_andn2_saveexec_b64 s[26:27], s[26:27]
	s_cbranch_execz .LBB2_1387
; %bb.1386:                             ;   in Loop: Header=BB2_1368 Depth=3
	buffer_load_dword v14, off, s[0:3], s33 offset:60 ; 4-byte Folded Reload
	buffer_load_dword v15, off, s[0:3], s33 offset:64 ; 4-byte Folded Reload
	;; [unrolled: 1-line block ×4, first 2 shown]
	v_and_b32_e32 v10, 7, v38
	v_ashrrev_i32_e32 v53, 31, v52
	s_waitcnt vmcnt(0)
	v_lshlrev_b64 v[16:17], 1, v[52:53]
	v_mov_b32_e32 v11, v2
	v_mad_u64_u32 v[14:15], s[40:41], v10, 24, v[14:15]
	flat_store_dwordx2 v[14:15], v[16:17] offset:8
.LBB2_1387:                             ;   in Loop: Header=BB2_1368 Depth=3
	s_or_b64 exec, exec, s[26:27]
	v_and_b32_e32 v14, 0x100, v60
	v_cmp_ne_u32_e32 vcc, 0, v14
	s_mov_b64 s[26:27], -1
                                        ; implicit-def: $vgpr38_vgpr39
	s_and_saveexec_b64 s[40:41], vcc
	s_cbranch_execz .LBB2_1391
; %bb.1388:                             ;   in Loop: Header=BB2_1368 Depth=3
	buffer_load_dword v14, off, s[0:3], s33 offset:60 ; 4-byte Folded Reload
	buffer_load_dword v15, off, s[0:3], s33 offset:64 ; 4-byte Folded Reload
	;; [unrolled: 1-line block ×4, first 2 shown]
                                        ; implicit-def: $vgpr38_vgpr39
	s_waitcnt vmcnt(0)
	v_mad_u64_u32 v[42:43], s[26:27], v10, 24, v[14:15]
	v_mov_b32_e32 v14, v43
	v_mad_u64_u32 v[14:15], s[26:27], v11, 24, v[14:15]
	v_mov_b32_e32 v43, v14
	flat_load_dword v14, v[42:43]
	s_waitcnt vmcnt(0) lgkmcnt(0)
	v_cmp_ne_u32_e32 vcc, 1, v14
	v_cmp_eq_u32_e64 s[26:27], 1, v14
	s_and_saveexec_b64 s[88:89], s[26:27]
	s_cbranch_execz .LBB2_1390
; %bb.1389:                             ;   in Loop: Header=BB2_1368 Depth=3
	flat_load_dword v14, v[42:43] offset:4 glc
	s_waitcnt vmcnt(0) lgkmcnt(0)
	v_ashrrev_i32_e32 v15, 31, v14
	v_lshrrev_b64 v[38:39], 1, v[14:15]
.LBB2_1390:                             ;   in Loop: Header=BB2_1368 Depth=3
	s_or_b64 exec, exec, s[88:89]
	s_orn2_b64 s[26:27], vcc, exec
.LBB2_1391:                             ;   in Loop: Header=BB2_1368 Depth=3
	s_or_b64 exec, exec, s[40:41]
	s_and_saveexec_b64 s[40:41], s[26:27]
	s_cbranch_execz .LBB2_1393
; %bb.1392:                             ;   in Loop: Header=BB2_1368 Depth=3
	v_ashrrev_i32_e32 v14, 31, v61
	v_mul_lo_u32 v11, v11, v61
	v_mul_lo_u32 v14, v10, v14
	v_mad_u64_u32 v[38:39], s[26:27], v10, v61, 0
	v_add3_u32 v39, v39, v14, v11
.LBB2_1393:                             ;   in Loop: Header=BB2_1368 Depth=3
	s_or_b64 exec, exec, s[40:41]
	v_cmp_eq_u32_e32 vcc, 0, v0
	v_mov_b32_e32 v0, 0xd0
	v_mov_b32_e32 v10, 0x88
	v_cndmask_b32_e32 v0, v0, v10, vcc
	v_lshlrev_b64 v[10:11], 1, v[38:39]
	v_add_u32_e32 v0, v0, v0
	v_add_co_u32_e32 v10, vcc, v6, v10
	v_addc_co_u32_e32 v11, vcc, v7, v11, vcc
	ds_write_b64 v0, v[10:11] offset:584
	v_and_b32_e32 v0, 0x2000, v60
	v_cmp_ne_u32_e32 vcc, 0, v0
	s_and_saveexec_b64 s[26:27], vcc
	s_cbranch_execz .LBB2_1395
; %bb.1394:                             ;   in Loop: Header=BB2_1368 Depth=3
	ds_read_b64 v[10:11], v0 offset:872
	s_waitcnt lgkmcnt(0)
	v_add_co_u32_e32 v10, vcc, 1, v10
	v_addc_co_u32_e32 v11, vcc, 0, v11, vcc
	ds_write_b64 v0, v[10:11] offset:872
.LBB2_1395:                             ;   in Loop: Header=BB2_1368 Depth=3
	s_or_b64 exec, exec, s[26:27]
	v_mov_b32_e32 v39, v9
	v_mov_b32_e32 v38, v8
.LBB2_1396:                             ;   in Loop: Header=BB2_1368 Depth=3
	s_or_b64 exec, exec, s[28:29]
	s_and_saveexec_b64 s[26:27], s[10:11]
	s_cbranch_execz .LBB2_1415
; %bb.1397:                             ;   in Loop: Header=BB2_1368 Depth=3
	s_and_saveexec_b64 s[28:29], s[56:57]
	s_xor_b64 s[28:29], exec, s[28:29]
	s_cbranch_execz .LBB2_1412
; %bb.1398:                             ;   in Loop: Header=BB2_1368 Depth=3
	s_and_saveexec_b64 s[40:41], s[16:17]
	s_cbranch_execz .LBB2_1411
; %bb.1399:                             ;   in Loop: Header=BB2_1368 Depth=3
	s_mov_b64 s[90:91], exec
	v_mbcnt_lo_u32_b32 v0, s90, 0
	v_mbcnt_hi_u32_b32 v0, s91, v0
	v_cmp_eq_u32_e32 vcc, 0, v0
	s_waitcnt vmcnt(0) lgkmcnt(0)
	buffer_wbinvl1_vol
	s_and_saveexec_b64 s[88:89], vcc
	s_cbranch_execz .LBB2_1401
; %bb.1400:                             ;   in Loop: Header=BB2_1368 Depth=3
	s_bcnt1_i32_b64 s90, s[90:91]
	v_mov_b32_e32 v8, s90
	v_mov_b32_e32 v9, v2
	ds_add_u64 v0, v[8:9]
	s_trap 2
.LBB2_1401:                             ;   in Loop: Header=BB2_1368 Depth=3
	s_or_b64 exec, exec, s[88:89]
	s_trap 2
	ds_read_b64 v[8:9], v0
	s_waitcnt lgkmcnt(0)
	v_add_co_u32_e32 v12, vcc, v12, v62
	v_addc_co_u32_e32 v13, vcc, 0, v13, vcc
	v_cmp_lt_u64_e32 vcc, v[8:9], v[12:13]
	s_and_saveexec_b64 s[88:89], vcc
	s_cbranch_execz .LBB2_1410
; %bb.1402:                             ;   in Loop: Header=BB2_1368 Depth=3
	s_mov_b32 s36, 0
	s_mov_b64 s[90:91], 0
                                        ; implicit-def: $sgpr92_sgpr93
                                        ; implicit-def: $sgpr94_sgpr95
	s_branch .LBB2_1404
.LBB2_1403:                             ;   in Loop: Header=BB2_1404 Depth=4
	s_or_b64 exec, exec, s[34:35]
	s_and_b64 vcc, exec, vcc
	s_or_b64 s[90:91], vcc, s[90:91]
	s_andn2_b64 s[92:93], s[92:93], exec
	s_and_b64 vcc, s[94:95], exec
	s_or_b64 s[92:93], s[92:93], vcc
	s_andn2_b64 exec, exec, s[90:91]
	s_cbranch_execz .LBB2_1408
.LBB2_1404:                             ;   Parent Loop BB2_47 Depth=1
                                        ;     Parent Loop BB2_1365 Depth=2
                                        ;       Parent Loop BB2_1368 Depth=3
                                        ; =>      This Inner Loop Header: Depth=4
	s_add_i32 s36, s36, 1
	s_cmpk_lg_i32 s36, 0x2710
	s_cselect_b64 s[30:31], -1, 0
	s_and_b64 vcc, exec, s[30:31]
	s_cbranch_vccz .LBB2_1406
; %bb.1405:                             ;   in Loop: Header=BB2_1404 Depth=4
	s_mov_b64 vcc, -1
	s_or_b64 s[94:95], s[94:95], exec
	s_and_saveexec_b64 s[34:35], s[30:31]
	s_cbranch_execz .LBB2_1403
	s_branch .LBB2_1407
.LBB2_1406:                             ;   in Loop: Header=BB2_1404 Depth=4
	s_trap 2
	ds_read_b64 v[8:9], v0
	s_andn2_b64 s[30:31], s[30:31], exec
	s_mov_b32 s36, 0
	s_waitcnt lgkmcnt(0)
	flat_load_dword v0, v[8:9] glc
	s_waitcnt vmcnt(0) lgkmcnt(0)
	buffer_wbinvl1_vol
	v_cmp_eq_u32_e32 vcc, 0, v0
	s_and_b64 vcc, vcc, exec
	s_or_b64 s[30:31], s[30:31], vcc
	s_mov_b64 vcc, -1
	s_or_b64 s[94:95], s[94:95], exec
	s_and_saveexec_b64 s[34:35], s[30:31]
	s_cbranch_execz .LBB2_1403
.LBB2_1407:                             ;   in Loop: Header=BB2_1404 Depth=4
	s_sleep 1
	s_trap 2
	ds_read_b64 v[8:9], v0
	s_waitcnt lgkmcnt(0)
	s_andn2_b64 s[94:95], s[94:95], exec
	v_cmp_ge_u64_e32 vcc, v[8:9], v[12:13]
	s_orn2_b64 vcc, vcc, exec
	s_branch .LBB2_1403
.LBB2_1408:                             ;   in Loop: Header=BB2_1368 Depth=3
	s_or_b64 exec, exec, s[90:91]
	s_and_saveexec_b64 s[90:91], s[92:93]
	s_xor_b64 s[90:91], exec, s[90:91]
	s_cbranch_execz .LBB2_1410
; %bb.1409:                             ;   in Loop: Header=BB2_1368 Depth=3
	ds_write_b32 v0, v18
	s_trap 2
.LBB2_1410:                             ;   in Loop: Header=BB2_1368 Depth=3
	s_or_b64 exec, exec, s[88:89]
	;;#ASMSTART
	s_wakeup
	;;#ASMEND
.LBB2_1411:                             ;   in Loop: Header=BB2_1368 Depth=3
	s_or_b64 exec, exec, s[40:41]
.LBB2_1412:                             ;   in Loop: Header=BB2_1368 Depth=3
	s_andn2_saveexec_b64 s[28:29], s[28:29]
	s_cbranch_execz .LBB2_1414
; %bb.1413:                             ;   in Loop: Header=BB2_1368 Depth=3
	s_waitcnt vmcnt(0) lgkmcnt(0)
	buffer_wbinvl1_vol
	s_barrier
.LBB2_1414:                             ;   in Loop: Header=BB2_1368 Depth=3
	s_or_b64 exec, exec, s[28:29]
.LBB2_1415:                             ;   in Loop: Header=BB2_1368 Depth=3
	s_or_b64 exec, exec, s[26:27]
	s_trap 2
	ds_read_b32 v0, v0
	v_and_b32_e32 v8, 0x4000, v60
	v_cmp_ne_u32_e32 vcc, 0, v8
	s_xor_b64 s[26:27], s[6:7], -1
	s_and_b64 s[28:29], s[26:27], vcc
	s_and_saveexec_b64 s[26:27], s[28:29]
	s_cbranch_execz .LBB2_1434
; %bb.1416:                             ;   in Loop: Header=BB2_1368 Depth=3
	s_and_saveexec_b64 s[28:29], s[56:57]
	s_xor_b64 s[28:29], exec, s[28:29]
	s_cbranch_execz .LBB2_1431
; %bb.1417:                             ;   in Loop: Header=BB2_1368 Depth=3
	s_and_saveexec_b64 s[40:41], s[16:17]
	s_cbranch_execz .LBB2_1430
; %bb.1418:                             ;   in Loop: Header=BB2_1368 Depth=3
	s_mov_b64 s[90:91], exec
	v_mbcnt_lo_u32_b32 v8, s90, 0
	v_mbcnt_hi_u32_b32 v8, s91, v8
	v_cmp_eq_u32_e32 vcc, 0, v8
	s_waitcnt vmcnt(0) lgkmcnt(0)
	buffer_wbinvl1_vol
	s_and_saveexec_b64 s[88:89], vcc
	s_cbranch_execz .LBB2_1420
; %bb.1419:                             ;   in Loop: Header=BB2_1368 Depth=3
	s_bcnt1_i32_b64 s90, s[90:91]
	v_mov_b32_e32 v8, s90
	v_mov_b32_e32 v9, v2
	ds_add_u64 v0, v[8:9]
	s_trap 2
.LBB2_1420:                             ;   in Loop: Header=BB2_1368 Depth=3
	s_or_b64 exec, exec, s[88:89]
	s_trap 2
	ds_read_b64 v[8:9], v0
	s_waitcnt lgkmcnt(0)
	v_add_co_u32_e32 v12, vcc, v12, v62
	v_addc_co_u32_e32 v13, vcc, 0, v13, vcc
	v_cmp_lt_u64_e32 vcc, v[8:9], v[12:13]
	s_and_saveexec_b64 s[88:89], vcc
	s_cbranch_execz .LBB2_1429
; %bb.1421:                             ;   in Loop: Header=BB2_1368 Depth=3
	s_mov_b32 s36, 0
	s_mov_b64 s[90:91], 0
                                        ; implicit-def: $sgpr92_sgpr93
                                        ; implicit-def: $sgpr94_sgpr95
	s_branch .LBB2_1423
.LBB2_1422:                             ;   in Loop: Header=BB2_1423 Depth=4
	s_or_b64 exec, exec, s[34:35]
	s_and_b64 vcc, exec, vcc
	s_or_b64 s[90:91], vcc, s[90:91]
	s_andn2_b64 s[92:93], s[92:93], exec
	s_and_b64 vcc, s[94:95], exec
	s_or_b64 s[92:93], s[92:93], vcc
	s_andn2_b64 exec, exec, s[90:91]
	s_cbranch_execz .LBB2_1427
.LBB2_1423:                             ;   Parent Loop BB2_47 Depth=1
                                        ;     Parent Loop BB2_1365 Depth=2
                                        ;       Parent Loop BB2_1368 Depth=3
                                        ; =>      This Inner Loop Header: Depth=4
	s_add_i32 s36, s36, 1
	s_cmpk_lg_i32 s36, 0x2710
	s_cselect_b64 s[30:31], -1, 0
	s_and_b64 vcc, exec, s[30:31]
	s_cbranch_vccz .LBB2_1425
; %bb.1424:                             ;   in Loop: Header=BB2_1423 Depth=4
	s_mov_b64 vcc, -1
	s_or_b64 s[94:95], s[94:95], exec
	s_and_saveexec_b64 s[34:35], s[30:31]
	s_cbranch_execz .LBB2_1422
	s_branch .LBB2_1426
.LBB2_1425:                             ;   in Loop: Header=BB2_1423 Depth=4
	s_trap 2
	ds_read_b64 v[8:9], v0
	s_andn2_b64 s[30:31], s[30:31], exec
	s_mov_b32 s36, 0
	s_waitcnt lgkmcnt(0)
	flat_load_dword v8, v[8:9] glc
	s_waitcnt vmcnt(0) lgkmcnt(0)
	buffer_wbinvl1_vol
	v_cmp_eq_u32_e32 vcc, 0, v8
	s_and_b64 vcc, vcc, exec
	s_or_b64 s[30:31], s[30:31], vcc
	s_mov_b64 vcc, -1
	s_or_b64 s[94:95], s[94:95], exec
	s_and_saveexec_b64 s[34:35], s[30:31]
	s_cbranch_execz .LBB2_1422
.LBB2_1426:                             ;   in Loop: Header=BB2_1423 Depth=4
	s_sleep 1
	s_trap 2
	ds_read_b64 v[8:9], v0
	s_waitcnt lgkmcnt(0)
	s_andn2_b64 s[94:95], s[94:95], exec
	v_cmp_ge_u64_e32 vcc, v[8:9], v[12:13]
	s_orn2_b64 vcc, vcc, exec
	s_branch .LBB2_1422
.LBB2_1427:                             ;   in Loop: Header=BB2_1368 Depth=3
	s_or_b64 exec, exec, s[90:91]
	s_and_saveexec_b64 s[90:91], s[92:93]
	s_xor_b64 s[90:91], exec, s[90:91]
	s_cbranch_execz .LBB2_1429
; %bb.1428:                             ;   in Loop: Header=BB2_1368 Depth=3
	ds_write_b32 v0, v18
	s_trap 2
.LBB2_1429:                             ;   in Loop: Header=BB2_1368 Depth=3
	s_or_b64 exec, exec, s[88:89]
	;;#ASMSTART
	s_wakeup
	;;#ASMEND
.LBB2_1430:                             ;   in Loop: Header=BB2_1368 Depth=3
	s_or_b64 exec, exec, s[40:41]
.LBB2_1431:                             ;   in Loop: Header=BB2_1368 Depth=3
	s_andn2_saveexec_b64 s[28:29], s[28:29]
	s_cbranch_execz .LBB2_1433
; %bb.1432:                             ;   in Loop: Header=BB2_1368 Depth=3
	s_waitcnt vmcnt(0) lgkmcnt(0)
	buffer_wbinvl1_vol
	s_barrier
.LBB2_1433:                             ;   in Loop: Header=BB2_1368 Depth=3
	s_or_b64 exec, exec, s[28:29]
.LBB2_1434:                             ;   in Loop: Header=BB2_1368 Depth=3
	s_or_b64 exec, exec, s[26:27]
	s_trap 2
	s_waitcnt lgkmcnt(0)
	ds_read_b64 v[42:43], v0
	s_waitcnt lgkmcnt(0)
	v_cmp_eq_u64_e32 vcc, 0, v[42:43]
	s_cbranch_vccnz .LBB2_1443
; %bb.1435:                             ;   in Loop: Header=BB2_1368 Depth=3
	s_trap 2
	ds_read_b64 v[44:45], v0
	s_waitcnt lgkmcnt(0)
	v_cmp_eq_u64_e32 vcc, 0, v[44:45]
	s_cbranch_vccnz .LBB2_1443
; %bb.1436:                             ;   in Loop: Header=BB2_1368 Depth=3
	s_trap 2
	s_waitcnt vmcnt(0)
	ds_read_b64 v[46:47], v0
	v_cmp_eq_u32_e32 vcc, 0, v0
	v_cndmask_b32_e32 v48, 0, v52, vcc
	v_lshlrev_b32_e32 v49, 1, v48
	s_mov_b64 s[26:27], -1
	s_waitcnt lgkmcnt(0)
	v_cmp_ne_u64_e32 vcc, 0, v[46:47]
	s_cbranch_vccz .LBB2_1470
; %bb.1437:                             ;   in Loop: Header=BB2_1368 Depth=3
	s_and_saveexec_b64 s[28:29], s[20:21]
	s_cbranch_execz .LBB2_1439
; %bb.1438:                             ;   in Loop: Header=BB2_1368 Depth=3
	ds_read_b32 v0, v0 offset:720
	s_waitcnt lgkmcnt(0)
	v_and_b32_e32 v0, 15, v0
	v_cmp_eq_u32_e32 vcc, 0, v0
	s_orn2_b64 s[26:27], vcc, exec
.LBB2_1439:                             ;   in Loop: Header=BB2_1368 Depth=3
	s_or_b64 exec, exec, s[28:29]
	s_and_saveexec_b64 s[28:29], s[22:23]
	s_cbranch_execz .LBB2_1441
; %bb.1440:                             ;   in Loop: Header=BB2_1368 Depth=3
	ds_read_b32 v0, v0 offset:784
	s_waitcnt lgkmcnt(0)
	v_and_b32_e32 v0, 15, v0
	v_cmp_eq_u32_e32 vcc, 0, v0
	s_and_b64 s[40:41], s[26:27], vcc
	s_andn2_b64 s[26:27], s[26:27], exec
	s_and_b64 s[40:41], s[40:41], exec
	s_or_b64 s[26:27], s[26:27], s[40:41]
.LBB2_1441:                             ;   in Loop: Header=BB2_1368 Depth=3
	s_or_b64 exec, exec, s[28:29]
	s_xor_b64 s[26:27], s[26:27], -1
	v_cndmask_b32_e64 v8, 0, 1, s[26:27]
	s_mov_b64 s[28:29], -1
	v_mov_b32_e32 v0, 0
	v_cmp_ne_u32_e32 vcc, 0, v8
	v_mov_b32_e32 v15, v49
	v_mov_b32_e32 v28, v56
	s_cbranch_vccz .LBB2_1444
; %bb.1442:                             ;   in Loop: Header=BB2_1368 Depth=3
	s_and_saveexec_b64 s[40:41], s[28:29]
	s_cbranch_execnz .LBB2_1459
	s_branch .LBB2_1469
.LBB2_1443:                             ;   in Loop: Header=BB2_1368 Depth=3
	s_mov_b64 s[26:27], 0
	s_and_saveexec_b64 s[28:29], s[10:11]
	s_cbranch_execnz .LBB2_1498
	s_branch .LBB2_1516
.LBB2_1444:                             ;   in Loop: Header=BB2_1368 Depth=3
	v_ashrrev_i32_e32 v8, 31, v49
	v_lshrrev_b32_e32 v8, 22, v8
	v_add_u32_e32 v8, v49, v8
	buffer_load_dword v0, off, s[0:3], s33 offset:104 ; 4-byte Folded Reload
	v_ashrrev_i32_e32 v9, 10, v8
	v_and_b32_e32 v16, 0xfffffc00, v8
	buffer_load_dword v8, off, s[0:3], s33 offset:108 ; 4-byte Folded Reload
	v_sub_u32_e32 v19, v49, v16
	v_cmp_lt_i32_e64 s[26:27], 15, v19
	s_waitcnt vmcnt(0)
	v_sub_u32_e32 v0, v49, v0
	v_sub_u32_e32 v8, v9, v8
	v_addc_co_u32_e64 v17, vcc, 0, v8, s[26:27]
	v_cmp_lt_i32_e32 vcc, 15, v0
	s_and_saveexec_b64 s[88:89], vcc
	s_cbranch_execz .LBB2_1450
; %bb.1445:                             ;   in Loop: Header=BB2_1368 Depth=3
	buffer_load_dword v8, off, s[0:3], s33 offset:104 ; 4-byte Folded Reload
	s_mov_b64 s[90:91], 0
	s_waitcnt vmcnt(0)
	v_add_co_u32_e32 v55, vcc, v42, v8
	v_addc_co_u32_e32 v56, vcc, 0, v43, vcc
	v_add_co_u32_e32 v14, vcc, v44, v8
	v_addc_co_u32_e32 v15, vcc, 0, v45, vcc
	;; [unrolled: 2-line block ×3, first 2 shown]
.LBB2_1446:                             ;   Parent Loop BB2_47 Depth=1
                                        ;     Parent Loop BB2_1365 Depth=2
                                        ;       Parent Loop BB2_1368 Depth=3
                                        ; =>      This Loop Header: Depth=4
                                        ;           Child Loop BB2_1447 Depth 5
	global_load_dwordx4 v[8:11], v[55:56], off glc slc
	s_mov_b64 s[92:93], -1
	s_mov_b64 s[94:95], 0
	s_waitcnt vmcnt(0)
.LBB2_1447:                             ;   Parent Loop BB2_47 Depth=1
                                        ;     Parent Loop BB2_1365 Depth=2
                                        ;       Parent Loop BB2_1368 Depth=3
                                        ;         Parent Loop BB2_1446 Depth=4
                                        ; =>        This Inner Loop Header: Depth=5
	s_cmp_eq_u32 s94, 1
	s_cselect_b64 s[28:29], -1, 0
	v_cndmask_b32_e64 v23, v15, v30, s[28:29]
	v_cndmask_b32_e64 v22, v14, v28, s[28:29]
	global_store_dwordx4 v[22:23], v[8:11], off glc slc
	v_add_co_u32_e32 v22, vcc, 0x400, v22
	s_cmp_eq_u32 s94, 0
	v_addc_co_u32_e32 v23, vcc, 0, v23, vcc
	s_cselect_b64 vcc, -1, 0
	s_and_b64 s[40:41], exec, s[92:93]
	s_mov_b64 s[94:95], 1
	v_cndmask_b32_e64 v28, v28, v22, s[28:29]
	s_mov_b64 s[92:93], 0
	v_cndmask_b32_e64 v30, v30, v23, s[28:29]
	v_cndmask_b32_e32 v15, v15, v23, vcc
	v_cndmask_b32_e32 v14, v14, v22, vcc
	s_mov_b64 vcc, s[40:41]
	s_cbranch_vccnz .LBB2_1447
; %bb.1448:                             ;   in Loop: Header=BB2_1446 Depth=4
	v_add_co_u32_e32 v14, vcc, v14, v35
	v_addc_co_u32_e32 v15, vcc, v15, v29, vcc
	v_add_co_u32_e32 v28, vcc, v28, v35
	v_addc_co_u32_e32 v30, vcc, v30, v29, vcc
	;; [unrolled: 2-line block ×3, first 2 shown]
	v_sub_u32_e32 v0, v0, v4
	v_cmp_gt_i32_e32 vcc, 16, v0
	s_or_b64 s[90:91], vcc, s[90:91]
	v_sub_u32_e32 v17, v17, v62
	s_andn2_b64 exec, exec, s[90:91]
	s_cbranch_execnz .LBB2_1446
; %bb.1449:                             ;   in Loop: Header=BB2_1368 Depth=3
	s_or_b64 exec, exec, s[90:91]
	buffer_load_dword v56, off, s[0:3], s33 offset:112 ; 4-byte Folded Reload
.LBB2_1450:                             ;   in Loop: Header=BB2_1368 Depth=3
	s_or_b64 exec, exec, s[88:89]
	v_and_b32_e32 v8, 14, v49
	v_cndmask_b32_e64 v14, v19, v8, s[26:27]
	v_mov_b32_e32 v0, 0
	v_cmp_ne_u32_e32 vcc, 0, v14
	s_mov_b64 s[28:29], 0
                                        ; implicit-def: $vgpr15
                                        ; implicit-def: $vgpr28
	s_and_saveexec_b64 s[88:89], vcc
	s_cbranch_execz .LBB2_1458
; %bb.1451:                             ;   in Loop: Header=BB2_1368 Depth=3
	buffer_load_dword v9, off, s[0:3], s33 offset:116 ; 4-byte Folded Reload
	v_cmp_lt_i32_e32 vcc, 0, v17
	v_sub_u32_e32 v0, v19, v8
	v_cndmask_b32_e32 v8, 0, v62, vcc
	v_sub_u32_e32 v8, v8, v17
	v_cndmask_b32_e64 v0, 0, v0, s[26:27]
	v_add_u32_e32 v0, v0, v16
	s_waitcnt vmcnt(0)
	v_lshl_or_b32 v8, v8, 6, v9
	v_ashrrev_i32_e32 v9, 31, v8
	v_lshrrev_b32_e32 v9, 26, v9
	v_add_u32_e32 v9, v8, v9
	v_ashrrev_i32_e32 v10, 6, v9
	v_and_b32_e32 v9, 0xffffffc0, v9
	v_sub_u32_e32 v16, v8, v9
	v_ashrrev_i32_e32 v9, 31, v14
	v_lshrrev_b32_e32 v9, 22, v9
	v_add_u32_e32 v9, v14, v9
	v_and_b32_e32 v15, 0xfffffc00, v9
	v_lshlrev_b32_e32 v8, 4, v16
	v_sub_u32_e32 v17, v14, v15
	v_lshl_add_u32 v8, v10, 10, v8
	v_ashrrev_i32_e32 v11, 10, v9
	v_cmp_lt_i32_e64 s[26:27], 15, v17
	v_sub_u32_e32 v28, v14, v8
	v_addc_co_u32_e64 v9, vcc, 0, v11, s[26:27]
	v_sub_u32_e32 v19, v9, v10
	v_cmp_lt_i32_e32 vcc, 15, v28
	s_and_saveexec_b64 s[90:91], vcc
	s_cbranch_execz .LBB2_1457
; %bb.1452:                             ;   in Loop: Header=BB2_1368 Depth=3
	v_add_u32_e32 v8, v8, v0
	v_ashrrev_i32_e32 v9, 31, v8
	v_add_co_u32_e32 v55, vcc, v8, v42
	v_addc_co_u32_e32 v56, vcc, v9, v43, vcc
	v_add_co_u32_e32 v30, vcc, v8, v44
	v_addc_co_u32_e32 v32, vcc, v9, v45, vcc
	;; [unrolled: 2-line block ×3, first 2 shown]
	s_mov_b64 s[92:93], 0
.LBB2_1453:                             ;   Parent Loop BB2_47 Depth=1
                                        ;     Parent Loop BB2_1365 Depth=2
                                        ;       Parent Loop BB2_1368 Depth=3
                                        ; =>      This Loop Header: Depth=4
                                        ;           Child Loop BB2_1454 Depth 5
	global_load_dwordx4 v[8:11], v[55:56], off glc slc
	s_mov_b64 s[94:95], -1
	s_mov_b64 s[30:31], 0
	s_waitcnt vmcnt(0)
.LBB2_1454:                             ;   Parent Loop BB2_47 Depth=1
                                        ;     Parent Loop BB2_1365 Depth=2
                                        ;       Parent Loop BB2_1368 Depth=3
                                        ;         Parent Loop BB2_1453 Depth=4
                                        ; =>        This Inner Loop Header: Depth=5
	s_cmp_eq_u32 s30, 1
	s_cselect_b64 s[28:29], -1, 0
	v_cndmask_b32_e64 v23, v32, v36, s[28:29]
	v_cndmask_b32_e64 v22, v30, v33, s[28:29]
	global_store_dwordx4 v[22:23], v[8:11], off glc slc
	v_add_co_u32_e32 v22, vcc, 0x400, v22
	s_cmp_eq_u32 s30, 0
	v_addc_co_u32_e32 v23, vcc, 0, v23, vcc
	s_cselect_b64 vcc, -1, 0
	s_and_b64 s[40:41], exec, s[94:95]
	s_mov_b64 s[30:31], 1
	v_cndmask_b32_e64 v33, v33, v22, s[28:29]
	s_mov_b64 s[94:95], 0
	v_cndmask_b32_e64 v36, v36, v23, s[28:29]
	v_cndmask_b32_e32 v32, v32, v23, vcc
	v_cndmask_b32_e32 v30, v30, v22, vcc
	s_mov_b64 vcc, s[40:41]
	s_cbranch_vccnz .LBB2_1454
; %bb.1455:                             ;   in Loop: Header=BB2_1453 Depth=4
	v_add_co_u32_e32 v30, vcc, v30, v35
	v_addc_co_u32_e32 v32, vcc, v32, v29, vcc
	v_add_co_u32_e32 v33, vcc, v33, v35
	v_addc_co_u32_e32 v36, vcc, v36, v29, vcc
	;; [unrolled: 2-line block ×3, first 2 shown]
	v_sub_u32_e32 v28, v28, v4
	v_cmp_gt_i32_e32 vcc, 16, v28
	s_or_b64 s[92:93], vcc, s[92:93]
	v_sub_u32_e32 v19, v19, v62
	s_andn2_b64 exec, exec, s[92:93]
	s_cbranch_execnz .LBB2_1453
; %bb.1456:                             ;   in Loop: Header=BB2_1368 Depth=3
	s_or_b64 exec, exec, s[92:93]
	buffer_load_dword v56, off, s[0:3], s33 offset:112 ; 4-byte Folded Reload
.LBB2_1457:                             ;   in Loop: Header=BB2_1368 Depth=3
	s_or_b64 exec, exec, s[90:91]
	v_and_b32_e32 v8, 14, v14
	v_sub_u32_e32 v9, v17, v8
	v_cndmask_b32_e64 v9, 0, v9, s[26:27]
	v_cmp_lt_i32_e32 vcc, 0, v19
	v_add3_u32 v0, v15, v0, v9
	v_cndmask_b32_e64 v15, v17, v8, s[26:27]
	v_cndmask_b32_e32 v8, 0, v62, vcc
	v_sub_u32_e32 v8, v8, v19
	v_cmp_ne_u32_e32 vcc, 0, v15
	v_lshl_add_u32 v28, v8, 6, v16
	s_and_b64 s[28:29], vcc, exec
.LBB2_1458:                             ;   in Loop: Header=BB2_1368 Depth=3
	s_or_b64 exec, exec, s[88:89]
	s_and_saveexec_b64 s[40:41], s[28:29]
	s_cbranch_execz .LBB2_1469
.LBB2_1459:                             ;   in Loop: Header=BB2_1368 Depth=3
	v_ashrrev_i32_e32 v8, 31, v28
	v_ashrrev_i32_e32 v9, 31, v15
	v_lshrrev_b32_e32 v8, 26, v8
	v_lshrrev_b32_e32 v9, 23, v9
	v_add_u32_e32 v8, v28, v8
	v_add_u32_e32 v9, v15, v9
	v_ashrrev_i32_e32 v14, 6, v8
	v_ashrrev_i32_e32 v17, 9, v9
	v_sub_u32_e32 v16, v17, v14
	v_cmp_lt_i32_e32 vcc, 0, v16
	s_and_saveexec_b64 s[26:27], vcc
	s_cbranch_execz .LBB2_1463
; %bb.1460:                             ;   in Loop: Header=BB2_1368 Depth=3
	v_and_b32_e32 v8, 0x7fffffc0, v8
	v_sub_u32_e32 v8, v28, v8
	v_lshlrev_b32_e32 v8, 1, v8
	v_lshlrev_b32_e32 v9, 9, v14
	v_add3_u32 v19, v8, v0, v9
	v_ashrrev_i32_e32 v22, 31, v19
	v_add_co_u32_e32 v8, vcc, v19, v42
	v_addc_co_u32_e32 v9, vcc, v22, v43, vcc
	v_add_co_u32_e32 v10, vcc, v19, v44
	v_addc_co_u32_e32 v11, vcc, v22, v45, vcc
	v_add_co_u32_e32 v55, vcc, v19, v46
	s_waitcnt vmcnt(0)
	v_addc_co_u32_e32 v56, vcc, v22, v47, vcc
	s_mov_b64 s[28:29], 0
.LBB2_1461:                             ;   Parent Loop BB2_47 Depth=1
                                        ;     Parent Loop BB2_1365 Depth=2
                                        ;       Parent Loop BB2_1368 Depth=3
                                        ; =>      This Inner Loop Header: Depth=4
	flat_load_ushort v19, v[8:9] glc slc
	flat_load_ushort v22, v[8:9] offset:128 glc slc
	flat_load_ushort v23, v[8:9] offset:256 glc slc
	;; [unrolled: 1-line block ×3, first 2 shown]
	v_add_co_u32_e32 v8, vcc, v8, v5
	v_addc_co_u32_e32 v9, vcc, 0, v9, vcc
	v_sub_u32_e32 v16, v16, v62
	v_cmp_gt_i32_e32 vcc, 1, v16
	s_or_b64 s[28:29], vcc, s[28:29]
	s_waitcnt vmcnt(0) lgkmcnt(0)
	flat_store_short v[10:11], v19 glc slc
	flat_store_short v[10:11], v22 offset:128 glc slc
	flat_store_short v[10:11], v23 offset:256 glc slc
	;; [unrolled: 1-line block ×3, first 2 shown]
	flat_store_short v[55:56], v19 glc slc
	flat_store_short v[55:56], v22 offset:128 glc slc
	flat_store_short v[55:56], v23 offset:256 glc slc
	;; [unrolled: 1-line block ×3, first 2 shown]
	v_add_co_u32_e32 v10, vcc, v10, v5
	v_addc_co_u32_e32 v11, vcc, 0, v11, vcc
	v_add_co_u32_e32 v55, vcc, v55, v5
	v_addc_co_u32_e32 v56, vcc, 0, v56, vcc
	s_andn2_b64 exec, exec, s[28:29]
	s_cbranch_execnz .LBB2_1461
; %bb.1462:                             ;   in Loop: Header=BB2_1368 Depth=3
	s_or_b64 exec, exec, s[28:29]
	buffer_load_dword v56, off, s[0:3], s33 offset:112 ; 4-byte Folded Reload
.LBB2_1463:                             ;   in Loop: Header=BB2_1368 Depth=3
	s_or_b64 exec, exec, s[26:27]
	v_lshlrev_b32_e32 v8, 9, v17
	v_cmp_ne_u32_e32 vcc, v15, v8
	s_and_b64 exec, exec, vcc
	s_cbranch_execz .LBB2_1469
; %bb.1464:                             ;   in Loop: Header=BB2_1368 Depth=3
	v_lshlrev_b32_e32 v9, 6, v14
	v_sub_u32_e32 v9, v28, v9
	v_lshlrev_b32_e32 v10, 6, v16
	v_sub_u32_e32 v9, v9, v10
	v_ashrrev_i32_e32 v10, 31, v9
	v_lshrrev_b32_e32 v10, 26, v10
	v_add_u32_e32 v10, v9, v10
	v_and_b32_e32 v11, 0x7fffffc0, v10
	v_sub_u32_e32 v9, v9, v11
	v_lshlrev_b32_e32 v10, 1, v10
	v_and_b32_e32 v10, 0xffffff80, v10
	v_lshlrev_b32_e32 v9, 1, v9
	v_add3_u32 v8, v10, v9, v8
	v_sub_u32_e32 v10, v15, v8
	v_cmp_lt_i32_e32 vcc, 1, v10
	s_and_b64 exec, exec, vcc
	s_cbranch_execz .LBB2_1469
; %bb.1465:                             ;   in Loop: Header=BB2_1368 Depth=3
	v_add_u32_e32 v14, v8, v0
	v_ashrrev_i32_e32 v15, 31, v14
	v_add_co_u32_e32 v8, vcc, v14, v42
	v_addc_co_u32_e32 v9, vcc, v15, v43, vcc
	v_add_co_u32_e32 v0, vcc, v14, v44
	v_addc_co_u32_e32 v11, vcc, v15, v45, vcc
	;; [unrolled: 2-line block ×3, first 2 shown]
	s_mov_b64 s[88:89], 0
.LBB2_1466:                             ;   Parent Loop BB2_47 Depth=1
                                        ;     Parent Loop BB2_1365 Depth=2
                                        ;       Parent Loop BB2_1368 Depth=3
                                        ; =>      This Loop Header: Depth=4
                                        ;           Child Loop BB2_1467 Depth 5
	flat_load_ushort v16, v[8:9] glc slc
	s_mov_b64 s[90:91], -1
	s_mov_b64 s[92:93], 0
	s_waitcnt vmcnt(0)
.LBB2_1467:                             ;   Parent Loop BB2_47 Depth=1
                                        ;     Parent Loop BB2_1365 Depth=2
                                        ;       Parent Loop BB2_1368 Depth=3
                                        ;         Parent Loop BB2_1466 Depth=4
                                        ; =>        This Inner Loop Header: Depth=5
	s_cmp_eq_u32 s92, 1
	s_cselect_b64 s[26:27], -1, 0
	v_cndmask_b32_e64 v22, v0, v14, s[26:27]
	v_cndmask_b32_e64 v23, v11, v15, s[26:27]
	v_add_co_u32_e32 v17, vcc, 0x80, v22
	s_cmp_eq_u32 s92, 0
	v_addc_co_u32_e32 v19, vcc, 0, v23, vcc
	s_cselect_b64 vcc, -1, 0
	s_and_b64 s[28:29], exec, s[90:91]
	s_mov_b64 s[92:93], 1
	v_cndmask_b32_e64 v14, v14, v17, s[26:27]
	s_mov_b64 s[90:91], 0
	v_cndmask_b32_e64 v15, v15, v19, s[26:27]
	v_cndmask_b32_e32 v11, v11, v19, vcc
	v_cndmask_b32_e32 v0, v0, v17, vcc
	s_mov_b64 vcc, s[28:29]
	s_waitcnt lgkmcnt(0)
	flat_store_short v[22:23], v16 glc slc
	s_cbranch_vccnz .LBB2_1467
; %bb.1468:                             ;   in Loop: Header=BB2_1466 Depth=4
	buffer_load_dword v17, off, s[0:3], s33 offset:76 ; 4-byte Folded Reload
	v_add_u32_e32 v16, 0xffffff80, v34
	v_add_co_u32_e32 v0, vcc, v0, v16
	v_sub_u32_e32 v10, v10, v34
	s_waitcnt vmcnt(0)
	v_addc_co_u32_e32 v11, vcc, v11, v17, vcc
	v_add_co_u32_e32 v14, vcc, v14, v16
	buffer_load_dword v16, off, s[0:3], s33 offset:80 ; 4-byte Folded Reload
	v_addc_co_u32_e32 v15, vcc, v15, v17, vcc
	v_cmp_gt_i32_e32 vcc, 2, v10
	s_or_b64 s[88:89], vcc, s[88:89]
	s_waitcnt vmcnt(0)
	v_add_co_u32_e32 v8, vcc, v16, v8
	buffer_load_dword v16, off, s[0:3], s33 offset:84 ; 4-byte Folded Reload
	s_waitcnt vmcnt(0)
	v_addc_co_u32_e32 v9, vcc, v16, v9, vcc
	s_andn2_b64 exec, exec, s[88:89]
	s_cbranch_execnz .LBB2_1466
.LBB2_1469:                             ;   in Loop: Header=BB2_1368 Depth=3
	s_or_b64 exec, exec, s[40:41]
	s_mov_b64 s[26:27], 0
.LBB2_1470:                             ;   in Loop: Header=BB2_1368 Depth=3
	buffer_load_dword v46, off, s[0:3], s33 offset:88 ; 4-byte Folded Reload
	buffer_load_dword v47, off, s[0:3], s33 offset:92 ; 4-byte Folded Reload
	s_and_b64 vcc, exec, s[26:27]
	s_cbranch_vccz .LBB2_1497
; %bb.1471:                             ;   in Loop: Header=BB2_1368 Depth=3
	s_mov_b64 s[26:27], -1
	s_and_saveexec_b64 s[28:29], s[20:21]
	s_cbranch_execz .LBB2_1473
; %bb.1472:                             ;   in Loop: Header=BB2_1368 Depth=3
	ds_read_b32 v0, v0 offset:720
	s_waitcnt lgkmcnt(0)
	v_and_b32_e32 v0, 15, v0
	v_cmp_eq_u32_e32 vcc, 0, v0
	s_orn2_b64 s[26:27], vcc, exec
.LBB2_1473:                             ;   in Loop: Header=BB2_1368 Depth=3
	s_or_b64 exec, exec, s[28:29]
	s_and_saveexec_b64 s[28:29], s[18:19]
	s_cbranch_execz .LBB2_1475
; %bb.1474:                             ;   in Loop: Header=BB2_1368 Depth=3
	ds_read_b32 v0, v0 offset:784
	s_waitcnt lgkmcnt(0)
	v_and_b32_e32 v0, 15, v0
	v_cmp_eq_u32_e32 vcc, 0, v0
	s_and_b64 s[40:41], s[26:27], vcc
	s_andn2_b64 s[26:27], s[26:27], exec
	s_and_b64 s[40:41], s[40:41], exec
	s_or_b64 s[26:27], s[26:27], s[40:41]
.LBB2_1475:                             ;   in Loop: Header=BB2_1368 Depth=3
	s_or_b64 exec, exec, s[28:29]
	s_xor_b64 s[26:27], s[26:27], -1
	v_cndmask_b32_e64 v8, 0, 1, s[26:27]
	s_mov_b64 s[40:41], -1
	v_mov_b32_e32 v0, 0
	v_cmp_ne_u32_e32 vcc, 0, v8
	s_cbranch_vccz .LBB2_1477
; %bb.1476:                             ;   in Loop: Header=BB2_1368 Depth=3
	s_waitcnt vmcnt(0)
	v_mov_b32_e32 v14, v56
	s_and_saveexec_b64 s[26:27], s[40:41]
	s_cbranch_execnz .LBB2_1488
	s_branch .LBB2_1496
.LBB2_1477:                             ;   in Loop: Header=BB2_1368 Depth=3
	buffer_load_dword v8, off, s[0:3], s33 offset:108 ; 4-byte Folded Reload
	v_ashrrev_i32_e32 v0, 31, v49
	v_lshrrev_b32_e32 v0, 21, v0
	v_add_u32_e32 v0, v49, v0
	v_ashrrev_i32_e32 v0, 11, v0
	s_waitcnt vmcnt(0)
	v_sub_u32_e32 v10, v0, v8
	v_cmp_lt_i32_e32 vcc, 0, v10
	s_and_saveexec_b64 s[26:27], vcc
	s_cbranch_execz .LBB2_1481
; %bb.1478:                             ;   in Loop: Header=BB2_1368 Depth=3
	buffer_load_dword v8, off, s[0:3], s33 offset:144 ; 4-byte Folded Reload
	buffer_load_dword v9, off, s[0:3], s33 offset:148 ; 4-byte Folded Reload
	s_mov_b64 s[28:29], 0
	v_lshlrev_b32_e32 v11, 11, v62
.LBB2_1479:                             ;   Parent Loop BB2_47 Depth=1
                                        ;     Parent Loop BB2_1365 Depth=2
                                        ;       Parent Loop BB2_1368 Depth=3
                                        ; =>      This Inner Loop Header: Depth=4
	s_waitcnt vmcnt(0)
	v_add_co_u32_e32 v22, vcc, v42, v8
	v_addc_co_u32_e32 v23, vcc, v43, v9, vcc
	global_load_dwordx4 v[14:17], v[22:23], off glc slc
	s_nop 0
	global_load_dwordx4 v[22:25], v[22:23], off offset:1024 glc slc
	v_add_co_u32_e32 v32, vcc, v44, v8
	v_addc_co_u32_e32 v33, vcc, v45, v9, vcc
	v_add_co_u32_e32 v8, vcc, v8, v11
	v_sub_u32_e32 v10, v10, v62
	v_addc_co_u32_e32 v9, vcc, 0, v9, vcc
	v_cmp_gt_i32_e32 vcc, 1, v10
	s_or_b64 s[28:29], vcc, s[28:29]
	s_waitcnt vmcnt(0)
	global_store_dwordx4 v[32:33], v[14:17], off glc slc
	global_store_dwordx4 v[32:33], v[22:25], off offset:1024 glc slc
	s_andn2_b64 exec, exec, s[28:29]
	s_cbranch_execnz .LBB2_1479
; %bb.1480:                             ;   in Loop: Header=BB2_1368 Depth=3
	s_or_b64 exec, exec, s[28:29]
.LBB2_1481:                             ;   in Loop: Header=BB2_1368 Depth=3
	s_or_b64 exec, exec, s[26:27]
	v_lshlrev_b32_e32 v8, 11, v0
	v_cmp_ne_u32_e32 vcc, v49, v8
	s_mov_b64 s[40:41], 0
	v_mov_b32_e32 v0, 0
                                        ; implicit-def: $vgpr14
	s_and_saveexec_b64 s[28:29], vcc
	s_cbranch_execz .LBB2_1487
; %bb.1482:                             ;   in Loop: Header=BB2_1368 Depth=3
	buffer_load_dword v9, off, s[0:3], s33 offset:116 ; 4-byte Folded Reload
	v_lshlrev_b32_e32 v0, 6, v10
	v_sub_u32_e32 v11, v49, v8
	s_waitcnt vmcnt(0)
	v_sub_u32_e32 v0, v9, v0
	v_ashrrev_i32_e32 v9, 31, v0
	v_lshrrev_b32_e32 v9, 26, v9
	v_add_u32_e32 v9, v0, v9
	v_ashrrev_i32_e32 v16, 6, v9
	v_and_b32_e32 v9, 0xffffffc0, v9
	v_sub_u32_e32 v9, v0, v9
	v_lshlrev_b32_e32 v0, 4, v9
	v_lshl_add_u32 v15, v16, 10, v0
	v_ashrrev_i32_e32 v0, 31, v11
	v_lshrrev_b32_e32 v0, 22, v0
	v_add_u32_e32 v0, v11, v0
	v_ashrrev_i32_e32 v17, 10, v0
	v_and_b32_e32 v0, 0xfffffc00, v0
	v_sub_u32_e32 v10, v11, v0
	v_cmp_lt_i32_e32 vcc, 15, v10
	v_sub_u32_e32 v14, v11, v15
	v_addc_co_u32_e64 v11, s[26:27], 0, v17, vcc
	v_sub_u32_e32 v11, v11, v16
	v_cmp_lt_i32_e64 s[26:27], 15, v14
	s_and_saveexec_b64 s[40:41], s[26:27]
	s_cbranch_execz .LBB2_1486
; %bb.1483:                             ;   in Loop: Header=BB2_1368 Depth=3
	v_add_u32_e32 v15, v15, v8
	v_ashrrev_i32_e32 v16, 31, v15
	s_mov_b64 s[88:89], 0
.LBB2_1484:                             ;   Parent Loop BB2_47 Depth=1
                                        ;     Parent Loop BB2_1365 Depth=2
                                        ;       Parent Loop BB2_1368 Depth=3
                                        ; =>      This Inner Loop Header: Depth=4
	v_add_co_u32_e64 v22, s[26:27], v42, v15
	v_addc_co_u32_e64 v23, s[26:27], v43, v16, s[26:27]
	global_load_dwordx4 v[22:25], v[22:23], off glc slc
	v_add_co_u32_e64 v32, s[26:27], v44, v15
	v_addc_co_u32_e64 v33, s[26:27], v45, v16, s[26:27]
	v_add_co_u32_e64 v15, s[26:27], v15, v4
	v_sub_u32_e32 v14, v14, v4
	v_addc_co_u32_e64 v16, s[26:27], 0, v16, s[26:27]
	v_cmp_gt_i32_e64 s[26:27], 16, v14
	v_sub_u32_e32 v11, v11, v62
	s_or_b64 s[88:89], s[26:27], s[88:89]
	s_waitcnt vmcnt(0)
	global_store_dwordx4 v[32:33], v[22:25], off glc slc
	s_andn2_b64 exec, exec, s[88:89]
	s_cbranch_execnz .LBB2_1484
; %bb.1485:                             ;   in Loop: Header=BB2_1368 Depth=3
	s_or_b64 exec, exec, s[88:89]
.LBB2_1486:                             ;   in Loop: Header=BB2_1368 Depth=3
	s_or_b64 exec, exec, s[40:41]
	v_and_b32_e32 v14, 14, v49
	v_sub_u32_e32 v15, v10, v14
	v_cndmask_b32_e32 v15, 0, v15, vcc
	v_cndmask_b32_e32 v49, v10, v14, vcc
	v_cmp_lt_i32_e32 vcc, 0, v11
	v_add3_u32 v0, v0, v8, v15
	v_cndmask_b32_e32 v8, 0, v62, vcc
	v_sub_u32_e32 v8, v8, v11
	v_cmp_ne_u32_e32 vcc, 0, v49
	v_lshl_add_u32 v14, v8, 6, v9
	s_and_b64 s[40:41], vcc, exec
.LBB2_1487:                             ;   in Loop: Header=BB2_1368 Depth=3
	s_or_b64 exec, exec, s[28:29]
	s_and_saveexec_b64 s[26:27], s[40:41]
	s_cbranch_execz .LBB2_1496
.LBB2_1488:                             ;   in Loop: Header=BB2_1368 Depth=3
	v_ashrrev_i32_e32 v8, 31, v14
	v_ashrrev_i32_e32 v9, 31, v49
	v_lshrrev_b32_e32 v8, 26, v8
	v_lshrrev_b32_e32 v9, 23, v9
	v_add_u32_e32 v8, v14, v8
	v_add_u32_e32 v9, v49, v9
	v_ashrrev_i32_e32 v15, 6, v8
	v_ashrrev_i32_e32 v17, 9, v9
	v_sub_u32_e32 v16, v17, v15
	v_cmp_lt_i32_e32 vcc, 0, v16
	s_and_saveexec_b64 s[28:29], vcc
	s_cbranch_execz .LBB2_1492
; %bb.1489:                             ;   in Loop: Header=BB2_1368 Depth=3
	v_and_b32_e32 v8, 0x7fffffc0, v8
	v_sub_u32_e32 v8, v14, v8
	v_lshlrev_b32_e32 v8, 1, v8
	v_lshlrev_b32_e32 v9, 9, v15
	v_add3_u32 v19, v8, v0, v9
	v_mov_b32_e32 v8, v44
	v_mov_b32_e32 v10, v42
	v_ashrrev_i32_e32 v28, 31, v19
	s_mov_b64 s[40:41], 0
	v_mov_b32_e32 v9, v45
	v_mov_b32_e32 v11, v43
.LBB2_1490:                             ;   Parent Loop BB2_47 Depth=1
                                        ;     Parent Loop BB2_1365 Depth=2
                                        ;       Parent Loop BB2_1368 Depth=3
                                        ; =>      This Inner Loop Header: Depth=4
	v_add_co_u32_e32 v22, vcc, v19, v10
	v_addc_co_u32_e32 v23, vcc, v28, v11, vcc
	flat_load_ushort v24, v[22:23] glc slc
	flat_load_ushort v25, v[22:23] offset:128 glc slc
	flat_load_ushort v30, v[22:23] offset:256 glc slc
	;; [unrolled: 1-line block ×3, first 2 shown]
	v_add_co_u32_e32 v22, vcc, v19, v8
	v_addc_co_u32_e32 v23, vcc, v28, v9, vcc
	v_add_co_u32_e32 v10, vcc, v10, v5
	v_addc_co_u32_e32 v11, vcc, 0, v11, vcc
	v_add_co_u32_e32 v8, vcc, v8, v5
	v_sub_u32_e32 v16, v16, v62
	v_addc_co_u32_e32 v9, vcc, 0, v9, vcc
	v_cmp_gt_i32_e32 vcc, 1, v16
	s_or_b64 s[40:41], vcc, s[40:41]
	s_waitcnt vmcnt(0) lgkmcnt(0)
	flat_store_short v[22:23], v24 glc slc
	flat_store_short v[22:23], v25 offset:128 glc slc
	flat_store_short v[22:23], v30 offset:256 glc slc
	;; [unrolled: 1-line block ×3, first 2 shown]
	s_andn2_b64 exec, exec, s[40:41]
	s_cbranch_execnz .LBB2_1490
; %bb.1491:                             ;   in Loop: Header=BB2_1368 Depth=3
	s_or_b64 exec, exec, s[40:41]
.LBB2_1492:                             ;   in Loop: Header=BB2_1368 Depth=3
	s_or_b64 exec, exec, s[28:29]
	v_lshlrev_b32_e32 v8, 9, v17
	v_cmp_ne_u32_e32 vcc, v49, v8
	s_and_b64 exec, exec, vcc
	s_cbranch_execz .LBB2_1496
; %bb.1493:                             ;   in Loop: Header=BB2_1368 Depth=3
	v_lshlrev_b32_e32 v9, 6, v15
	v_sub_u32_e32 v9, v14, v9
	v_lshlrev_b32_e32 v10, 6, v16
	v_sub_u32_e32 v9, v9, v10
	v_ashrrev_i32_e32 v10, 31, v9
	v_lshrrev_b32_e32 v10, 26, v10
	v_add_u32_e32 v10, v9, v10
	v_and_b32_e32 v11, 0x7fffffc0, v10
	v_sub_u32_e32 v9, v9, v11
	v_lshlrev_b32_e32 v10, 1, v10
	v_and_b32_e32 v10, 0xffffff80, v10
	v_lshlrev_b32_e32 v9, 1, v9
	v_add3_u32 v9, v10, v9, v8
	v_sub_u32_e32 v8, v49, v9
	v_cmp_lt_i32_e32 vcc, 1, v8
	s_and_b64 exec, exec, vcc
	s_cbranch_execz .LBB2_1496
; %bb.1494:                             ;   in Loop: Header=BB2_1368 Depth=3
	v_add_u32_e32 v0, v9, v0
	v_ashrrev_i32_e32 v9, 31, v0
	s_mov_b64 s[28:29], 0
.LBB2_1495:                             ;   Parent Loop BB2_47 Depth=1
                                        ;     Parent Loop BB2_1365 Depth=2
                                        ;       Parent Loop BB2_1368 Depth=3
                                        ; =>      This Inner Loop Header: Depth=4
	v_add_co_u32_e32 v10, vcc, v42, v0
	v_addc_co_u32_e32 v11, vcc, v43, v9, vcc
	flat_load_ushort v14, v[10:11] glc slc
	v_add_co_u32_e32 v10, vcc, v44, v0
	v_addc_co_u32_e32 v11, vcc, v45, v9, vcc
	v_add_co_u32_e32 v0, vcc, v0, v34
	v_sub_u32_e32 v8, v8, v34
	v_addc_co_u32_e32 v9, vcc, 0, v9, vcc
	v_cmp_gt_i32_e32 vcc, 2, v8
	s_or_b64 s[28:29], vcc, s[28:29]
	s_waitcnt vmcnt(0) lgkmcnt(0)
	flat_store_short v[10:11], v14 glc slc
	s_andn2_b64 exec, exec, s[28:29]
	s_cbranch_execnz .LBB2_1495
.LBB2_1496:                             ;   in Loop: Header=BB2_1368 Depth=3
	s_or_b64 exec, exec, s[26:27]
.LBB2_1497:                             ;   in Loop: Header=BB2_1368 Depth=3
	v_cmp_lt_i32_e64 s[26:27], 0, v48
	s_and_saveexec_b64 s[28:29], s[10:11]
	s_cbranch_execz .LBB2_1516
.LBB2_1498:                             ;   in Loop: Header=BB2_1368 Depth=3
	s_and_saveexec_b64 s[40:41], s[56:57]
	s_xor_b64 s[40:41], exec, s[40:41]
	s_cbranch_execz .LBB2_1513
; %bb.1499:                             ;   in Loop: Header=BB2_1368 Depth=3
	s_and_saveexec_b64 s[88:89], s[16:17]
	s_cbranch_execz .LBB2_1512
; %bb.1500:                             ;   in Loop: Header=BB2_1368 Depth=3
	s_mov_b64 s[92:93], exec
	v_mbcnt_lo_u32_b32 v0, s92, 0
	v_mbcnt_hi_u32_b32 v0, s93, v0
	v_cmp_eq_u32_e32 vcc, 0, v0
	s_waitcnt vmcnt(0) lgkmcnt(0)
	buffer_wbinvl1_vol
	s_and_saveexec_b64 s[90:91], vcc
	s_cbranch_execz .LBB2_1502
; %bb.1501:                             ;   in Loop: Header=BB2_1368 Depth=3
	s_bcnt1_i32_b64 s92, s[92:93]
	v_mov_b32_e32 v8, s92
	v_mov_b32_e32 v9, v2
	ds_add_u64 v0, v[8:9]
	s_trap 2
.LBB2_1502:                             ;   in Loop: Header=BB2_1368 Depth=3
	s_or_b64 exec, exec, s[90:91]
	s_trap 2
	ds_read_b64 v[8:9], v0
	s_waitcnt lgkmcnt(0)
	v_add_co_u32_e32 v12, vcc, v12, v62
	v_addc_co_u32_e32 v13, vcc, 0, v13, vcc
	v_cmp_lt_u64_e32 vcc, v[8:9], v[12:13]
	s_and_saveexec_b64 s[90:91], vcc
	s_cbranch_execz .LBB2_1511
; %bb.1503:                             ;   in Loop: Header=BB2_1368 Depth=3
	s_mov_b32 s38, 0
	s_mov_b64 s[92:93], 0
                                        ; implicit-def: $sgpr94_sgpr95
                                        ; implicit-def: $sgpr30_sgpr31
	s_branch .LBB2_1505
.LBB2_1504:                             ;   in Loop: Header=BB2_1505 Depth=4
	s_or_b64 exec, exec, s[36:37]
	s_and_b64 vcc, exec, vcc
	s_or_b64 s[92:93], vcc, s[92:93]
	s_andn2_b64 s[94:95], s[94:95], exec
	s_and_b64 vcc, s[30:31], exec
	s_or_b64 s[94:95], s[94:95], vcc
	s_andn2_b64 exec, exec, s[92:93]
	s_cbranch_execz .LBB2_1509
.LBB2_1505:                             ;   Parent Loop BB2_47 Depth=1
                                        ;     Parent Loop BB2_1365 Depth=2
                                        ;       Parent Loop BB2_1368 Depth=3
                                        ; =>      This Inner Loop Header: Depth=4
	s_add_i32 s38, s38, 1
	s_cmpk_lg_i32 s38, 0x2710
	s_cselect_b64 s[34:35], -1, 0
	s_and_b64 vcc, exec, s[34:35]
	s_cbranch_vccz .LBB2_1507
; %bb.1506:                             ;   in Loop: Header=BB2_1505 Depth=4
	s_mov_b64 vcc, -1
	s_or_b64 s[30:31], s[30:31], exec
	s_and_saveexec_b64 s[36:37], s[34:35]
	s_cbranch_execz .LBB2_1504
	s_branch .LBB2_1508
.LBB2_1507:                             ;   in Loop: Header=BB2_1505 Depth=4
	s_trap 2
	ds_read_b64 v[8:9], v0
	s_andn2_b64 s[34:35], s[34:35], exec
	s_mov_b32 s38, 0
	s_waitcnt lgkmcnt(0)
	flat_load_dword v0, v[8:9] glc
	s_waitcnt vmcnt(0) lgkmcnt(0)
	buffer_wbinvl1_vol
	v_cmp_eq_u32_e32 vcc, 0, v0
	s_and_b64 vcc, vcc, exec
	s_or_b64 s[34:35], s[34:35], vcc
	s_mov_b64 vcc, -1
	s_or_b64 s[30:31], s[30:31], exec
	s_and_saveexec_b64 s[36:37], s[34:35]
	s_cbranch_execz .LBB2_1504
.LBB2_1508:                             ;   in Loop: Header=BB2_1505 Depth=4
	s_sleep 1
	s_trap 2
	ds_read_b64 v[8:9], v0
	s_waitcnt lgkmcnt(0)
	s_andn2_b64 s[30:31], s[30:31], exec
	v_cmp_ge_u64_e32 vcc, v[8:9], v[12:13]
	s_orn2_b64 vcc, vcc, exec
	s_branch .LBB2_1504
.LBB2_1509:                             ;   in Loop: Header=BB2_1368 Depth=3
	s_or_b64 exec, exec, s[92:93]
	s_and_saveexec_b64 s[92:93], s[94:95]
	s_xor_b64 s[92:93], exec, s[92:93]
	s_cbranch_execz .LBB2_1511
; %bb.1510:                             ;   in Loop: Header=BB2_1368 Depth=3
	ds_write_b32 v0, v18
	s_trap 2
.LBB2_1511:                             ;   in Loop: Header=BB2_1368 Depth=3
	s_or_b64 exec, exec, s[90:91]
	;;#ASMSTART
	s_wakeup
	;;#ASMEND
.LBB2_1512:                             ;   in Loop: Header=BB2_1368 Depth=3
	s_or_b64 exec, exec, s[88:89]
.LBB2_1513:                             ;   in Loop: Header=BB2_1368 Depth=3
	s_andn2_saveexec_b64 s[40:41], s[40:41]
	s_cbranch_execz .LBB2_1515
; %bb.1514:                             ;   in Loop: Header=BB2_1368 Depth=3
	s_waitcnt vmcnt(0) lgkmcnt(0)
	buffer_wbinvl1_vol
	s_barrier
.LBB2_1515:                             ;   in Loop: Header=BB2_1368 Depth=3
	s_or_b64 exec, exec, s[40:41]
.LBB2_1516:                             ;   in Loop: Header=BB2_1368 Depth=3
	s_or_b64 exec, exec, s[28:29]
	v_and_b32_e32 v0, 16, v60
	s_and_saveexec_b64 s[28:29], s[24:25]
	s_xor_b64 s[28:29], exec, s[28:29]
	s_cbranch_execz .LBB2_1520
; %bb.1517:                             ;   in Loop: Header=BB2_1368 Depth=3
	v_and_b32_e32 v8, 16, v60
	v_cmp_ne_u32_e32 vcc, 0, v8
	v_and_b32_e32 v0, 16, v60
	s_and_b64 s[40:41], vcc, s[26:27]
	s_and_saveexec_b64 s[26:27], s[40:41]
	s_cbranch_execz .LBB2_1519
; %bb.1518:                             ;   in Loop: Header=BB2_1368 Depth=3
	v_mov_b32_e32 v0, 1
	s_waitcnt vmcnt(0) lgkmcnt(0)
	buffer_wbinvl1_vol
.LBB2_1519:                             ;   in Loop: Header=BB2_1368 Depth=3
	s_or_b64 exec, exec, s[26:27]
.LBB2_1520:                             ;   in Loop: Header=BB2_1368 Depth=3
	s_andn2_saveexec_b64 s[26:27], s[28:29]
	s_cbranch_execz .LBB2_1539
; %bb.1521:                             ;   in Loop: Header=BB2_1368 Depth=3
	s_and_saveexec_b64 s[28:29], s[56:57]
	s_xor_b64 s[28:29], exec, s[28:29]
	s_cbranch_execz .LBB2_1536
; %bb.1522:                             ;   in Loop: Header=BB2_1368 Depth=3
	s_and_saveexec_b64 s[40:41], s[16:17]
	s_cbranch_execz .LBB2_1535
; %bb.1523:                             ;   in Loop: Header=BB2_1368 Depth=3
	s_mov_b64 s[90:91], exec
	v_mbcnt_lo_u32_b32 v8, s90, 0
	v_mbcnt_hi_u32_b32 v8, s91, v8
	v_cmp_eq_u32_e32 vcc, 0, v8
	;;#ASMSTART
	s_waitcnt lgkmcnt(0) vmcnt(0)
	;;#ASMEND
	s_and_saveexec_b64 s[88:89], vcc
	s_cbranch_execz .LBB2_1525
; %bb.1524:                             ;   in Loop: Header=BB2_1368 Depth=3
	s_bcnt1_i32_b64 s90, s[90:91]
	v_mov_b32_e32 v8, s90
	v_mov_b32_e32 v9, v2
	s_waitcnt lgkmcnt(0)
	ds_add_u64 v0, v[8:9]
	s_trap 2
.LBB2_1525:                             ;   in Loop: Header=BB2_1368 Depth=3
	s_or_b64 exec, exec, s[88:89]
	s_trap 2
	ds_read_b64 v[8:9], v0
	s_waitcnt lgkmcnt(0)
	v_add_co_u32_e32 v12, vcc, v12, v62
	v_addc_co_u32_e32 v13, vcc, 0, v13, vcc
	v_cmp_lt_u64_e32 vcc, v[8:9], v[12:13]
	s_and_saveexec_b64 s[88:89], vcc
	s_cbranch_execz .LBB2_1534
; %bb.1526:                             ;   in Loop: Header=BB2_1368 Depth=3
	s_mov_b32 s36, 0
	s_mov_b64 s[90:91], 0
                                        ; implicit-def: $sgpr92_sgpr93
                                        ; implicit-def: $sgpr94_sgpr95
	s_branch .LBB2_1528
.LBB2_1527:                             ;   in Loop: Header=BB2_1528 Depth=4
	s_or_b64 exec, exec, s[34:35]
	s_and_b64 vcc, exec, vcc
	s_or_b64 s[90:91], vcc, s[90:91]
	s_andn2_b64 s[92:93], s[92:93], exec
	s_and_b64 vcc, s[94:95], exec
	s_or_b64 s[92:93], s[92:93], vcc
	s_andn2_b64 exec, exec, s[90:91]
	s_cbranch_execz .LBB2_1532
.LBB2_1528:                             ;   Parent Loop BB2_47 Depth=1
                                        ;     Parent Loop BB2_1365 Depth=2
                                        ;       Parent Loop BB2_1368 Depth=3
                                        ; =>      This Inner Loop Header: Depth=4
	s_add_i32 s36, s36, 1
	s_cmpk_lg_i32 s36, 0x2710
	s_cselect_b64 s[30:31], -1, 0
	s_and_b64 vcc, exec, s[30:31]
	s_cbranch_vccz .LBB2_1530
; %bb.1529:                             ;   in Loop: Header=BB2_1528 Depth=4
	s_mov_b64 vcc, -1
	s_or_b64 s[94:95], s[94:95], exec
	s_and_saveexec_b64 s[34:35], s[30:31]
	s_cbranch_execz .LBB2_1527
	s_branch .LBB2_1531
.LBB2_1530:                             ;   in Loop: Header=BB2_1528 Depth=4
	s_trap 2
	ds_read_b64 v[8:9], v0
	s_andn2_b64 s[30:31], s[30:31], exec
	s_mov_b32 s36, 0
	s_waitcnt vmcnt(0) lgkmcnt(0)
	flat_load_dword v8, v[8:9] glc
	s_waitcnt vmcnt(0) lgkmcnt(0)
	buffer_wbinvl1_vol
	v_cmp_eq_u32_e32 vcc, 0, v8
	s_and_b64 vcc, vcc, exec
	s_or_b64 s[30:31], s[30:31], vcc
	s_mov_b64 vcc, -1
	s_or_b64 s[94:95], s[94:95], exec
	s_and_saveexec_b64 s[34:35], s[30:31]
	s_cbranch_execz .LBB2_1527
.LBB2_1531:                             ;   in Loop: Header=BB2_1528 Depth=4
	s_sleep 1
	s_trap 2
	ds_read_b64 v[8:9], v0
	s_waitcnt lgkmcnt(0)
	s_andn2_b64 s[94:95], s[94:95], exec
	v_cmp_ge_u64_e32 vcc, v[8:9], v[12:13]
	s_orn2_b64 vcc, vcc, exec
	s_branch .LBB2_1527
.LBB2_1532:                             ;   in Loop: Header=BB2_1368 Depth=3
	s_or_b64 exec, exec, s[90:91]
	s_and_saveexec_b64 s[90:91], s[92:93]
	s_xor_b64 s[90:91], exec, s[90:91]
	s_cbranch_execz .LBB2_1534
; %bb.1533:                             ;   in Loop: Header=BB2_1368 Depth=3
	ds_write_b32 v0, v18
	s_trap 2
.LBB2_1534:                             ;   in Loop: Header=BB2_1368 Depth=3
	s_or_b64 exec, exec, s[88:89]
	;;#ASMSTART
	s_wakeup
	;;#ASMEND
.LBB2_1535:                             ;   in Loop: Header=BB2_1368 Depth=3
	s_or_b64 exec, exec, s[40:41]
.LBB2_1536:                             ;   in Loop: Header=BB2_1368 Depth=3
	s_andn2_saveexec_b64 s[28:29], s[28:29]
	s_cbranch_execz .LBB2_1538
; %bb.1537:                             ;   in Loop: Header=BB2_1368 Depth=3
	;;#ASMSTART
	s_waitcnt lgkmcnt(0) vmcnt(0)
	;;#ASMEND
	s_waitcnt vmcnt(0) lgkmcnt(0)
	s_barrier
.LBB2_1538:                             ;   in Loop: Header=BB2_1368 Depth=3
	s_or_b64 exec, exec, s[28:29]
.LBB2_1539:                             ;   in Loop: Header=BB2_1368 Depth=3
	s_or_b64 exec, exec, s[26:27]
	v_cmp_ne_u32_e32 vcc, 0, v0
	s_xor_b64 s[26:27], s[12:13], -1
	s_and_b64 s[28:29], vcc, s[26:27]
	s_and_saveexec_b64 s[26:27], s[28:29]
	s_cbranch_execz .LBB2_1541
; %bb.1540:                             ;   in Loop: Header=BB2_1368 Depth=3
	s_waitcnt vmcnt(0)
	flat_store_dword v[46:47], v18
.LBB2_1541:                             ;   in Loop: Header=BB2_1368 Depth=3
	s_or_b64 exec, exec, s[26:27]
	v_and_b32_e32 v0, 48, v60
	v_cmp_ne_u32_e32 vcc, 0, v0
	s_and_saveexec_b64 s[26:27], vcc
	s_cbranch_execz .LBB2_1367
; %bb.1542:                             ;   in Loop: Header=BB2_1368 Depth=3
	v_add_co_u32_e32 v38, vcc, 2, v38
	v_addc_co_u32_e32 v39, vcc, 0, v39, vcc
	flat_store_dwordx2 v[20:21], v[38:39]
	s_branch .LBB2_1367
.LBB2_1543:                             ;   in Loop: Header=BB2_1365 Depth=2
	s_or_b64 exec, exec, s[76:77]
.LBB2_1544:                             ;   in Loop: Header=BB2_1365 Depth=2
	s_or_b64 exec, exec, s[42:43]
	v_cmp_gt_i32_e32 vcc, 2, v0
	s_and_saveexec_b64 s[28:29], vcc
	s_cbranch_execz .LBB2_1620
; %bb.1545:                             ;   in Loop: Header=BB2_1365 Depth=2
	v_cmp_eq_u32_e64 s[42:43], 0, v0
	s_mov_b64 s[40:41], 0
	s_branch .LBB2_1547
.LBB2_1546:                             ;   in Loop: Header=BB2_1547 Depth=3
	s_or_b64 exec, exec, s[26:27]
	v_add_u32_e32 v54, v52, v54
	s_mov_b64 s[42:43], 0
	s_andn2_b64 exec, exec, s[40:41]
	s_cbranch_execz .LBB2_1619
.LBB2_1547:                             ;   Parent Loop BB2_47 Depth=1
                                        ;     Parent Loop BB2_1365 Depth=2
                                        ; =>    This Loop Header: Depth=3
                                        ;         Child Loop BB2_1553 Depth 4
                                        ;         Child Loop BB2_1581 Depth 4
	;; [unrolled: 1-line block ×3, first 2 shown]
	v_sub_u32_e32 v0, v3, v54
	v_min_i32_e32 v52, v52, v0
	v_and_b32_e32 v0, 12, v60
	v_cmp_ne_u32_e32 vcc, 0, v0
	s_and_saveexec_b64 s[76:77], vcc
	s_cbranch_execz .LBB2_1573
; %bb.1548:                             ;   in Loop: Header=BB2_1547 Depth=3
	v_and_b32_e32 v0, 8, v60
	s_waitcnt vmcnt(0) lgkmcnt(0)
	v_add_co_u32_e32 v10, vcc, v26, v0
	v_addc_co_u32_e32 v11, vcc, 0, v27, vcc
	v_add_co_u32_e32 v8, vcc, 2, v38
	v_addc_co_u32_e32 v9, vcc, 0, v39, vcc
	v_cmp_lt_u64_e32 vcc, v[10:11], v[8:9]
	s_and_saveexec_b64 s[78:79], vcc
	s_cbranch_execz .LBB2_1560
; %bb.1549:                             ;   in Loop: Header=BB2_1547 Depth=3
	v_and_b32_e32 v10, 64, v60
	s_mov_b32 s50, 0
	v_cmp_eq_u32_e32 vcc, 0, v10
	s_mov_b64 s[88:89], 0
                                        ; implicit-def: $sgpr90_sgpr91
                                        ; implicit-def: $sgpr92_sgpr93
                                        ; implicit-def: $sgpr94_sgpr95
	s_branch .LBB2_1553
.LBB2_1550:                             ;   in Loop: Header=BB2_1553 Depth=4
	s_waitcnt vmcnt(0) lgkmcnt(0)
	v_add_co_u32_e64 v14, s[26:27], v26, v0
	v_addc_co_u32_e64 v15, s[26:27], 0, v27, s[26:27]
	v_cmp_ge_u64_e64 s[26:27], v[14:15], v[8:9]
	s_or_b64 s[36:37], s[36:37], exec
	s_orn2_b64 s[34:35], s[26:27], exec
.LBB2_1551:                             ;   in Loop: Header=BB2_1553 Depth=4
	s_or_b64 exec, exec, s[48:49]
	s_andn2_b64 s[26:27], s[94:95], exec
	s_and_b64 s[94:95], s[36:37], exec
	s_or_b64 s[94:95], s[26:27], s[94:95]
	s_andn2_b64 s[26:27], s[92:93], exec
	s_and_b64 s[92:93], s[34:35], exec
	s_or_b64 s[92:93], s[26:27], s[92:93]
.LBB2_1552:                             ;   in Loop: Header=BB2_1553 Depth=4
	s_or_b64 exec, exec, s[30:31]
	s_and_b64 s[26:27], exec, s[92:93]
	s_or_b64 s[88:89], s[26:27], s[88:89]
	s_andn2_b64 s[26:27], s[90:91], exec
	s_and_b64 s[90:91], s[94:95], exec
	s_or_b64 s[90:91], s[26:27], s[90:91]
	s_andn2_b64 exec, exec, s[88:89]
	s_cbranch_execz .LBB2_1557
.LBB2_1553:                             ;   Parent Loop BB2_47 Depth=1
                                        ;     Parent Loop BB2_1365 Depth=2
                                        ;       Parent Loop BB2_1547 Depth=3
                                        ; =>      This Inner Loop Header: Depth=4
	s_sleep 1
	s_waitcnt vmcnt(0) lgkmcnt(0)
	flat_load_dwordx2 v[26:27], v[20:21] glc
	s_or_b64 s[94:95], s[94:95], exec
	s_or_b64 s[92:93], s[92:93], exec
                                        ; implicit-def: $vgpr10
	s_and_saveexec_b64 s[30:31], vcc
	s_cbranch_execz .LBB2_1552
; %bb.1554:                             ;   in Loop: Header=BB2_1553 Depth=4
	s_cmpk_lt_i32 s50, 0x270f
	s_cselect_b64 s[38:39], -1, 0
	s_cmpk_gt_i32 s50, 0x270e
	s_mov_b64 s[34:35], -1
	s_cbranch_scc0 .LBB2_1556
; %bb.1555:                             ;   in Loop: Header=BB2_1553 Depth=4
	s_trap 2
	ds_read_b64 v[10:11], v0
	s_andn2_b64 s[38:39], s[38:39], exec
	s_mov_b32 s50, 0
	s_mov_b64 s[36:37], 0
	s_waitcnt vmcnt(0) lgkmcnt(0)
	flat_load_dword v10, v[10:11] glc
	s_waitcnt vmcnt(0) lgkmcnt(0)
	buffer_wbinvl1_vol
	v_cmp_eq_u32_e64 s[26:27], 0, v10
	s_and_b64 s[26:27], s[26:27], exec
	s_or_b64 s[38:39], s[38:39], s[26:27]
	s_and_saveexec_b64 s[48:49], s[38:39]
	s_cbranch_execz .LBB2_1551
	s_branch .LBB2_1550
.LBB2_1556:                             ;   in Loop: Header=BB2_1553 Depth=4
	s_add_i32 s50, s50, 1
	s_mov_b64 s[36:37], -1
                                        ; implicit-def: $vgpr10
	s_and_saveexec_b64 s[48:49], s[38:39]
	s_cbranch_execz .LBB2_1551
	s_branch .LBB2_1550
.LBB2_1557:                             ;   in Loop: Header=BB2_1547 Depth=3
	s_or_b64 exec, exec, s[88:89]
	s_xor_b64 s[26:27], s[90:91], -1
	s_and_saveexec_b64 s[88:89], s[26:27]
	s_xor_b64 s[26:27], exec, s[88:89]
	s_cbranch_execz .LBB2_1559
; %bb.1558:                             ;   in Loop: Header=BB2_1547 Depth=3
	v_or_b32_e32 v60, 64, v60
	s_waitcnt lgkmcnt(0)
	ds_write_b32 v0, v10
	s_trap 2
.LBB2_1559:                             ;   in Loop: Header=BB2_1547 Depth=3
	s_or_b64 exec, exec, s[26:27]
.LBB2_1560:                             ;   in Loop: Header=BB2_1547 Depth=3
	s_or_b64 exec, exec, s[78:79]
	v_and_b32_e32 v10, 0x108, v60
	v_cmp_ne_u32_e32 vcc, s65, v10
	;;#ASMSTART
	s_wakeup
	;;#ASMEND
                                        ; implicit-def: $vgpr10_vgpr11
	s_and_saveexec_b64 s[26:27], vcc
	s_xor_b64 s[26:27], exec, s[26:27]
; %bb.1561:                             ;   in Loop: Header=BB2_1547 Depth=3
	v_and_b32_e32 v10, 7, v38
	v_mov_b32_e32 v11, v2
                                        ; implicit-def: $vgpr38_vgpr39
; %bb.1562:                             ;   in Loop: Header=BB2_1547 Depth=3
	s_andn2_saveexec_b64 s[26:27], s[26:27]
	s_cbranch_execz .LBB2_1564
; %bb.1563:                             ;   in Loop: Header=BB2_1547 Depth=3
	buffer_load_dword v14, off, s[0:3], s33 offset:60 ; 4-byte Folded Reload
	buffer_load_dword v15, off, s[0:3], s33 offset:64 ; 4-byte Folded Reload
	;; [unrolled: 1-line block ×4, first 2 shown]
	v_and_b32_e32 v10, 7, v38
	v_ashrrev_i32_e32 v53, 31, v52
	s_waitcnt vmcnt(0)
	v_lshlrev_b64 v[16:17], 1, v[52:53]
	v_mov_b32_e32 v11, v2
	v_mad_u64_u32 v[14:15], s[78:79], v10, 24, v[14:15]
	flat_store_dwordx2 v[14:15], v[16:17] offset:8
.LBB2_1564:                             ;   in Loop: Header=BB2_1547 Depth=3
	s_or_b64 exec, exec, s[26:27]
	v_and_b32_e32 v14, 0x100, v60
	v_cmp_ne_u32_e32 vcc, 0, v14
	s_mov_b64 s[26:27], -1
                                        ; implicit-def: $vgpr38_vgpr39
	s_and_saveexec_b64 s[78:79], vcc
	s_cbranch_execz .LBB2_1568
; %bb.1565:                             ;   in Loop: Header=BB2_1547 Depth=3
	buffer_load_dword v14, off, s[0:3], s33 offset:60 ; 4-byte Folded Reload
	buffer_load_dword v15, off, s[0:3], s33 offset:64 ; 4-byte Folded Reload
	;; [unrolled: 1-line block ×4, first 2 shown]
                                        ; implicit-def: $vgpr38_vgpr39
	s_waitcnt vmcnt(0)
	v_mad_u64_u32 v[40:41], s[26:27], v10, 24, v[14:15]
	v_mov_b32_e32 v14, v41
	v_mad_u64_u32 v[14:15], s[26:27], v11, 24, v[14:15]
	v_mov_b32_e32 v41, v14
	flat_load_dword v14, v[40:41]
	s_waitcnt vmcnt(0) lgkmcnt(0)
	v_cmp_ne_u32_e32 vcc, 1, v14
	v_cmp_eq_u32_e64 s[26:27], 1, v14
	s_and_saveexec_b64 s[88:89], s[26:27]
	s_cbranch_execz .LBB2_1567
; %bb.1566:                             ;   in Loop: Header=BB2_1547 Depth=3
	flat_load_dword v14, v[40:41] offset:4 glc
	s_waitcnt vmcnt(0) lgkmcnt(0)
	v_ashrrev_i32_e32 v15, 31, v14
	v_lshrrev_b64 v[38:39], 1, v[14:15]
.LBB2_1567:                             ;   in Loop: Header=BB2_1547 Depth=3
	s_or_b64 exec, exec, s[88:89]
	s_orn2_b64 s[26:27], vcc, exec
.LBB2_1568:                             ;   in Loop: Header=BB2_1547 Depth=3
	s_or_b64 exec, exec, s[78:79]
	s_and_saveexec_b64 s[78:79], s[26:27]
	s_cbranch_execz .LBB2_1570
; %bb.1569:                             ;   in Loop: Header=BB2_1547 Depth=3
	v_ashrrev_i32_e32 v14, 31, v61
	v_mul_lo_u32 v11, v11, v61
	v_mul_lo_u32 v14, v10, v14
	v_mad_u64_u32 v[38:39], s[26:27], v10, v61, 0
	v_add3_u32 v39, v39, v14, v11
.LBB2_1570:                             ;   in Loop: Header=BB2_1547 Depth=3
	s_or_b64 exec, exec, s[78:79]
	v_cmp_eq_u32_e32 vcc, 0, v0
	v_mov_b32_e32 v0, 0xd0
	v_mov_b32_e32 v10, 0x88
	v_cndmask_b32_e32 v0, v0, v10, vcc
	v_lshlrev_b64 v[10:11], 1, v[38:39]
	v_add_u32_e32 v0, v0, v0
	v_add_co_u32_e32 v10, vcc, v6, v10
	v_addc_co_u32_e32 v11, vcc, v7, v11, vcc
	ds_write_b64 v0, v[10:11] offset:584
	v_and_b32_e32 v0, 0x2000, v60
	v_cmp_ne_u32_e32 vcc, 0, v0
	s_and_saveexec_b64 s[26:27], vcc
	s_cbranch_execz .LBB2_1572
; %bb.1571:                             ;   in Loop: Header=BB2_1547 Depth=3
	ds_read_b64 v[10:11], v0 offset:872
	s_waitcnt lgkmcnt(0)
	v_add_co_u32_e32 v10, vcc, 1, v10
	v_addc_co_u32_e32 v11, vcc, 0, v11, vcc
	ds_write_b64 v0, v[10:11] offset:872
.LBB2_1572:                             ;   in Loop: Header=BB2_1547 Depth=3
	s_or_b64 exec, exec, s[26:27]
	v_mov_b32_e32 v39, v9
	v_mov_b32_e32 v38, v8
.LBB2_1573:                             ;   in Loop: Header=BB2_1547 Depth=3
	s_or_b64 exec, exec, s[76:77]
	s_xor_b64 s[26:27], s[42:43], -1
	s_and_b64 s[26:27], exec, s[26:27]
	s_or_b64 s[40:41], s[26:27], s[40:41]
	s_and_saveexec_b64 s[26:27], s[10:11]
	s_cbranch_execz .LBB2_1592
; %bb.1574:                             ;   in Loop: Header=BB2_1547 Depth=3
	s_and_saveexec_b64 s[42:43], s[56:57]
	s_xor_b64 s[42:43], exec, s[42:43]
	s_cbranch_execz .LBB2_1589
; %bb.1575:                             ;   in Loop: Header=BB2_1547 Depth=3
	s_and_saveexec_b64 s[76:77], s[16:17]
	s_cbranch_execz .LBB2_1588
; %bb.1576:                             ;   in Loop: Header=BB2_1547 Depth=3
	s_mov_b64 s[88:89], exec
	v_mbcnt_lo_u32_b32 v0, s88, 0
	v_mbcnt_hi_u32_b32 v0, s89, v0
	v_cmp_eq_u32_e32 vcc, 0, v0
	s_waitcnt vmcnt(0) lgkmcnt(0)
	buffer_wbinvl1_vol
	s_and_saveexec_b64 s[78:79], vcc
	s_cbranch_execz .LBB2_1578
; %bb.1577:                             ;   in Loop: Header=BB2_1547 Depth=3
	s_bcnt1_i32_b64 s88, s[88:89]
	v_mov_b32_e32 v8, s88
	v_mov_b32_e32 v9, v2
	ds_add_u64 v0, v[8:9]
	s_trap 2
.LBB2_1578:                             ;   in Loop: Header=BB2_1547 Depth=3
	s_or_b64 exec, exec, s[78:79]
	s_trap 2
	ds_read_b64 v[8:9], v0
	s_waitcnt lgkmcnt(0)
	v_add_co_u32_e32 v12, vcc, v12, v62
	v_addc_co_u32_e32 v13, vcc, 0, v13, vcc
	v_cmp_lt_u64_e32 vcc, v[8:9], v[12:13]
	s_and_saveexec_b64 s[78:79], vcc
	s_cbranch_execz .LBB2_1587
; %bb.1579:                             ;   in Loop: Header=BB2_1547 Depth=3
	s_mov_b32 s34, 0
	s_mov_b64 s[88:89], 0
                                        ; implicit-def: $sgpr90_sgpr91
                                        ; implicit-def: $sgpr92_sgpr93
	s_branch .LBB2_1581
.LBB2_1580:                             ;   in Loop: Header=BB2_1581 Depth=4
	s_or_b64 exec, exec, s[30:31]
	s_and_b64 s[94:95], exec, vcc
	s_or_b64 s[88:89], s[94:95], s[88:89]
	s_andn2_b64 s[90:91], s[90:91], exec
	s_and_b64 s[94:95], s[92:93], exec
	s_or_b64 s[90:91], s[90:91], s[94:95]
	s_andn2_b64 exec, exec, s[88:89]
	s_cbranch_execz .LBB2_1585
.LBB2_1581:                             ;   Parent Loop BB2_47 Depth=1
                                        ;     Parent Loop BB2_1365 Depth=2
                                        ;       Parent Loop BB2_1547 Depth=3
                                        ; =>      This Inner Loop Header: Depth=4
	s_add_i32 s34, s34, 1
	s_cmpk_lg_i32 s34, 0x2710
	s_cselect_b64 s[94:95], -1, 0
	s_and_b64 vcc, exec, s[94:95]
	s_cbranch_vccz .LBB2_1583
; %bb.1582:                             ;   in Loop: Header=BB2_1581 Depth=4
	s_mov_b64 vcc, -1
	s_or_b64 s[92:93], s[92:93], exec
	s_and_saveexec_b64 s[30:31], s[94:95]
	s_cbranch_execz .LBB2_1580
	s_branch .LBB2_1584
.LBB2_1583:                             ;   in Loop: Header=BB2_1581 Depth=4
	s_trap 2
	ds_read_b64 v[8:9], v0
	s_andn2_b64 s[94:95], s[94:95], exec
	s_mov_b32 s34, 0
	s_waitcnt lgkmcnt(0)
	flat_load_dword v0, v[8:9] glc
	s_waitcnt vmcnt(0) lgkmcnt(0)
	buffer_wbinvl1_vol
	v_cmp_eq_u32_e32 vcc, 0, v0
	s_and_b64 vcc, vcc, exec
	s_or_b64 s[94:95], s[94:95], vcc
	s_mov_b64 vcc, -1
	s_or_b64 s[92:93], s[92:93], exec
	s_and_saveexec_b64 s[30:31], s[94:95]
	s_cbranch_execz .LBB2_1580
.LBB2_1584:                             ;   in Loop: Header=BB2_1581 Depth=4
	s_sleep 1
	s_trap 2
	ds_read_b64 v[8:9], v0
	s_waitcnt lgkmcnt(0)
	s_andn2_b64 s[92:93], s[92:93], exec
	v_cmp_ge_u64_e32 vcc, v[8:9], v[12:13]
	s_orn2_b64 vcc, vcc, exec
	s_branch .LBB2_1580
.LBB2_1585:                             ;   in Loop: Header=BB2_1547 Depth=3
	s_or_b64 exec, exec, s[88:89]
	s_and_saveexec_b64 s[88:89], s[90:91]
	s_xor_b64 s[88:89], exec, s[88:89]
	s_cbranch_execz .LBB2_1587
; %bb.1586:                             ;   in Loop: Header=BB2_1547 Depth=3
	ds_write_b32 v0, v18
	s_trap 2
.LBB2_1587:                             ;   in Loop: Header=BB2_1547 Depth=3
	s_or_b64 exec, exec, s[78:79]
	;;#ASMSTART
	s_wakeup
	;;#ASMEND
.LBB2_1588:                             ;   in Loop: Header=BB2_1547 Depth=3
	s_or_b64 exec, exec, s[76:77]
.LBB2_1589:                             ;   in Loop: Header=BB2_1547 Depth=3
	s_andn2_saveexec_b64 s[42:43], s[42:43]
	s_cbranch_execz .LBB2_1591
; %bb.1590:                             ;   in Loop: Header=BB2_1547 Depth=3
	s_waitcnt vmcnt(0) lgkmcnt(0)
	buffer_wbinvl1_vol
	s_barrier
.LBB2_1591:                             ;   in Loop: Header=BB2_1547 Depth=3
	s_or_b64 exec, exec, s[42:43]
.LBB2_1592:                             ;   in Loop: Header=BB2_1547 Depth=3
	s_or_b64 exec, exec, s[26:27]
	v_and_b32_e32 v0, 16, v60
	s_and_saveexec_b64 s[26:27], s[24:25]
	s_xor_b64 s[26:27], exec, s[26:27]
	s_cbranch_execz .LBB2_1596
; %bb.1593:                             ;   in Loop: Header=BB2_1547 Depth=3
	s_trap 2
	ds_read_b32 v0, v0
	v_cmp_lt_i32_e32 vcc, 0, v52
	v_and_b32_e32 v8, 16, v60
	s_waitcnt lgkmcnt(0)
	v_readfirstlane_b32 s42, v0
	s_cmp_eq_u32 s42, 0
	s_cselect_b64 s[42:43], -1, 0
	s_and_b64 s[42:43], vcc, s[42:43]
	v_cmp_ne_u32_e32 vcc, 0, v8
	v_and_b32_e32 v0, 16, v60
	s_and_b64 s[76:77], vcc, s[42:43]
	s_and_saveexec_b64 s[42:43], s[76:77]
	s_cbranch_execz .LBB2_1595
; %bb.1594:                             ;   in Loop: Header=BB2_1547 Depth=3
	v_mov_b32_e32 v0, 1
	s_waitcnt vmcnt(0)
	buffer_wbinvl1_vol
.LBB2_1595:                             ;   in Loop: Header=BB2_1547 Depth=3
	s_or_b64 exec, exec, s[42:43]
.LBB2_1596:                             ;   in Loop: Header=BB2_1547 Depth=3
	s_andn2_saveexec_b64 s[26:27], s[26:27]
	s_cbranch_execz .LBB2_1615
; %bb.1597:                             ;   in Loop: Header=BB2_1547 Depth=3
	s_and_saveexec_b64 s[42:43], s[56:57]
	s_xor_b64 s[42:43], exec, s[42:43]
	s_cbranch_execz .LBB2_1612
; %bb.1598:                             ;   in Loop: Header=BB2_1547 Depth=3
	s_and_saveexec_b64 s[76:77], s[16:17]
	s_cbranch_execz .LBB2_1611
; %bb.1599:                             ;   in Loop: Header=BB2_1547 Depth=3
	s_mov_b64 s[88:89], exec
	v_mbcnt_lo_u32_b32 v8, s88, 0
	v_mbcnt_hi_u32_b32 v8, s89, v8
	v_cmp_eq_u32_e32 vcc, 0, v8
	;;#ASMSTART
	s_waitcnt lgkmcnt(0) vmcnt(0)
	;;#ASMEND
	s_and_saveexec_b64 s[78:79], vcc
	s_cbranch_execz .LBB2_1601
; %bb.1600:                             ;   in Loop: Header=BB2_1547 Depth=3
	s_bcnt1_i32_b64 s88, s[88:89]
	v_mov_b32_e32 v8, s88
	v_mov_b32_e32 v9, v2
	s_waitcnt lgkmcnt(0)
	ds_add_u64 v0, v[8:9]
	s_trap 2
.LBB2_1601:                             ;   in Loop: Header=BB2_1547 Depth=3
	s_or_b64 exec, exec, s[78:79]
	s_trap 2
	ds_read_b64 v[8:9], v0
	s_waitcnt lgkmcnt(0)
	v_add_co_u32_e32 v12, vcc, v12, v62
	v_addc_co_u32_e32 v13, vcc, 0, v13, vcc
	v_cmp_lt_u64_e32 vcc, v[8:9], v[12:13]
	s_and_saveexec_b64 s[78:79], vcc
	s_cbranch_execz .LBB2_1610
; %bb.1602:                             ;   in Loop: Header=BB2_1547 Depth=3
	s_mov_b32 s34, 0
	s_mov_b64 s[88:89], 0
                                        ; implicit-def: $sgpr90_sgpr91
                                        ; implicit-def: $sgpr92_sgpr93
	s_branch .LBB2_1604
.LBB2_1603:                             ;   in Loop: Header=BB2_1604 Depth=4
	s_or_b64 exec, exec, s[30:31]
	s_and_b64 s[94:95], exec, vcc
	s_or_b64 s[88:89], s[94:95], s[88:89]
	s_andn2_b64 s[90:91], s[90:91], exec
	s_and_b64 s[94:95], s[92:93], exec
	s_or_b64 s[90:91], s[90:91], s[94:95]
	s_andn2_b64 exec, exec, s[88:89]
	s_cbranch_execz .LBB2_1608
.LBB2_1604:                             ;   Parent Loop BB2_47 Depth=1
                                        ;     Parent Loop BB2_1365 Depth=2
                                        ;       Parent Loop BB2_1547 Depth=3
                                        ; =>      This Inner Loop Header: Depth=4
	s_add_i32 s34, s34, 1
	s_cmpk_lg_i32 s34, 0x2710
	s_cselect_b64 s[94:95], -1, 0
	s_and_b64 vcc, exec, s[94:95]
	s_cbranch_vccz .LBB2_1606
; %bb.1605:                             ;   in Loop: Header=BB2_1604 Depth=4
	s_mov_b64 vcc, -1
	s_or_b64 s[92:93], s[92:93], exec
	s_and_saveexec_b64 s[30:31], s[94:95]
	s_cbranch_execz .LBB2_1603
	s_branch .LBB2_1607
.LBB2_1606:                             ;   in Loop: Header=BB2_1604 Depth=4
	s_trap 2
	ds_read_b64 v[8:9], v0
	s_andn2_b64 s[94:95], s[94:95], exec
	s_mov_b32 s34, 0
	s_waitcnt vmcnt(0) lgkmcnt(0)
	flat_load_dword v8, v[8:9] glc
	s_waitcnt vmcnt(0) lgkmcnt(0)
	buffer_wbinvl1_vol
	v_cmp_eq_u32_e32 vcc, 0, v8
	s_and_b64 vcc, vcc, exec
	s_or_b64 s[94:95], s[94:95], vcc
	s_mov_b64 vcc, -1
	s_or_b64 s[92:93], s[92:93], exec
	s_and_saveexec_b64 s[30:31], s[94:95]
	s_cbranch_execz .LBB2_1603
.LBB2_1607:                             ;   in Loop: Header=BB2_1604 Depth=4
	s_sleep 1
	s_trap 2
	ds_read_b64 v[8:9], v0
	s_waitcnt lgkmcnt(0)
	s_andn2_b64 s[92:93], s[92:93], exec
	v_cmp_ge_u64_e32 vcc, v[8:9], v[12:13]
	s_orn2_b64 vcc, vcc, exec
	s_branch .LBB2_1603
.LBB2_1608:                             ;   in Loop: Header=BB2_1547 Depth=3
	s_or_b64 exec, exec, s[88:89]
	s_and_saveexec_b64 s[88:89], s[90:91]
	s_xor_b64 s[88:89], exec, s[88:89]
	s_cbranch_execz .LBB2_1610
; %bb.1609:                             ;   in Loop: Header=BB2_1547 Depth=3
	ds_write_b32 v0, v18
	s_trap 2
.LBB2_1610:                             ;   in Loop: Header=BB2_1547 Depth=3
	s_or_b64 exec, exec, s[78:79]
	;;#ASMSTART
	s_wakeup
	;;#ASMEND
.LBB2_1611:                             ;   in Loop: Header=BB2_1547 Depth=3
	s_or_b64 exec, exec, s[76:77]
.LBB2_1612:                             ;   in Loop: Header=BB2_1547 Depth=3
	s_andn2_saveexec_b64 s[42:43], s[42:43]
	s_cbranch_execz .LBB2_1614
; %bb.1613:                             ;   in Loop: Header=BB2_1547 Depth=3
	;;#ASMSTART
	s_waitcnt lgkmcnt(0) vmcnt(0)
	;;#ASMEND
	s_waitcnt vmcnt(0) lgkmcnt(0)
	s_barrier
.LBB2_1614:                             ;   in Loop: Header=BB2_1547 Depth=3
	s_or_b64 exec, exec, s[42:43]
.LBB2_1615:                             ;   in Loop: Header=BB2_1547 Depth=3
	s_or_b64 exec, exec, s[26:27]
	v_cmp_ne_u32_e32 vcc, 0, v0
	s_xor_b64 s[26:27], s[12:13], -1
	s_and_b64 s[42:43], vcc, s[26:27]
	s_and_saveexec_b64 s[26:27], s[42:43]
	s_cbranch_execz .LBB2_1617
; %bb.1616:                             ;   in Loop: Header=BB2_1547 Depth=3
	s_waitcnt vmcnt(0)
	flat_store_dword v[46:47], v18
.LBB2_1617:                             ;   in Loop: Header=BB2_1547 Depth=3
	s_or_b64 exec, exec, s[26:27]
	v_and_b32_e32 v0, 48, v60
	v_cmp_ne_u32_e32 vcc, 0, v0
	s_and_saveexec_b64 s[26:27], vcc
	s_cbranch_execz .LBB2_1546
; %bb.1618:                             ;   in Loop: Header=BB2_1547 Depth=3
	v_add_co_u32_e32 v38, vcc, 2, v38
	v_addc_co_u32_e32 v39, vcc, 0, v39, vcc
	flat_store_dwordx2 v[20:21], v[38:39]
	s_branch .LBB2_1546
.LBB2_1619:                             ;   in Loop: Header=BB2_1365 Depth=2
	s_or_b64 exec, exec, s[40:41]
.LBB2_1620:                             ;   in Loop: Header=BB2_1365 Depth=2
	s_or_b64 exec, exec, s[28:29]
	s_add_i32 s26, s75, 1
	s_cmp_eq_u32 s75, s80
	v_lshlrev_b32_e32 v33, 11, v62
	s_cbranch_scc1 .LBB2_1622
; %bb.1621:                             ;   in Loop: Header=BB2_1365 Depth=2
	s_mov_b32 s75, s26
	s_branch .LBB2_1365
.LBB2_1622:                             ;   in Loop: Header=BB2_47 Depth=1
	buffer_load_dword v16, off, s[0:3], s33 offset:128 ; 4-byte Folded Reload
	buffer_load_dword v17, off, s[0:3], s33 offset:132 ; 4-byte Folded Reload
	;; [unrolled: 1-line block ×4, first 2 shown]
	s_waitcnt vmcnt(0)
	v_mul_lo_u32 v3, v16, s82
	v_mul_lo_u32 v0, v17, s81
	v_mad_u64_u32 v[9:10], s[26:27], v16, s81, 0
	v_sub_co_u32_e32 v14, vcc, v14, v9
	v_add3_u32 v10, v10, v3, v0
	v_subb_co_u32_e32 v15, vcc, v15, v10, vcc
	v_cmp_lt_i64_e32 vcc, v[16:17], v[14:15]
	v_mov_b32_e32 v0, 0
	v_cndmask_b32_e32 v8, v14, v16, vcc
	v_max_i32_e32 v3, 0, v8
	v_add_u32_e32 v11, 31, v3
	v_lshrrev_b32_e32 v11, 1, v11
	v_and_b32_e32 v11, 0x3ffffff0, v11
	v_cmp_lt_i32_e32 vcc, 0, v8
	v_max_i32_e32 v40, s71, v11
	s_and_b64 s[26:27], s[72:73], vcc
	v_mov_b32_e32 v8, 0
	s_and_saveexec_b64 s[28:29], s[26:27]
	s_cbranch_execz .LBB2_1760
; %bb.1623:                             ;   in Loop: Header=BB2_47 Depth=1
	buffer_load_dword v14, off, s[0:3], s33 offset:96 ; 4-byte Folded Reload
	buffer_load_dword v15, off, s[0:3], s33 offset:100 ; 4-byte Folded Reload
	s_mov_b32 s75, 1
	s_mov_b64 s[42:43], -1
	v_mov_b32_e32 v8, 0
	s_mov_b64 s[40:41], 0
	s_waitcnt vmcnt(0)
	v_add_co_u32_e32 v9, vcc, v9, v14
	v_addc_co_u32_e32 v10, vcc, v10, v15, vcc
	v_lshlrev_b64 v[10:11], 1, v[9:10]
	s_branch .LBB2_1625
.LBB2_1624:                             ;   in Loop: Header=BB2_1625 Depth=2
	s_or_b64 exec, exec, s[26:27]
	v_add_u32_e32 v8, v40, v8
	v_cmp_ge_i32_e32 vcc, v8, v3
	s_xor_b64 s[26:27], s[42:43], -1
	s_or_b64 s[26:27], s[26:27], vcc
	s_and_b64 s[26:27], exec, s[26:27]
	s_or_b64 s[40:41], s[26:27], s[40:41]
	s_mov_b64 s[42:43], 0
	v_mov_b32_e32 v0, s75
	s_mov_b32 s75, 2
	s_andn2_b64 exec, exec, s[40:41]
	s_cbranch_execz .LBB2_1759
.LBB2_1625:                             ;   Parent Loop BB2_47 Depth=1
                                        ; =>  This Loop Header: Depth=2
                                        ;       Child Loop BB2_1633 Depth 3
                                        ;       Child Loop BB2_1657 Depth 3
	;; [unrolled: 1-line block ×9, first 2 shown]
	s_and_saveexec_b64 s[26:27], s[4:5]
	s_cbranch_execz .LBB2_1627
; %bb.1626:                             ;   in Loop: Header=BB2_1625 Depth=2
	s_trap 2
	ds_read_b128 v[14:17], v0
	v_ashrrev_i32_e32 v9, 31, v8
	s_waitcnt lgkmcnt(0)
	v_add_co_u32_e32 v0, vcc, v14, v10
	v_addc_co_u32_e32 v19, vcc, v15, v11, vcc
	v_lshlrev_b64 v[14:15], 1, v[8:9]
	v_add_co_u32_e32 v22, vcc, v0, v14
	v_addc_co_u32_e32 v23, vcc, v19, v15, vcc
	ds_write_b64 v0, v[22:23]
	v_add_co_u32_e32 v0, vcc, v16, v10
	v_addc_co_u32_e32 v9, vcc, v17, v11, vcc
	v_add_co_u32_e32 v0, vcc, v0, v14
	v_addc_co_u32_e32 v9, vcc, v9, v15, vcc
	v_cmp_ne_u64_e32 vcc, 0, v[16:17]
	v_cndmask_b32_e32 v15, 0, v9, vcc
	v_cndmask_b32_e32 v14, 0, v0, vcc
	ds_write_b64 v0, v[14:15]
.LBB2_1627:                             ;   in Loop: Header=BB2_1625 Depth=2
	s_or_b64 exec, exec, s[26:27]
	v_and_b32_e32 v0, 4, v60
	v_cmp_ne_u32_e32 vcc, 0, v0
	s_and_saveexec_b64 s[76:77], vcc
	s_cbranch_execz .LBB2_1649
; %bb.1628:                             ;   in Loop: Header=BB2_1625 Depth=2
	v_add_co_u32_e32 v48, vcc, 2, v38
	v_addc_co_u32_e32 v49, vcc, 0, v39, vcc
	s_waitcnt vmcnt(0) lgkmcnt(0)
	v_cmp_lt_u64_e32 vcc, v[26:27], v[48:49]
	s_and_saveexec_b64 s[78:79], vcc
	s_cbranch_execz .LBB2_1640
; %bb.1629:                             ;   in Loop: Header=BB2_1625 Depth=2
	v_and_b32_e32 v0, 64, v60
	s_mov_b32 s50, 0
	v_cmp_eq_u32_e32 vcc, 0, v0
	s_mov_b64 s[88:89], 0
                                        ; implicit-def: $sgpr90_sgpr91
                                        ; implicit-def: $sgpr92_sgpr93
                                        ; implicit-def: $sgpr94_sgpr95
	s_branch .LBB2_1633
.LBB2_1630:                             ;   in Loop: Header=BB2_1633 Depth=3
	s_waitcnt vmcnt(0) lgkmcnt(0)
	v_cmp_ge_u64_e64 s[26:27], v[26:27], v[48:49]
	s_or_b64 s[36:37], s[36:37], exec
	s_orn2_b64 s[34:35], s[26:27], exec
.LBB2_1631:                             ;   in Loop: Header=BB2_1633 Depth=3
	s_or_b64 exec, exec, s[48:49]
	s_andn2_b64 s[26:27], s[94:95], exec
	s_and_b64 s[94:95], s[36:37], exec
	s_or_b64 s[94:95], s[26:27], s[94:95]
	s_andn2_b64 s[26:27], s[92:93], exec
	s_and_b64 s[92:93], s[34:35], exec
	s_or_b64 s[92:93], s[26:27], s[92:93]
.LBB2_1632:                             ;   in Loop: Header=BB2_1633 Depth=3
	s_or_b64 exec, exec, s[30:31]
	s_and_b64 s[26:27], exec, s[92:93]
	s_or_b64 s[88:89], s[26:27], s[88:89]
	s_andn2_b64 s[26:27], s[90:91], exec
	s_and_b64 s[90:91], s[94:95], exec
	s_or_b64 s[90:91], s[26:27], s[90:91]
	s_andn2_b64 exec, exec, s[88:89]
	s_cbranch_execz .LBB2_1637
.LBB2_1633:                             ;   Parent Loop BB2_47 Depth=1
                                        ;     Parent Loop BB2_1625 Depth=2
                                        ; =>    This Inner Loop Header: Depth=3
	s_sleep 1
	s_waitcnt vmcnt(0) lgkmcnt(0)
	flat_load_dwordx2 v[26:27], v[20:21] glc
	s_or_b64 s[94:95], s[94:95], exec
	s_or_b64 s[92:93], s[92:93], exec
                                        ; implicit-def: $vgpr0
	s_and_saveexec_b64 s[30:31], vcc
	s_cbranch_execz .LBB2_1632
; %bb.1634:                             ;   in Loop: Header=BB2_1633 Depth=3
	s_cmpk_lt_i32 s50, 0x270f
	s_cselect_b64 s[38:39], -1, 0
	s_cmpk_gt_i32 s50, 0x270e
	s_mov_b64 s[34:35], -1
	s_cbranch_scc0 .LBB2_1636
; %bb.1635:                             ;   in Loop: Header=BB2_1633 Depth=3
	s_trap 2
	ds_read_b64 v[14:15], v0
	s_andn2_b64 s[38:39], s[38:39], exec
	s_mov_b32 s50, 0
	s_mov_b64 s[36:37], 0
	s_waitcnt vmcnt(0) lgkmcnt(0)
	flat_load_dword v0, v[14:15] glc
	s_waitcnt vmcnt(0) lgkmcnt(0)
	buffer_wbinvl1_vol
	v_cmp_eq_u32_e64 s[26:27], 0, v0
	s_and_b64 s[26:27], s[26:27], exec
	s_or_b64 s[38:39], s[38:39], s[26:27]
	s_and_saveexec_b64 s[48:49], s[38:39]
	s_cbranch_execz .LBB2_1631
	s_branch .LBB2_1630
.LBB2_1636:                             ;   in Loop: Header=BB2_1633 Depth=3
	s_add_i32 s50, s50, 1
	s_mov_b64 s[36:37], -1
                                        ; implicit-def: $vgpr0
	s_and_saveexec_b64 s[48:49], s[38:39]
	s_cbranch_execz .LBB2_1631
	s_branch .LBB2_1630
.LBB2_1637:                             ;   in Loop: Header=BB2_1625 Depth=2
	s_or_b64 exec, exec, s[88:89]
	s_xor_b64 s[26:27], s[90:91], -1
	s_and_saveexec_b64 s[88:89], s[26:27]
	s_xor_b64 s[26:27], exec, s[88:89]
	s_cbranch_execz .LBB2_1639
; %bb.1638:                             ;   in Loop: Header=BB2_1625 Depth=2
	v_or_b32_e32 v60, 64, v60
	s_waitcnt lgkmcnt(0)
	ds_write_b32 v0, v0
	s_trap 2
.LBB2_1639:                             ;   in Loop: Header=BB2_1625 Depth=2
	s_or_b64 exec, exec, s[26:27]
.LBB2_1640:                             ;   in Loop: Header=BB2_1625 Depth=2
	s_or_b64 exec, exec, s[78:79]
	v_and_b32_e32 v0, 0x100, v60
	v_cmp_ne_u32_e32 vcc, 0, v0
	v_and_b32_e32 v0, 7, v38
	s_mov_b64 s[26:27], -1
	;;#ASMSTART
	s_wakeup
	;;#ASMEND
                                        ; implicit-def: $vgpr38_vgpr39
	s_and_saveexec_b64 s[78:79], vcc
	s_cbranch_execz .LBB2_1644
; %bb.1641:                             ;   in Loop: Header=BB2_1625 Depth=2
	buffer_load_dword v14, off, s[0:3], s33 offset:60 ; 4-byte Folded Reload
	buffer_load_dword v15, off, s[0:3], s33 offset:64 ; 4-byte Folded Reload
	;; [unrolled: 1-line block ×4, first 2 shown]
                                        ; implicit-def: $vgpr38_vgpr39
	s_waitcnt vmcnt(0)
	v_mad_u64_u32 v[50:51], s[26:27], v0, 24, v[14:15]
	flat_load_dword v9, v[50:51]
	s_waitcnt vmcnt(0) lgkmcnt(0)
	v_cmp_ne_u32_e32 vcc, 1, v9
	v_cmp_eq_u32_e64 s[26:27], 1, v9
	s_and_saveexec_b64 s[88:89], s[26:27]
	s_cbranch_execz .LBB2_1643
; %bb.1642:                             ;   in Loop: Header=BB2_1625 Depth=2
	flat_load_dword v14, v[50:51] offset:4 glc
	s_waitcnt vmcnt(0) lgkmcnt(0)
	v_ashrrev_i32_e32 v15, 31, v14
	v_lshrrev_b64 v[38:39], 1, v[14:15]
.LBB2_1643:                             ;   in Loop: Header=BB2_1625 Depth=2
	s_or_b64 exec, exec, s[88:89]
	s_orn2_b64 s[26:27], vcc, exec
.LBB2_1644:                             ;   in Loop: Header=BB2_1625 Depth=2
	s_or_b64 exec, exec, s[78:79]
	s_and_saveexec_b64 s[78:79], s[26:27]
; %bb.1645:                             ;   in Loop: Header=BB2_1625 Depth=2
	v_mad_i64_i32 v[38:39], s[26:27], v0, v61, 0
; %bb.1646:                             ;   in Loop: Header=BB2_1625 Depth=2
	s_or_b64 exec, exec, s[78:79]
	v_lshlrev_b64 v[14:15], 1, v[38:39]
	v_add_co_u32_e32 v14, vcc, v6, v14
	v_addc_co_u32_e32 v15, vcc, v7, v15, vcc
	ds_write_b64 v0, v[14:15] offset:720
	v_and_b32_e32 v0, 0x2000, v60
	v_cmp_ne_u32_e32 vcc, 0, v0
	s_and_saveexec_b64 s[26:27], vcc
	s_cbranch_execz .LBB2_1648
; %bb.1647:                             ;   in Loop: Header=BB2_1625 Depth=2
	ds_read_b64 v[14:15], v0 offset:872
	s_waitcnt lgkmcnt(0)
	v_add_co_u32_e32 v14, vcc, 1, v14
	v_addc_co_u32_e32 v15, vcc, 0, v15, vcc
	ds_write_b64 v0, v[14:15] offset:872
.LBB2_1648:                             ;   in Loop: Header=BB2_1625 Depth=2
	s_or_b64 exec, exec, s[26:27]
	v_mov_b32_e32 v38, v48
	v_mov_b32_e32 v39, v49
.LBB2_1649:                             ;   in Loop: Header=BB2_1625 Depth=2
	s_or_b64 exec, exec, s[76:77]
	s_and_saveexec_b64 s[26:27], s[10:11]
	s_cbranch_execz .LBB2_1668
; %bb.1650:                             ;   in Loop: Header=BB2_1625 Depth=2
	s_and_saveexec_b64 s[76:77], s[56:57]
	s_xor_b64 s[76:77], exec, s[76:77]
	s_cbranch_execz .LBB2_1665
; %bb.1651:                             ;   in Loop: Header=BB2_1625 Depth=2
	s_and_saveexec_b64 s[78:79], s[16:17]
	s_cbranch_execz .LBB2_1664
; %bb.1652:                             ;   in Loop: Header=BB2_1625 Depth=2
	s_mov_b64 s[90:91], exec
	v_mbcnt_lo_u32_b32 v0, s90, 0
	v_mbcnt_hi_u32_b32 v0, s91, v0
	v_cmp_eq_u32_e32 vcc, 0, v0
	s_waitcnt vmcnt(0) lgkmcnt(0)
	buffer_wbinvl1_vol
	s_and_saveexec_b64 s[88:89], vcc
	s_cbranch_execz .LBB2_1654
; %bb.1653:                             ;   in Loop: Header=BB2_1625 Depth=2
	s_bcnt1_i32_b64 s90, s[90:91]
	v_mov_b32_e32 v14, s90
	v_mov_b32_e32 v15, v2
	ds_add_u64 v0, v[14:15]
	s_trap 2
.LBB2_1654:                             ;   in Loop: Header=BB2_1625 Depth=2
	s_or_b64 exec, exec, s[88:89]
	s_trap 2
	ds_read_b64 v[14:15], v0
	s_waitcnt lgkmcnt(0)
	v_add_co_u32_e32 v12, vcc, v12, v62
	v_addc_co_u32_e32 v13, vcc, 0, v13, vcc
	v_cmp_lt_u64_e32 vcc, v[14:15], v[12:13]
	s_and_saveexec_b64 s[88:89], vcc
	s_cbranch_execz .LBB2_1663
; %bb.1655:                             ;   in Loop: Header=BB2_1625 Depth=2
	s_mov_b32 s36, 0
	s_mov_b64 s[90:91], 0
                                        ; implicit-def: $sgpr92_sgpr93
                                        ; implicit-def: $sgpr94_sgpr95
	s_branch .LBB2_1657
.LBB2_1656:                             ;   in Loop: Header=BB2_1657 Depth=3
	s_or_b64 exec, exec, s[34:35]
	s_and_b64 vcc, exec, vcc
	s_or_b64 s[90:91], vcc, s[90:91]
	s_andn2_b64 s[92:93], s[92:93], exec
	s_and_b64 vcc, s[94:95], exec
	s_or_b64 s[92:93], s[92:93], vcc
	s_andn2_b64 exec, exec, s[90:91]
	s_cbranch_execz .LBB2_1661
.LBB2_1657:                             ;   Parent Loop BB2_47 Depth=1
                                        ;     Parent Loop BB2_1625 Depth=2
                                        ; =>    This Inner Loop Header: Depth=3
	s_add_i32 s36, s36, 1
	s_cmpk_lg_i32 s36, 0x2710
	s_cselect_b64 s[30:31], -1, 0
	s_and_b64 vcc, exec, s[30:31]
	s_cbranch_vccz .LBB2_1659
; %bb.1658:                             ;   in Loop: Header=BB2_1657 Depth=3
	s_mov_b64 vcc, -1
	s_or_b64 s[94:95], s[94:95], exec
	s_and_saveexec_b64 s[34:35], s[30:31]
	s_cbranch_execz .LBB2_1656
	s_branch .LBB2_1660
.LBB2_1659:                             ;   in Loop: Header=BB2_1657 Depth=3
	s_trap 2
	ds_read_b64 v[14:15], v0
	s_andn2_b64 s[30:31], s[30:31], exec
	s_mov_b32 s36, 0
	s_waitcnt lgkmcnt(0)
	flat_load_dword v0, v[14:15] glc
	s_waitcnt vmcnt(0) lgkmcnt(0)
	buffer_wbinvl1_vol
	v_cmp_eq_u32_e32 vcc, 0, v0
	s_and_b64 vcc, vcc, exec
	s_or_b64 s[30:31], s[30:31], vcc
	s_mov_b64 vcc, -1
	s_or_b64 s[94:95], s[94:95], exec
	s_and_saveexec_b64 s[34:35], s[30:31]
	s_cbranch_execz .LBB2_1656
.LBB2_1660:                             ;   in Loop: Header=BB2_1657 Depth=3
	s_sleep 1
	s_trap 2
	ds_read_b64 v[14:15], v0
	s_waitcnt lgkmcnt(0)
	s_andn2_b64 s[94:95], s[94:95], exec
	v_cmp_ge_u64_e32 vcc, v[14:15], v[12:13]
	s_orn2_b64 vcc, vcc, exec
	s_branch .LBB2_1656
.LBB2_1661:                             ;   in Loop: Header=BB2_1625 Depth=2
	s_or_b64 exec, exec, s[90:91]
	s_and_saveexec_b64 s[90:91], s[92:93]
	s_xor_b64 s[90:91], exec, s[90:91]
	s_cbranch_execz .LBB2_1663
; %bb.1662:                             ;   in Loop: Header=BB2_1625 Depth=2
	ds_write_b32 v0, v18
	s_trap 2
.LBB2_1663:                             ;   in Loop: Header=BB2_1625 Depth=2
	s_or_b64 exec, exec, s[88:89]
	;;#ASMSTART
	s_wakeup
	;;#ASMEND
.LBB2_1664:                             ;   in Loop: Header=BB2_1625 Depth=2
	s_or_b64 exec, exec, s[78:79]
.LBB2_1665:                             ;   in Loop: Header=BB2_1625 Depth=2
	s_andn2_saveexec_b64 s[76:77], s[76:77]
	s_cbranch_execz .LBB2_1667
; %bb.1666:                             ;   in Loop: Header=BB2_1625 Depth=2
	s_waitcnt vmcnt(0) lgkmcnt(0)
	buffer_wbinvl1_vol
	s_barrier
.LBB2_1667:                             ;   in Loop: Header=BB2_1625 Depth=2
	s_or_b64 exec, exec, s[76:77]
.LBB2_1668:                             ;   in Loop: Header=BB2_1625 Depth=2
	s_or_b64 exec, exec, s[26:27]
	s_trap 2
	ds_read_b32 v0, v0
	v_and_b32_e32 v9, 0x4000, v60
	v_cmp_ne_u32_e32 vcc, 0, v9
	s_xor_b64 s[26:27], s[6:7], -1
	s_and_b64 s[76:77], s[26:27], vcc
	s_and_saveexec_b64 s[26:27], s[76:77]
	s_cbranch_execz .LBB2_1687
; %bb.1669:                             ;   in Loop: Header=BB2_1625 Depth=2
	s_and_saveexec_b64 s[76:77], s[56:57]
	s_xor_b64 s[76:77], exec, s[76:77]
	s_cbranch_execz .LBB2_1684
; %bb.1670:                             ;   in Loop: Header=BB2_1625 Depth=2
	s_and_saveexec_b64 s[78:79], s[16:17]
	s_cbranch_execz .LBB2_1683
; %bb.1671:                             ;   in Loop: Header=BB2_1625 Depth=2
	s_mov_b64 s[90:91], exec
	v_mbcnt_lo_u32_b32 v9, s90, 0
	v_mbcnt_hi_u32_b32 v9, s91, v9
	v_cmp_eq_u32_e32 vcc, 0, v9
	s_waitcnt vmcnt(0) lgkmcnt(0)
	buffer_wbinvl1_vol
	s_and_saveexec_b64 s[88:89], vcc
	s_cbranch_execz .LBB2_1673
; %bb.1672:                             ;   in Loop: Header=BB2_1625 Depth=2
	s_bcnt1_i32_b64 s90, s[90:91]
	v_mov_b32_e32 v14, s90
	v_mov_b32_e32 v15, v2
	ds_add_u64 v0, v[14:15]
	s_trap 2
.LBB2_1673:                             ;   in Loop: Header=BB2_1625 Depth=2
	s_or_b64 exec, exec, s[88:89]
	s_trap 2
	ds_read_b64 v[14:15], v0
	s_waitcnt lgkmcnt(0)
	v_add_co_u32_e32 v12, vcc, v12, v62
	v_addc_co_u32_e32 v13, vcc, 0, v13, vcc
	v_cmp_lt_u64_e32 vcc, v[14:15], v[12:13]
	s_and_saveexec_b64 s[88:89], vcc
	s_cbranch_execz .LBB2_1682
; %bb.1674:                             ;   in Loop: Header=BB2_1625 Depth=2
	s_mov_b32 s36, 0
	s_mov_b64 s[90:91], 0
                                        ; implicit-def: $sgpr92_sgpr93
                                        ; implicit-def: $sgpr94_sgpr95
	s_branch .LBB2_1676
.LBB2_1675:                             ;   in Loop: Header=BB2_1676 Depth=3
	s_or_b64 exec, exec, s[34:35]
	s_and_b64 vcc, exec, vcc
	s_or_b64 s[90:91], vcc, s[90:91]
	s_andn2_b64 s[92:93], s[92:93], exec
	s_and_b64 vcc, s[94:95], exec
	s_or_b64 s[92:93], s[92:93], vcc
	s_andn2_b64 exec, exec, s[90:91]
	s_cbranch_execz .LBB2_1680
.LBB2_1676:                             ;   Parent Loop BB2_47 Depth=1
                                        ;     Parent Loop BB2_1625 Depth=2
                                        ; =>    This Inner Loop Header: Depth=3
	s_add_i32 s36, s36, 1
	s_cmpk_lg_i32 s36, 0x2710
	s_cselect_b64 s[30:31], -1, 0
	s_and_b64 vcc, exec, s[30:31]
	s_cbranch_vccz .LBB2_1678
; %bb.1677:                             ;   in Loop: Header=BB2_1676 Depth=3
	s_mov_b64 vcc, -1
	s_or_b64 s[94:95], s[94:95], exec
	s_and_saveexec_b64 s[34:35], s[30:31]
	s_cbranch_execz .LBB2_1675
	s_branch .LBB2_1679
.LBB2_1678:                             ;   in Loop: Header=BB2_1676 Depth=3
	s_trap 2
	ds_read_b64 v[14:15], v0
	s_andn2_b64 s[30:31], s[30:31], exec
	s_mov_b32 s36, 0
	s_waitcnt lgkmcnt(0)
	flat_load_dword v9, v[14:15] glc
	s_waitcnt vmcnt(0) lgkmcnt(0)
	buffer_wbinvl1_vol
	v_cmp_eq_u32_e32 vcc, 0, v9
	s_and_b64 vcc, vcc, exec
	s_or_b64 s[30:31], s[30:31], vcc
	s_mov_b64 vcc, -1
	s_or_b64 s[94:95], s[94:95], exec
	s_and_saveexec_b64 s[34:35], s[30:31]
	s_cbranch_execz .LBB2_1675
.LBB2_1679:                             ;   in Loop: Header=BB2_1676 Depth=3
	s_sleep 1
	s_trap 2
	ds_read_b64 v[14:15], v0
	s_waitcnt lgkmcnt(0)
	s_andn2_b64 s[94:95], s[94:95], exec
	v_cmp_ge_u64_e32 vcc, v[14:15], v[12:13]
	s_orn2_b64 vcc, vcc, exec
	s_branch .LBB2_1675
.LBB2_1680:                             ;   in Loop: Header=BB2_1625 Depth=2
	s_or_b64 exec, exec, s[90:91]
	s_and_saveexec_b64 s[90:91], s[92:93]
	s_xor_b64 s[90:91], exec, s[90:91]
	s_cbranch_execz .LBB2_1682
; %bb.1681:                             ;   in Loop: Header=BB2_1625 Depth=2
	ds_write_b32 v0, v18
	s_trap 2
.LBB2_1682:                             ;   in Loop: Header=BB2_1625 Depth=2
	s_or_b64 exec, exec, s[88:89]
	;;#ASMSTART
	s_wakeup
	;;#ASMEND
.LBB2_1683:                             ;   in Loop: Header=BB2_1625 Depth=2
	s_or_b64 exec, exec, s[78:79]
.LBB2_1684:                             ;   in Loop: Header=BB2_1625 Depth=2
	s_andn2_saveexec_b64 s[76:77], s[76:77]
	s_cbranch_execz .LBB2_1686
; %bb.1685:                             ;   in Loop: Header=BB2_1625 Depth=2
	s_waitcnt vmcnt(0) lgkmcnt(0)
	buffer_wbinvl1_vol
	s_barrier
.LBB2_1686:                             ;   in Loop: Header=BB2_1625 Depth=2
	s_or_b64 exec, exec, s[76:77]
.LBB2_1687:                             ;   in Loop: Header=BB2_1625 Depth=2
	s_or_b64 exec, exec, s[26:27]
	s_trap 2
	s_waitcnt lgkmcnt(0)
	ds_read_b64 v[48:49], v0
	v_sub_u32_e32 v9, v3, v8
	v_min_i32_e32 v40, v40, v9
	s_waitcnt lgkmcnt(0)
	v_cmp_eq_u64_e32 vcc, 0, v[48:49]
	s_cbranch_vccnz .LBB2_1695
; %bb.1688:                             ;   in Loop: Header=BB2_1625 Depth=2
	s_trap 2
	ds_read_b64 v[50:51], v0
	s_waitcnt lgkmcnt(0)
	v_cmp_eq_u64_e32 vcc, 0, v[50:51]
	s_cbranch_vccnz .LBB2_1695
; %bb.1689:                             ;   in Loop: Header=BB2_1625 Depth=2
	s_mov_b64 s[26:27], -1
	s_and_saveexec_b64 s[76:77], s[20:21]
	s_cbranch_execz .LBB2_1691
; %bb.1690:                             ;   in Loop: Header=BB2_1625 Depth=2
	ds_read_b32 v9, v0 offset:720
	s_waitcnt lgkmcnt(0)
	v_and_b32_e32 v9, 15, v9
	v_cmp_eq_u32_e32 vcc, 0, v9
	s_orn2_b64 s[26:27], vcc, exec
.LBB2_1691:                             ;   in Loop: Header=BB2_1625 Depth=2
	s_or_b64 exec, exec, s[76:77]
	s_and_saveexec_b64 s[76:77], s[18:19]
	s_cbranch_execz .LBB2_1693
; %bb.1692:                             ;   in Loop: Header=BB2_1625 Depth=2
	ds_read_b32 v9, v0 offset:784
	s_waitcnt lgkmcnt(0)
	v_and_b32_e32 v9, 15, v9
	v_cmp_eq_u32_e32 vcc, 0, v9
	s_and_b64 s[78:79], s[26:27], vcc
	s_andn2_b64 s[26:27], s[26:27], exec
	s_and_b64 s[78:79], s[78:79], exec
	s_or_b64 s[26:27], s[26:27], s[78:79]
.LBB2_1693:                             ;   in Loop: Header=BB2_1625 Depth=2
	s_or_b64 exec, exec, s[76:77]
	v_cmp_eq_u32_e32 vcc, 0, v0
	s_xor_b64 s[26:27], s[26:27], -1
	v_cndmask_b32_e32 v9, 0, v40, vcc
	v_cndmask_b32_e64 v0, 0, 1, s[26:27]
	v_lshlrev_b32_e32 v14, 1, v9
	s_mov_b64 s[78:79], -1
	v_cmp_ne_u32_e32 vcc, 0, v0
	v_mov_b32_e32 v0, 0
	s_cbranch_vccz .LBB2_1700
; %bb.1694:                             ;   in Loop: Header=BB2_1625 Depth=2
	v_mov_b32_e32 v15, v56
	s_and_saveexec_b64 s[26:27], s[78:79]
	s_cbranch_execnz .LBB2_1711
	s_branch .LBB2_1719
.LBB2_1695:                             ;   in Loop: Header=BB2_1625 Depth=2
	s_mov_b64 s[26:27], 0
	s_and_saveexec_b64 s[76:77], s[10:11]
	s_cbranch_execnz .LBB2_1720
.LBB2_1696:                             ;   in Loop: Header=BB2_1625 Depth=2
	s_or_b64 exec, exec, s[76:77]
	s_and_saveexec_b64 s[76:77], s[24:25]
	s_xor_b64 s[76:77], exec, s[76:77]
	s_cbranch_execz .LBB2_1738
.LBB2_1697:                             ;   in Loop: Header=BB2_1625 Depth=2
	v_and_b32_e32 v0, 16, v60
	v_cmp_ne_u32_e32 vcc, 0, v0
	s_and_b64 s[78:79], vcc, s[26:27]
	s_and_saveexec_b64 s[26:27], s[78:79]
	s_cbranch_execz .LBB2_1699
; %bb.1698:                             ;   in Loop: Header=BB2_1625 Depth=2
	s_waitcnt vmcnt(0) lgkmcnt(0)
	buffer_wbinvl1_vol
.LBB2_1699:                             ;   in Loop: Header=BB2_1625 Depth=2
	s_or_b64 exec, exec, s[26:27]
	s_andn2_saveexec_b64 s[26:27], s[76:77]
	s_cbranch_execz .LBB2_1757
	s_branch .LBB2_1739
.LBB2_1700:                             ;   in Loop: Header=BB2_1625 Depth=2
	buffer_load_dword v15, off, s[0:3], s33 offset:108 ; 4-byte Folded Reload
	v_ashrrev_i32_e32 v0, 31, v14
	v_lshrrev_b32_e32 v0, 21, v0
	v_add_u32_e32 v0, v14, v0
	v_ashrrev_i32_e32 v0, 11, v0
	s_waitcnt vmcnt(0)
	v_sub_u32_e32 v17, v0, v15
	v_cmp_lt_i32_e32 vcc, 0, v17
	s_and_saveexec_b64 s[26:27], vcc
	s_cbranch_execz .LBB2_1704
; %bb.1701:                             ;   in Loop: Header=BB2_1625 Depth=2
	buffer_load_dword v52, off, s[0:3], s33 offset:144 ; 4-byte Folded Reload
	buffer_load_dword v53, off, s[0:3], s33 offset:148 ; 4-byte Folded Reload
	s_mov_b64 s[76:77], 0
.LBB2_1702:                             ;   Parent Loop BB2_47 Depth=1
                                        ;     Parent Loop BB2_1625 Depth=2
                                        ; =>    This Inner Loop Header: Depth=3
	s_waitcnt vmcnt(1)
	v_add_co_u32_e32 v15, vcc, v48, v52
	s_waitcnt vmcnt(0)
	v_addc_co_u32_e32 v16, vcc, v49, v53, vcc
	global_load_dwordx4 v[22:25], v[15:16], off glc slc
	global_load_dwordx4 v[41:44], v[15:16], off offset:1024 glc slc
	v_add_co_u32_e32 v15, vcc, v50, v52
	v_addc_co_u32_e32 v16, vcc, v51, v53, vcc
	v_add_co_u32_e32 v52, vcc, v52, v33
	v_sub_u32_e32 v17, v17, v62
	v_addc_co_u32_e32 v53, vcc, 0, v53, vcc
	v_cmp_gt_i32_e32 vcc, 1, v17
	s_or_b64 s[76:77], vcc, s[76:77]
	s_waitcnt vmcnt(1)
	global_store_dwordx4 v[15:16], v[22:25], off glc slc
	s_waitcnt vmcnt(1)
	global_store_dwordx4 v[15:16], v[41:44], off offset:1024 glc slc
	s_andn2_b64 exec, exec, s[76:77]
	s_cbranch_execnz .LBB2_1702
; %bb.1703:                             ;   in Loop: Header=BB2_1625 Depth=2
	s_or_b64 exec, exec, s[76:77]
.LBB2_1704:                             ;   in Loop: Header=BB2_1625 Depth=2
	s_or_b64 exec, exec, s[26:27]
	v_lshlrev_b32_e32 v16, 11, v0
	v_cmp_ne_u32_e32 vcc, v14, v16
	s_mov_b64 s[78:79], 0
	v_mov_b32_e32 v0, 0
                                        ; implicit-def: $vgpr15
	s_and_saveexec_b64 s[76:77], vcc
	s_cbranch_execz .LBB2_1710
; %bb.1705:                             ;   in Loop: Header=BB2_1625 Depth=2
	buffer_load_dword v15, off, s[0:3], s33 offset:116 ; 4-byte Folded Reload
	v_lshlrev_b32_e32 v0, 6, v17
	v_sub_u32_e32 v19, v14, v16
	s_waitcnt vmcnt(0)
	v_sub_u32_e32 v0, v15, v0
	v_ashrrev_i32_e32 v15, 31, v0
	v_lshrrev_b32_e32 v15, 26, v15
	v_add_u32_e32 v15, v0, v15
	v_ashrrev_i32_e32 v22, 6, v15
	v_and_b32_e32 v15, 0xffffffc0, v15
	v_sub_u32_e32 v15, v0, v15
	v_lshlrev_b32_e32 v0, 4, v15
	v_lshl_add_u32 v30, v22, 10, v0
	v_ashrrev_i32_e32 v0, 31, v19
	v_lshrrev_b32_e32 v0, 22, v0
	v_add_u32_e32 v0, v19, v0
	v_ashrrev_i32_e32 v23, 10, v0
	v_and_b32_e32 v0, 0xfffffc00, v0
	v_sub_u32_e32 v17, v19, v0
	v_cmp_lt_i32_e32 vcc, 15, v17
	v_sub_u32_e32 v28, v19, v30
	v_addc_co_u32_e64 v19, s[26:27], 0, v23, vcc
	v_sub_u32_e32 v19, v19, v22
	v_cmp_lt_i32_e64 s[26:27], 15, v28
	s_and_saveexec_b64 s[78:79], s[26:27]
	s_cbranch_execz .LBB2_1709
; %bb.1706:                             ;   in Loop: Header=BB2_1625 Depth=2
	v_add_u32_e32 v30, v30, v16
	v_ashrrev_i32_e32 v32, 31, v30
	s_mov_b64 s[88:89], 0
.LBB2_1707:                             ;   Parent Loop BB2_47 Depth=1
                                        ;     Parent Loop BB2_1625 Depth=2
                                        ; =>    This Inner Loop Header: Depth=3
	v_add_co_u32_e64 v22, s[26:27], v48, v30
	v_addc_co_u32_e64 v23, s[26:27], v49, v32, s[26:27]
	global_load_dwordx4 v[22:25], v[22:23], off glc slc
	v_add_co_u32_e64 v36, s[26:27], v50, v30
	v_addc_co_u32_e64 v37, s[26:27], v51, v32, s[26:27]
	v_add_co_u32_e64 v30, s[26:27], v30, v4
	v_sub_u32_e32 v28, v28, v4
	v_addc_co_u32_e64 v32, s[26:27], 0, v32, s[26:27]
	v_cmp_gt_i32_e64 s[26:27], 16, v28
	v_sub_u32_e32 v19, v19, v62
	s_or_b64 s[88:89], s[26:27], s[88:89]
	s_waitcnt vmcnt(0)
	global_store_dwordx4 v[36:37], v[22:25], off glc slc
	s_andn2_b64 exec, exec, s[88:89]
	s_cbranch_execnz .LBB2_1707
; %bb.1708:                             ;   in Loop: Header=BB2_1625 Depth=2
	s_or_b64 exec, exec, s[88:89]
.LBB2_1709:                             ;   in Loop: Header=BB2_1625 Depth=2
	s_or_b64 exec, exec, s[78:79]
	v_and_b32_e32 v14, 14, v14
	v_sub_u32_e32 v22, v17, v14
	v_cndmask_b32_e32 v22, 0, v22, vcc
	v_cndmask_b32_e32 v14, v17, v14, vcc
	v_cmp_lt_i32_e32 vcc, 0, v19
	v_add3_u32 v0, v0, v16, v22
	v_cndmask_b32_e32 v16, 0, v62, vcc
	v_sub_u32_e32 v16, v16, v19
	v_cmp_ne_u32_e32 vcc, 0, v14
	v_lshl_add_u32 v15, v16, 6, v15
	s_and_b64 s[78:79], vcc, exec
.LBB2_1710:                             ;   in Loop: Header=BB2_1625 Depth=2
	s_or_b64 exec, exec, s[76:77]
	s_and_saveexec_b64 s[26:27], s[78:79]
	s_cbranch_execz .LBB2_1719
.LBB2_1711:                             ;   in Loop: Header=BB2_1625 Depth=2
	v_ashrrev_i32_e32 v16, 31, v15
	v_ashrrev_i32_e32 v17, 31, v14
	v_lshrrev_b32_e32 v16, 26, v16
	v_lshrrev_b32_e32 v17, 23, v17
	v_add_u32_e32 v28, v15, v16
	v_add_u32_e32 v17, v14, v17
	v_ashrrev_i32_e32 v16, 6, v28
	v_ashrrev_i32_e32 v19, 9, v17
	v_sub_u32_e32 v17, v19, v16
	v_cmp_lt_i32_e32 vcc, 0, v17
	s_and_saveexec_b64 s[76:77], vcc
	s_cbranch_execz .LBB2_1715
; %bb.1712:                             ;   in Loop: Header=BB2_1625 Depth=2
	v_and_b32_e32 v22, 0x7fffffc0, v28
	v_sub_u32_e32 v22, v15, v22
	v_lshlrev_b32_e32 v22, 1, v22
	v_lshlrev_b32_e32 v23, 9, v16
	v_add3_u32 v28, v22, v0, v23
	v_mov_b32_e32 v53, v51
	v_mov_b32_e32 v55, v49
	v_ashrrev_i32_e32 v30, 31, v28
	s_mov_b64 s[78:79], 0
	v_mov_b32_e32 v52, v50
	v_mov_b32_e32 v54, v48
.LBB2_1713:                             ;   Parent Loop BB2_47 Depth=1
                                        ;     Parent Loop BB2_1625 Depth=2
                                        ; =>    This Inner Loop Header: Depth=3
	v_add_co_u32_e32 v22, vcc, v28, v54
	v_addc_co_u32_e32 v23, vcc, v30, v55, vcc
	flat_load_ushort v24, v[22:23] glc slc
	flat_load_ushort v25, v[22:23] offset:128 glc slc
	flat_load_ushort v32, v[22:23] offset:256 glc slc
	;; [unrolled: 1-line block ×3, first 2 shown]
	v_add_co_u32_e32 v22, vcc, v28, v52
	v_addc_co_u32_e32 v23, vcc, v30, v53, vcc
	v_add_co_u32_e32 v54, vcc, v54, v5
	v_addc_co_u32_e32 v55, vcc, 0, v55, vcc
	v_add_co_u32_e32 v52, vcc, v52, v5
	v_sub_u32_e32 v17, v17, v62
	v_addc_co_u32_e32 v53, vcc, 0, v53, vcc
	v_cmp_gt_i32_e32 vcc, 1, v17
	s_or_b64 s[78:79], vcc, s[78:79]
	s_waitcnt vmcnt(0) lgkmcnt(0)
	flat_store_short v[22:23], v24 glc slc
	flat_store_short v[22:23], v25 offset:128 glc slc
	flat_store_short v[22:23], v32 offset:256 glc slc
	;; [unrolled: 1-line block ×3, first 2 shown]
	s_andn2_b64 exec, exec, s[78:79]
	s_cbranch_execnz .LBB2_1713
; %bb.1714:                             ;   in Loop: Header=BB2_1625 Depth=2
	s_or_b64 exec, exec, s[78:79]
	v_lshlrev_b32_e32 v33, 11, v62
.LBB2_1715:                             ;   in Loop: Header=BB2_1625 Depth=2
	s_or_b64 exec, exec, s[76:77]
	v_lshlrev_b32_e32 v19, 9, v19
	v_cmp_ne_u32_e32 vcc, v14, v19
	s_and_b64 exec, exec, vcc
	s_cbranch_execz .LBB2_1719
; %bb.1716:                             ;   in Loop: Header=BB2_1625 Depth=2
	v_lshlrev_b32_e32 v16, 6, v16
	v_sub_u32_e32 v15, v15, v16
	v_lshlrev_b32_e32 v16, 6, v17
	v_sub_u32_e32 v15, v15, v16
	v_ashrrev_i32_e32 v16, 31, v15
	v_lshrrev_b32_e32 v16, 26, v16
	v_add_u32_e32 v16, v15, v16
	v_and_b32_e32 v17, 0x7fffffc0, v16
	v_sub_u32_e32 v15, v15, v17
	v_lshlrev_b32_e32 v16, 1, v16
	v_and_b32_e32 v16, 0xffffff80, v16
	v_lshlrev_b32_e32 v15, 1, v15
	v_add3_u32 v15, v16, v15, v19
	v_sub_u32_e32 v14, v14, v15
	v_cmp_lt_i32_e32 vcc, 1, v14
	s_and_b64 exec, exec, vcc
	s_cbranch_execz .LBB2_1719
; %bb.1717:                             ;   in Loop: Header=BB2_1625 Depth=2
	v_add_u32_e32 v0, v15, v0
	v_ashrrev_i32_e32 v15, 31, v0
	s_mov_b64 s[76:77], 0
.LBB2_1718:                             ;   Parent Loop BB2_47 Depth=1
                                        ;     Parent Loop BB2_1625 Depth=2
                                        ; =>    This Inner Loop Header: Depth=3
	v_add_co_u32_e32 v16, vcc, v48, v0
	v_addc_co_u32_e32 v17, vcc, v49, v15, vcc
	flat_load_ushort v19, v[16:17] glc slc
	v_add_co_u32_e32 v16, vcc, v50, v0
	v_addc_co_u32_e32 v17, vcc, v51, v15, vcc
	v_add_co_u32_e32 v0, vcc, v0, v34
	v_sub_u32_e32 v14, v14, v34
	v_addc_co_u32_e32 v15, vcc, 0, v15, vcc
	v_cmp_gt_i32_e32 vcc, 2, v14
	s_or_b64 s[76:77], vcc, s[76:77]
	s_waitcnt vmcnt(0) lgkmcnt(0)
	flat_store_short v[16:17], v19 glc slc
	s_andn2_b64 exec, exec, s[76:77]
	s_cbranch_execnz .LBB2_1718
.LBB2_1719:                             ;   in Loop: Header=BB2_1625 Depth=2
	s_or_b64 exec, exec, s[26:27]
	v_cmp_lt_i32_e64 s[26:27], 0, v9
	s_and_saveexec_b64 s[76:77], s[10:11]
	s_cbranch_execz .LBB2_1696
.LBB2_1720:                             ;   in Loop: Header=BB2_1625 Depth=2
	s_and_saveexec_b64 s[78:79], s[56:57]
	s_xor_b64 s[78:79], exec, s[78:79]
	s_cbranch_execz .LBB2_1735
; %bb.1721:                             ;   in Loop: Header=BB2_1625 Depth=2
	s_and_saveexec_b64 s[88:89], s[16:17]
	s_cbranch_execz .LBB2_1734
; %bb.1722:                             ;   in Loop: Header=BB2_1625 Depth=2
	s_mov_b64 s[92:93], exec
	v_mbcnt_lo_u32_b32 v0, s92, 0
	v_mbcnt_hi_u32_b32 v0, s93, v0
	v_cmp_eq_u32_e32 vcc, 0, v0
	s_waitcnt vmcnt(0) lgkmcnt(0)
	buffer_wbinvl1_vol
	s_and_saveexec_b64 s[90:91], vcc
	s_cbranch_execz .LBB2_1724
; %bb.1723:                             ;   in Loop: Header=BB2_1625 Depth=2
	s_bcnt1_i32_b64 s92, s[92:93]
	v_mov_b32_e32 v14, s92
	v_mov_b32_e32 v15, v2
	ds_add_u64 v0, v[14:15]
	s_trap 2
.LBB2_1724:                             ;   in Loop: Header=BB2_1625 Depth=2
	s_or_b64 exec, exec, s[90:91]
	s_trap 2
	ds_read_b64 v[14:15], v0
	s_waitcnt lgkmcnt(0)
	v_add_co_u32_e32 v12, vcc, v12, v62
	v_addc_co_u32_e32 v13, vcc, 0, v13, vcc
	v_cmp_lt_u64_e32 vcc, v[14:15], v[12:13]
	s_and_saveexec_b64 s[90:91], vcc
	s_cbranch_execz .LBB2_1733
; %bb.1725:                             ;   in Loop: Header=BB2_1625 Depth=2
	s_mov_b32 s38, 0
	s_mov_b64 s[92:93], 0
                                        ; implicit-def: $sgpr94_sgpr95
                                        ; implicit-def: $sgpr30_sgpr31
	s_branch .LBB2_1727
.LBB2_1726:                             ;   in Loop: Header=BB2_1727 Depth=3
	s_or_b64 exec, exec, s[36:37]
	s_and_b64 vcc, exec, vcc
	s_or_b64 s[92:93], vcc, s[92:93]
	s_andn2_b64 s[94:95], s[94:95], exec
	s_and_b64 vcc, s[30:31], exec
	s_or_b64 s[94:95], s[94:95], vcc
	s_andn2_b64 exec, exec, s[92:93]
	s_cbranch_execz .LBB2_1731
.LBB2_1727:                             ;   Parent Loop BB2_47 Depth=1
                                        ;     Parent Loop BB2_1625 Depth=2
                                        ; =>    This Inner Loop Header: Depth=3
	s_add_i32 s38, s38, 1
	s_cmpk_lg_i32 s38, 0x2710
	s_cselect_b64 s[34:35], -1, 0
	s_and_b64 vcc, exec, s[34:35]
	s_cbranch_vccz .LBB2_1729
; %bb.1728:                             ;   in Loop: Header=BB2_1727 Depth=3
	s_mov_b64 vcc, -1
	s_or_b64 s[30:31], s[30:31], exec
	s_and_saveexec_b64 s[36:37], s[34:35]
	s_cbranch_execz .LBB2_1726
	s_branch .LBB2_1730
.LBB2_1729:                             ;   in Loop: Header=BB2_1727 Depth=3
	s_trap 2
	ds_read_b64 v[14:15], v0
	s_andn2_b64 s[34:35], s[34:35], exec
	s_mov_b32 s38, 0
	s_waitcnt lgkmcnt(0)
	flat_load_dword v0, v[14:15] glc
	s_waitcnt vmcnt(0) lgkmcnt(0)
	buffer_wbinvl1_vol
	v_cmp_eq_u32_e32 vcc, 0, v0
	s_and_b64 vcc, vcc, exec
	s_or_b64 s[34:35], s[34:35], vcc
	s_mov_b64 vcc, -1
	s_or_b64 s[30:31], s[30:31], exec
	s_and_saveexec_b64 s[36:37], s[34:35]
	s_cbranch_execz .LBB2_1726
.LBB2_1730:                             ;   in Loop: Header=BB2_1727 Depth=3
	s_sleep 1
	s_trap 2
	ds_read_b64 v[14:15], v0
	s_waitcnt lgkmcnt(0)
	s_andn2_b64 s[30:31], s[30:31], exec
	v_cmp_ge_u64_e32 vcc, v[14:15], v[12:13]
	s_orn2_b64 vcc, vcc, exec
	s_branch .LBB2_1726
.LBB2_1731:                             ;   in Loop: Header=BB2_1625 Depth=2
	s_or_b64 exec, exec, s[92:93]
	s_and_saveexec_b64 s[92:93], s[94:95]
	s_xor_b64 s[92:93], exec, s[92:93]
	s_cbranch_execz .LBB2_1733
; %bb.1732:                             ;   in Loop: Header=BB2_1625 Depth=2
	ds_write_b32 v0, v18
	s_trap 2
.LBB2_1733:                             ;   in Loop: Header=BB2_1625 Depth=2
	s_or_b64 exec, exec, s[90:91]
	;;#ASMSTART
	s_wakeup
	;;#ASMEND
.LBB2_1734:                             ;   in Loop: Header=BB2_1625 Depth=2
	s_or_b64 exec, exec, s[88:89]
.LBB2_1735:                             ;   in Loop: Header=BB2_1625 Depth=2
	s_andn2_saveexec_b64 s[78:79], s[78:79]
	s_cbranch_execz .LBB2_1737
; %bb.1736:                             ;   in Loop: Header=BB2_1625 Depth=2
	s_waitcnt vmcnt(0) lgkmcnt(0)
	buffer_wbinvl1_vol
	s_barrier
.LBB2_1737:                             ;   in Loop: Header=BB2_1625 Depth=2
	s_or_b64 exec, exec, s[78:79]
	s_or_b64 exec, exec, s[76:77]
	s_and_saveexec_b64 s[76:77], s[24:25]
	s_xor_b64 s[76:77], exec, s[76:77]
	s_cbranch_execnz .LBB2_1697
.LBB2_1738:                             ;   in Loop: Header=BB2_1625 Depth=2
	s_andn2_saveexec_b64 s[26:27], s[76:77]
	s_cbranch_execz .LBB2_1757
.LBB2_1739:                             ;   in Loop: Header=BB2_1625 Depth=2
	s_and_saveexec_b64 s[76:77], s[56:57]
	s_xor_b64 s[76:77], exec, s[76:77]
	s_cbranch_execz .LBB2_1754
; %bb.1740:                             ;   in Loop: Header=BB2_1625 Depth=2
	s_and_saveexec_b64 s[78:79], s[16:17]
	s_cbranch_execz .LBB2_1753
; %bb.1741:                             ;   in Loop: Header=BB2_1625 Depth=2
	s_mov_b64 s[90:91], exec
	v_mbcnt_lo_u32_b32 v0, s90, 0
	v_mbcnt_hi_u32_b32 v0, s91, v0
	v_cmp_eq_u32_e32 vcc, 0, v0
	;;#ASMSTART
	s_waitcnt lgkmcnt(0) vmcnt(0)
	;;#ASMEND
	s_and_saveexec_b64 s[88:89], vcc
	s_cbranch_execz .LBB2_1743
; %bb.1742:                             ;   in Loop: Header=BB2_1625 Depth=2
	s_bcnt1_i32_b64 s90, s[90:91]
	v_mov_b32_e32 v14, s90
	v_mov_b32_e32 v15, v2
	s_waitcnt lgkmcnt(0)
	ds_add_u64 v0, v[14:15]
	s_trap 2
.LBB2_1743:                             ;   in Loop: Header=BB2_1625 Depth=2
	s_or_b64 exec, exec, s[88:89]
	s_trap 2
	ds_read_b64 v[14:15], v0
	s_waitcnt lgkmcnt(0)
	v_add_co_u32_e32 v12, vcc, v12, v62
	v_addc_co_u32_e32 v13, vcc, 0, v13, vcc
	v_cmp_lt_u64_e32 vcc, v[14:15], v[12:13]
	s_and_saveexec_b64 s[88:89], vcc
	s_cbranch_execz .LBB2_1752
; %bb.1744:                             ;   in Loop: Header=BB2_1625 Depth=2
	s_mov_b32 s36, 0
	s_mov_b64 s[90:91], 0
                                        ; implicit-def: $sgpr92_sgpr93
                                        ; implicit-def: $sgpr94_sgpr95
	s_branch .LBB2_1746
.LBB2_1745:                             ;   in Loop: Header=BB2_1746 Depth=3
	s_or_b64 exec, exec, s[34:35]
	s_and_b64 vcc, exec, vcc
	s_or_b64 s[90:91], vcc, s[90:91]
	s_andn2_b64 s[92:93], s[92:93], exec
	s_and_b64 vcc, s[94:95], exec
	s_or_b64 s[92:93], s[92:93], vcc
	s_andn2_b64 exec, exec, s[90:91]
	s_cbranch_execz .LBB2_1750
.LBB2_1746:                             ;   Parent Loop BB2_47 Depth=1
                                        ;     Parent Loop BB2_1625 Depth=2
                                        ; =>    This Inner Loop Header: Depth=3
	s_add_i32 s36, s36, 1
	s_cmpk_lg_i32 s36, 0x2710
	s_cselect_b64 s[30:31], -1, 0
	s_and_b64 vcc, exec, s[30:31]
	s_cbranch_vccz .LBB2_1748
; %bb.1747:                             ;   in Loop: Header=BB2_1746 Depth=3
	s_mov_b64 vcc, -1
	s_or_b64 s[94:95], s[94:95], exec
	s_and_saveexec_b64 s[34:35], s[30:31]
	s_cbranch_execz .LBB2_1745
	s_branch .LBB2_1749
.LBB2_1748:                             ;   in Loop: Header=BB2_1746 Depth=3
	s_trap 2
	ds_read_b64 v[14:15], v0
	s_andn2_b64 s[30:31], s[30:31], exec
	s_mov_b32 s36, 0
	s_waitcnt vmcnt(0) lgkmcnt(0)
	flat_load_dword v0, v[14:15] glc
	s_waitcnt vmcnt(0) lgkmcnt(0)
	buffer_wbinvl1_vol
	v_cmp_eq_u32_e32 vcc, 0, v0
	s_and_b64 vcc, vcc, exec
	s_or_b64 s[30:31], s[30:31], vcc
	s_mov_b64 vcc, -1
	s_or_b64 s[94:95], s[94:95], exec
	s_and_saveexec_b64 s[34:35], s[30:31]
	s_cbranch_execz .LBB2_1745
.LBB2_1749:                             ;   in Loop: Header=BB2_1746 Depth=3
	s_sleep 1
	s_trap 2
	ds_read_b64 v[14:15], v0
	s_waitcnt lgkmcnt(0)
	s_andn2_b64 s[94:95], s[94:95], exec
	v_cmp_ge_u64_e32 vcc, v[14:15], v[12:13]
	s_orn2_b64 vcc, vcc, exec
	s_branch .LBB2_1745
.LBB2_1750:                             ;   in Loop: Header=BB2_1625 Depth=2
	s_or_b64 exec, exec, s[90:91]
	s_and_saveexec_b64 s[90:91], s[92:93]
	s_xor_b64 s[90:91], exec, s[90:91]
	s_cbranch_execz .LBB2_1752
; %bb.1751:                             ;   in Loop: Header=BB2_1625 Depth=2
	ds_write_b32 v0, v18
	s_trap 2
.LBB2_1752:                             ;   in Loop: Header=BB2_1625 Depth=2
	s_or_b64 exec, exec, s[88:89]
	;;#ASMSTART
	s_wakeup
	;;#ASMEND
.LBB2_1753:                             ;   in Loop: Header=BB2_1625 Depth=2
	s_or_b64 exec, exec, s[78:79]
.LBB2_1754:                             ;   in Loop: Header=BB2_1625 Depth=2
	s_andn2_saveexec_b64 s[76:77], s[76:77]
	s_cbranch_execz .LBB2_1756
; %bb.1755:                             ;   in Loop: Header=BB2_1625 Depth=2
	;;#ASMSTART
	s_waitcnt lgkmcnt(0) vmcnt(0)
	;;#ASMEND
	s_waitcnt vmcnt(0) lgkmcnt(0)
	s_barrier
.LBB2_1756:                             ;   in Loop: Header=BB2_1625 Depth=2
	s_or_b64 exec, exec, s[76:77]
.LBB2_1757:                             ;   in Loop: Header=BB2_1625 Depth=2
	s_or_b64 exec, exec, s[26:27]
	v_and_b32_e32 v0, 32, v60
	v_cmp_ne_u32_e32 vcc, 0, v0
	s_and_saveexec_b64 s[26:27], vcc
	s_cbranch_execz .LBB2_1624
; %bb.1758:                             ;   in Loop: Header=BB2_1625 Depth=2
	v_add_co_u32_e32 v38, vcc, 2, v38
	v_addc_co_u32_e32 v39, vcc, 0, v39, vcc
	flat_store_dwordx2 v[20:21], v[38:39]
	s_branch .LBB2_1624
.LBB2_1759:                             ;   in Loop: Header=BB2_47 Depth=1
	s_or_b64 exec, exec, s[40:41]
.LBB2_1760:                             ;   in Loop: Header=BB2_47 Depth=1
	s_or_b64 exec, exec, s[28:29]
	v_cmp_gt_i32_e32 vcc, 2, v0
	s_and_saveexec_b64 s[28:29], vcc
	s_cbranch_execz .LBB2_46
; %bb.1761:                             ;   in Loop: Header=BB2_47 Depth=1
	v_cmp_eq_u32_e64 s[42:43], 0, v0
	s_mov_b64 s[40:41], 0
	s_branch .LBB2_1763
.LBB2_1762:                             ;   in Loop: Header=BB2_1763 Depth=2
	s_or_b64 exec, exec, s[26:27]
	v_add_u32_e32 v8, v40, v8
	s_mov_b64 s[42:43], 0
	s_andn2_b64 exec, exec, s[40:41]
	s_cbranch_execz .LBB2_45
.LBB2_1763:                             ;   Parent Loop BB2_47 Depth=1
                                        ; =>  This Loop Header: Depth=2
                                        ;       Child Loop BB2_1769 Depth 3
                                        ;       Child Loop BB2_1793 Depth 3
	;; [unrolled: 1-line block ×3, first 2 shown]
	v_and_b32_e32 v0, 4, v60
	v_cmp_ne_u32_e32 vcc, 0, v0
	s_and_saveexec_b64 s[76:77], vcc
	s_cbranch_execz .LBB2_1785
; %bb.1764:                             ;   in Loop: Header=BB2_1763 Depth=2
	v_add_co_u32_e32 v9, vcc, 2, v38
	v_addc_co_u32_e32 v10, vcc, 0, v39, vcc
	s_waitcnt vmcnt(0) lgkmcnt(0)
	v_cmp_lt_u64_e32 vcc, v[26:27], v[9:10]
	s_and_saveexec_b64 s[78:79], vcc
	s_cbranch_execz .LBB2_1776
; %bb.1765:                             ;   in Loop: Header=BB2_1763 Depth=2
	v_and_b32_e32 v0, 64, v60
	s_mov_b32 s75, 0
	v_cmp_eq_u32_e32 vcc, 0, v0
	s_mov_b64 s[88:89], 0
                                        ; implicit-def: $sgpr90_sgpr91
                                        ; implicit-def: $sgpr92_sgpr93
                                        ; implicit-def: $sgpr94_sgpr95
	s_branch .LBB2_1769
.LBB2_1766:                             ;   in Loop: Header=BB2_1769 Depth=3
	s_waitcnt vmcnt(0) lgkmcnt(0)
	v_cmp_ge_u64_e64 s[26:27], v[26:27], v[9:10]
	s_or_b64 s[36:37], s[36:37], exec
	s_orn2_b64 s[34:35], s[26:27], exec
.LBB2_1767:                             ;   in Loop: Header=BB2_1769 Depth=3
	s_or_b64 exec, exec, s[48:49]
	s_andn2_b64 s[26:27], s[94:95], exec
	s_and_b64 s[94:95], s[36:37], exec
	s_or_b64 s[94:95], s[26:27], s[94:95]
	s_andn2_b64 s[26:27], s[92:93], exec
	s_and_b64 s[92:93], s[34:35], exec
	s_or_b64 s[92:93], s[26:27], s[92:93]
.LBB2_1768:                             ;   in Loop: Header=BB2_1769 Depth=3
	s_or_b64 exec, exec, s[30:31]
	s_and_b64 s[26:27], exec, s[92:93]
	s_or_b64 s[88:89], s[26:27], s[88:89]
	s_andn2_b64 s[26:27], s[90:91], exec
	s_and_b64 s[90:91], s[94:95], exec
	s_or_b64 s[90:91], s[26:27], s[90:91]
	s_andn2_b64 exec, exec, s[88:89]
	s_cbranch_execz .LBB2_1773
.LBB2_1769:                             ;   Parent Loop BB2_47 Depth=1
                                        ;     Parent Loop BB2_1763 Depth=2
                                        ; =>    This Inner Loop Header: Depth=3
	s_sleep 1
	s_waitcnt vmcnt(0) lgkmcnt(0)
	flat_load_dwordx2 v[26:27], v[20:21] glc
	s_or_b64 s[94:95], s[94:95], exec
	s_or_b64 s[92:93], s[92:93], exec
                                        ; implicit-def: $vgpr0
	s_and_saveexec_b64 s[30:31], vcc
	s_cbranch_execz .LBB2_1768
; %bb.1770:                             ;   in Loop: Header=BB2_1769 Depth=3
	s_cmpk_lt_i32 s75, 0x270f
	s_cselect_b64 s[38:39], -1, 0
	s_cmpk_gt_i32 s75, 0x270e
	s_mov_b64 s[34:35], -1
	s_cbranch_scc0 .LBB2_1772
; %bb.1771:                             ;   in Loop: Header=BB2_1769 Depth=3
	s_trap 2
	ds_read_b64 v[14:15], v0
	s_andn2_b64 s[38:39], s[38:39], exec
	s_mov_b32 s75, 0
	s_mov_b64 s[36:37], 0
	s_waitcnt vmcnt(0) lgkmcnt(0)
	flat_load_dword v0, v[14:15] glc
	s_waitcnt vmcnt(0) lgkmcnt(0)
	buffer_wbinvl1_vol
	v_cmp_eq_u32_e64 s[26:27], 0, v0
	s_and_b64 s[26:27], s[26:27], exec
	s_or_b64 s[38:39], s[38:39], s[26:27]
	s_and_saveexec_b64 s[48:49], s[38:39]
	s_cbranch_execz .LBB2_1767
	s_branch .LBB2_1766
.LBB2_1772:                             ;   in Loop: Header=BB2_1769 Depth=3
	s_add_i32 s75, s75, 1
	s_mov_b64 s[36:37], -1
                                        ; implicit-def: $vgpr0
	s_and_saveexec_b64 s[48:49], s[38:39]
	s_cbranch_execz .LBB2_1767
	s_branch .LBB2_1766
.LBB2_1773:                             ;   in Loop: Header=BB2_1763 Depth=2
	s_or_b64 exec, exec, s[88:89]
	s_xor_b64 s[26:27], s[90:91], -1
	s_and_saveexec_b64 s[88:89], s[26:27]
	s_xor_b64 s[26:27], exec, s[88:89]
	s_cbranch_execz .LBB2_1775
; %bb.1774:                             ;   in Loop: Header=BB2_1763 Depth=2
	v_or_b32_e32 v60, 64, v60
	s_waitcnt lgkmcnt(0)
	ds_write_b32 v0, v0
	s_trap 2
.LBB2_1775:                             ;   in Loop: Header=BB2_1763 Depth=2
	s_or_b64 exec, exec, s[26:27]
.LBB2_1776:                             ;   in Loop: Header=BB2_1763 Depth=2
	s_or_b64 exec, exec, s[78:79]
	v_and_b32_e32 v0, 0x100, v60
	v_cmp_ne_u32_e32 vcc, 0, v0
	v_and_b32_e32 v0, 7, v38
	s_mov_b64 s[26:27], -1
	;;#ASMSTART
	s_wakeup
	;;#ASMEND
                                        ; implicit-def: $vgpr38_vgpr39
	s_and_saveexec_b64 s[78:79], vcc
	s_cbranch_execz .LBB2_1780
; %bb.1777:                             ;   in Loop: Header=BB2_1763 Depth=2
	buffer_load_dword v14, off, s[0:3], s33 offset:60 ; 4-byte Folded Reload
	buffer_load_dword v15, off, s[0:3], s33 offset:64 ; 4-byte Folded Reload
	;; [unrolled: 1-line block ×4, first 2 shown]
                                        ; implicit-def: $vgpr38_vgpr39
	s_waitcnt vmcnt(0)
	v_mad_u64_u32 v[48:49], s[26:27], v0, 24, v[14:15]
	flat_load_dword v11, v[48:49]
	s_waitcnt vmcnt(0) lgkmcnt(0)
	v_cmp_ne_u32_e32 vcc, 1, v11
	v_cmp_eq_u32_e64 s[26:27], 1, v11
	s_and_saveexec_b64 s[88:89], s[26:27]
	s_cbranch_execz .LBB2_1779
; %bb.1778:                             ;   in Loop: Header=BB2_1763 Depth=2
	flat_load_dword v14, v[48:49] offset:4 glc
	s_waitcnt vmcnt(0) lgkmcnt(0)
	v_ashrrev_i32_e32 v15, 31, v14
	v_lshrrev_b64 v[38:39], 1, v[14:15]
.LBB2_1779:                             ;   in Loop: Header=BB2_1763 Depth=2
	s_or_b64 exec, exec, s[88:89]
	s_orn2_b64 s[26:27], vcc, exec
.LBB2_1780:                             ;   in Loop: Header=BB2_1763 Depth=2
	s_or_b64 exec, exec, s[78:79]
	s_and_saveexec_b64 s[78:79], s[26:27]
; %bb.1781:                             ;   in Loop: Header=BB2_1763 Depth=2
	v_mad_i64_i32 v[38:39], s[26:27], v0, v61, 0
; %bb.1782:                             ;   in Loop: Header=BB2_1763 Depth=2
	s_or_b64 exec, exec, s[78:79]
	v_lshlrev_b64 v[14:15], 1, v[38:39]
	v_add_co_u32_e32 v14, vcc, v6, v14
	v_addc_co_u32_e32 v15, vcc, v7, v15, vcc
	ds_write_b64 v0, v[14:15] offset:720
	v_and_b32_e32 v0, 0x2000, v60
	v_cmp_ne_u32_e32 vcc, 0, v0
	s_and_saveexec_b64 s[26:27], vcc
	s_cbranch_execz .LBB2_1784
; %bb.1783:                             ;   in Loop: Header=BB2_1763 Depth=2
	ds_read_b64 v[14:15], v0 offset:872
	s_waitcnt lgkmcnt(0)
	v_add_co_u32_e32 v14, vcc, 1, v14
	v_addc_co_u32_e32 v15, vcc, 0, v15, vcc
	ds_write_b64 v0, v[14:15] offset:872
.LBB2_1784:                             ;   in Loop: Header=BB2_1763 Depth=2
	s_or_b64 exec, exec, s[26:27]
	v_mov_b32_e32 v39, v10
	v_mov_b32_e32 v38, v9
.LBB2_1785:                             ;   in Loop: Header=BB2_1763 Depth=2
	s_or_b64 exec, exec, s[76:77]
	s_xor_b64 s[26:27], s[42:43], -1
	s_and_b64 s[26:27], exec, s[26:27]
	s_or_b64 s[40:41], s[26:27], s[40:41]
	s_and_saveexec_b64 s[26:27], s[10:11]
	s_cbranch_execz .LBB2_1804
; %bb.1786:                             ;   in Loop: Header=BB2_1763 Depth=2
	s_and_saveexec_b64 s[42:43], s[56:57]
	s_xor_b64 s[42:43], exec, s[42:43]
	s_cbranch_execz .LBB2_1801
; %bb.1787:                             ;   in Loop: Header=BB2_1763 Depth=2
	s_and_saveexec_b64 s[76:77], s[16:17]
	s_cbranch_execz .LBB2_1800
; %bb.1788:                             ;   in Loop: Header=BB2_1763 Depth=2
	s_mov_b64 s[88:89], exec
	v_mbcnt_lo_u32_b32 v0, s88, 0
	v_mbcnt_hi_u32_b32 v0, s89, v0
	v_cmp_eq_u32_e32 vcc, 0, v0
	s_waitcnt vmcnt(0) lgkmcnt(0)
	buffer_wbinvl1_vol
	s_and_saveexec_b64 s[78:79], vcc
	s_cbranch_execz .LBB2_1790
; %bb.1789:                             ;   in Loop: Header=BB2_1763 Depth=2
	s_bcnt1_i32_b64 s75, s[88:89]
	v_mov_b32_e32 v9, s75
	v_mov_b32_e32 v10, v2
	ds_add_u64 v0, v[9:10]
	s_trap 2
.LBB2_1790:                             ;   in Loop: Header=BB2_1763 Depth=2
	s_or_b64 exec, exec, s[78:79]
	s_trap 2
	ds_read_b64 v[9:10], v0
	s_waitcnt lgkmcnt(0)
	v_add_co_u32_e32 v12, vcc, v12, v62
	v_addc_co_u32_e32 v13, vcc, 0, v13, vcc
	v_cmp_lt_u64_e32 vcc, v[9:10], v[12:13]
	s_and_saveexec_b64 s[78:79], vcc
	s_cbranch_execz .LBB2_1799
; %bb.1791:                             ;   in Loop: Header=BB2_1763 Depth=2
	s_mov_b32 s75, 0
	s_mov_b64 s[88:89], 0
                                        ; implicit-def: $sgpr90_sgpr91
                                        ; implicit-def: $sgpr92_sgpr93
	s_branch .LBB2_1793
.LBB2_1792:                             ;   in Loop: Header=BB2_1793 Depth=3
	s_or_b64 exec, exec, s[30:31]
	s_and_b64 s[94:95], exec, vcc
	s_or_b64 s[88:89], s[94:95], s[88:89]
	s_andn2_b64 s[90:91], s[90:91], exec
	s_and_b64 s[94:95], s[92:93], exec
	s_or_b64 s[90:91], s[90:91], s[94:95]
	s_andn2_b64 exec, exec, s[88:89]
	s_cbranch_execz .LBB2_1797
.LBB2_1793:                             ;   Parent Loop BB2_47 Depth=1
                                        ;     Parent Loop BB2_1763 Depth=2
                                        ; =>    This Inner Loop Header: Depth=3
	s_add_i32 s75, s75, 1
	s_cmpk_lg_i32 s75, 0x2710
	s_cselect_b64 s[94:95], -1, 0
	s_and_b64 vcc, exec, s[94:95]
	s_cbranch_vccz .LBB2_1795
; %bb.1794:                             ;   in Loop: Header=BB2_1793 Depth=3
	s_mov_b64 vcc, -1
	s_or_b64 s[92:93], s[92:93], exec
	s_and_saveexec_b64 s[30:31], s[94:95]
	s_cbranch_execz .LBB2_1792
	s_branch .LBB2_1796
.LBB2_1795:                             ;   in Loop: Header=BB2_1793 Depth=3
	s_trap 2
	ds_read_b64 v[9:10], v0
	s_andn2_b64 s[94:95], s[94:95], exec
	s_mov_b32 s75, 0
	s_waitcnt lgkmcnt(0)
	flat_load_dword v0, v[9:10] glc
	s_waitcnt vmcnt(0) lgkmcnt(0)
	buffer_wbinvl1_vol
	v_cmp_eq_u32_e32 vcc, 0, v0
	s_and_b64 vcc, vcc, exec
	s_or_b64 s[94:95], s[94:95], vcc
	s_mov_b64 vcc, -1
	s_or_b64 s[92:93], s[92:93], exec
	s_and_saveexec_b64 s[30:31], s[94:95]
	s_cbranch_execz .LBB2_1792
.LBB2_1796:                             ;   in Loop: Header=BB2_1793 Depth=3
	s_sleep 1
	s_trap 2
	ds_read_b64 v[9:10], v0
	s_waitcnt lgkmcnt(0)
	s_andn2_b64 s[92:93], s[92:93], exec
	v_cmp_ge_u64_e32 vcc, v[9:10], v[12:13]
	s_orn2_b64 vcc, vcc, exec
	s_branch .LBB2_1792
.LBB2_1797:                             ;   in Loop: Header=BB2_1763 Depth=2
	s_or_b64 exec, exec, s[88:89]
	s_and_saveexec_b64 s[88:89], s[90:91]
	s_xor_b64 s[88:89], exec, s[88:89]
	s_cbranch_execz .LBB2_1799
; %bb.1798:                             ;   in Loop: Header=BB2_1763 Depth=2
	ds_write_b32 v0, v18
	s_trap 2
.LBB2_1799:                             ;   in Loop: Header=BB2_1763 Depth=2
	s_or_b64 exec, exec, s[78:79]
	;;#ASMSTART
	s_wakeup
	;;#ASMEND
.LBB2_1800:                             ;   in Loop: Header=BB2_1763 Depth=2
	s_or_b64 exec, exec, s[76:77]
.LBB2_1801:                             ;   in Loop: Header=BB2_1763 Depth=2
	s_andn2_saveexec_b64 s[42:43], s[42:43]
	s_cbranch_execz .LBB2_1803
; %bb.1802:                             ;   in Loop: Header=BB2_1763 Depth=2
	s_waitcnt vmcnt(0) lgkmcnt(0)
	buffer_wbinvl1_vol
	s_barrier
.LBB2_1803:                             ;   in Loop: Header=BB2_1763 Depth=2
	s_or_b64 exec, exec, s[42:43]
.LBB2_1804:                             ;   in Loop: Header=BB2_1763 Depth=2
	s_or_b64 exec, exec, s[26:27]
	v_sub_u32_e32 v0, v3, v8
	v_min_i32_e32 v40, v40, v0
	s_and_saveexec_b64 s[26:27], s[24:25]
	s_xor_b64 s[26:27], exec, s[26:27]
	s_cbranch_execz .LBB2_1808
; %bb.1805:                             ;   in Loop: Header=BB2_1763 Depth=2
	s_trap 2
	ds_read_b32 v0, v0
	v_cmp_lt_i32_e32 vcc, 0, v40
	v_and_b32_e32 v9, 16, v60
	s_waitcnt lgkmcnt(0)
	v_readfirstlane_b32 s42, v0
	s_cmp_eq_u32 s42, 0
	s_cselect_b64 s[42:43], -1, 0
	s_and_b64 s[42:43], vcc, s[42:43]
	v_cmp_ne_u32_e32 vcc, 0, v9
	s_and_b64 s[76:77], vcc, s[42:43]
	s_and_saveexec_b64 s[42:43], s[76:77]
	s_cbranch_execz .LBB2_1807
; %bb.1806:                             ;   in Loop: Header=BB2_1763 Depth=2
	s_waitcnt vmcnt(0)
	buffer_wbinvl1_vol
.LBB2_1807:                             ;   in Loop: Header=BB2_1763 Depth=2
	s_or_b64 exec, exec, s[42:43]
.LBB2_1808:                             ;   in Loop: Header=BB2_1763 Depth=2
	s_andn2_saveexec_b64 s[26:27], s[26:27]
	s_cbranch_execz .LBB2_1827
; %bb.1809:                             ;   in Loop: Header=BB2_1763 Depth=2
	s_and_saveexec_b64 s[42:43], s[56:57]
	s_xor_b64 s[42:43], exec, s[42:43]
	s_cbranch_execz .LBB2_1824
; %bb.1810:                             ;   in Loop: Header=BB2_1763 Depth=2
	s_and_saveexec_b64 s[76:77], s[16:17]
	s_cbranch_execz .LBB2_1823
; %bb.1811:                             ;   in Loop: Header=BB2_1763 Depth=2
	s_mov_b64 s[88:89], exec
	v_mbcnt_lo_u32_b32 v0, s88, 0
	v_mbcnt_hi_u32_b32 v0, s89, v0
	v_cmp_eq_u32_e32 vcc, 0, v0
	;;#ASMSTART
	s_waitcnt lgkmcnt(0) vmcnt(0)
	;;#ASMEND
	s_and_saveexec_b64 s[78:79], vcc
	s_cbranch_execz .LBB2_1813
; %bb.1812:                             ;   in Loop: Header=BB2_1763 Depth=2
	s_bcnt1_i32_b64 s75, s[88:89]
	v_mov_b32_e32 v9, s75
	v_mov_b32_e32 v10, v2
	s_waitcnt lgkmcnt(0)
	ds_add_u64 v0, v[9:10]
	s_trap 2
.LBB2_1813:                             ;   in Loop: Header=BB2_1763 Depth=2
	s_or_b64 exec, exec, s[78:79]
	s_trap 2
	ds_read_b64 v[9:10], v0
	s_waitcnt lgkmcnt(0)
	v_add_co_u32_e32 v12, vcc, v12, v62
	v_addc_co_u32_e32 v13, vcc, 0, v13, vcc
	v_cmp_lt_u64_e32 vcc, v[9:10], v[12:13]
	s_and_saveexec_b64 s[78:79], vcc
	s_cbranch_execz .LBB2_1822
; %bb.1814:                             ;   in Loop: Header=BB2_1763 Depth=2
	s_mov_b32 s75, 0
	s_mov_b64 s[88:89], 0
                                        ; implicit-def: $sgpr90_sgpr91
                                        ; implicit-def: $sgpr92_sgpr93
	s_branch .LBB2_1816
.LBB2_1815:                             ;   in Loop: Header=BB2_1816 Depth=3
	s_or_b64 exec, exec, s[30:31]
	s_and_b64 s[94:95], exec, vcc
	s_or_b64 s[88:89], s[94:95], s[88:89]
	s_andn2_b64 s[90:91], s[90:91], exec
	s_and_b64 s[94:95], s[92:93], exec
	s_or_b64 s[90:91], s[90:91], s[94:95]
	s_andn2_b64 exec, exec, s[88:89]
	s_cbranch_execz .LBB2_1820
.LBB2_1816:                             ;   Parent Loop BB2_47 Depth=1
                                        ;     Parent Loop BB2_1763 Depth=2
                                        ; =>    This Inner Loop Header: Depth=3
	s_add_i32 s75, s75, 1
	s_cmpk_lg_i32 s75, 0x2710
	s_cselect_b64 s[94:95], -1, 0
	s_and_b64 vcc, exec, s[94:95]
	s_cbranch_vccz .LBB2_1818
; %bb.1817:                             ;   in Loop: Header=BB2_1816 Depth=3
	s_mov_b64 vcc, -1
	s_or_b64 s[92:93], s[92:93], exec
	s_and_saveexec_b64 s[30:31], s[94:95]
	s_cbranch_execz .LBB2_1815
	s_branch .LBB2_1819
.LBB2_1818:                             ;   in Loop: Header=BB2_1816 Depth=3
	s_trap 2
	ds_read_b64 v[9:10], v0
	s_andn2_b64 s[94:95], s[94:95], exec
	s_mov_b32 s75, 0
	s_waitcnt vmcnt(0) lgkmcnt(0)
	flat_load_dword v0, v[9:10] glc
	s_waitcnt vmcnt(0) lgkmcnt(0)
	buffer_wbinvl1_vol
	v_cmp_eq_u32_e32 vcc, 0, v0
	s_and_b64 vcc, vcc, exec
	s_or_b64 s[94:95], s[94:95], vcc
	s_mov_b64 vcc, -1
	s_or_b64 s[92:93], s[92:93], exec
	s_and_saveexec_b64 s[30:31], s[94:95]
	s_cbranch_execz .LBB2_1815
.LBB2_1819:                             ;   in Loop: Header=BB2_1816 Depth=3
	s_sleep 1
	s_trap 2
	ds_read_b64 v[9:10], v0
	s_waitcnt lgkmcnt(0)
	s_andn2_b64 s[92:93], s[92:93], exec
	v_cmp_ge_u64_e32 vcc, v[9:10], v[12:13]
	s_orn2_b64 vcc, vcc, exec
	s_branch .LBB2_1815
.LBB2_1820:                             ;   in Loop: Header=BB2_1763 Depth=2
	s_or_b64 exec, exec, s[88:89]
	s_and_saveexec_b64 s[88:89], s[90:91]
	s_xor_b64 s[88:89], exec, s[88:89]
	s_cbranch_execz .LBB2_1822
; %bb.1821:                             ;   in Loop: Header=BB2_1763 Depth=2
	ds_write_b32 v0, v18
	s_trap 2
.LBB2_1822:                             ;   in Loop: Header=BB2_1763 Depth=2
	s_or_b64 exec, exec, s[78:79]
	;;#ASMSTART
	s_wakeup
	;;#ASMEND
.LBB2_1823:                             ;   in Loop: Header=BB2_1763 Depth=2
	s_or_b64 exec, exec, s[76:77]
.LBB2_1824:                             ;   in Loop: Header=BB2_1763 Depth=2
	s_andn2_saveexec_b64 s[42:43], s[42:43]
	s_cbranch_execz .LBB2_1826
; %bb.1825:                             ;   in Loop: Header=BB2_1763 Depth=2
	;;#ASMSTART
	s_waitcnt lgkmcnt(0) vmcnt(0)
	;;#ASMEND
	s_waitcnt vmcnt(0) lgkmcnt(0)
	s_barrier
.LBB2_1826:                             ;   in Loop: Header=BB2_1763 Depth=2
	s_or_b64 exec, exec, s[42:43]
.LBB2_1827:                             ;   in Loop: Header=BB2_1763 Depth=2
	s_or_b64 exec, exec, s[26:27]
	v_and_b32_e32 v0, 32, v60
	v_cmp_ne_u32_e32 vcc, 0, v0
	s_and_saveexec_b64 s[26:27], vcc
	s_cbranch_execz .LBB2_1762
; %bb.1828:                             ;   in Loop: Header=BB2_1763 Depth=2
	v_add_co_u32_e32 v38, vcc, 2, v38
	v_addc_co_u32_e32 v39, vcc, 0, v39, vcc
	flat_store_dwordx2 v[20:21], v[38:39]
	s_branch .LBB2_1762
.LBB2_1829:
	s_or_b64 exec, exec, s[58:59]
	buffer_load_dword v14, off, s[0:3], s33 offset:192 ; 4-byte Folded Reload
	buffer_load_dword v31, off, s[0:3], s33 offset:196 ; 4-byte Folded Reload
	;; [unrolled: 1-line block ×5, first 2 shown]
.LBB2_1830:
	s_or_b64 exec, exec, s[46:47]
	v_and_b32_e32 v0, 0x800, v60
	v_cmp_eq_u32_e32 vcc, 0, v0
	s_and_saveexec_b64 s[6:7], vcc
	s_cbranch_execz .LBB2_1863
; %bb.1831:
	v_and_b32_e32 v0, 48, v60
	v_cmp_ne_u32_e32 vcc, 0, v0
	s_and_saveexec_b64 s[4:5], vcc
	s_cbranch_execz .LBB2_1833
; %bb.1832:
	s_waitcnt vmcnt(0)
	flat_store_dwordx2 v[16:17], v[38:39] offset:104
.LBB2_1833:
	s_or_b64 exec, exec, s[4:5]
	s_movk_i32 s4, 0x88
	v_and_b32_e32 v0, 0x88, v60
	v_cmp_eq_u32_e32 vcc, s4, v0
	s_and_saveexec_b64 s[10:11], vcc
	s_cbranch_execz .LBB2_1843
; %bb.1834:
	buffer_load_dword v1, off, s[0:3], s33 offset:60 ; 4-byte Folded Reload
	buffer_load_dword v2, off, s[0:3], s33 offset:64 ; 4-byte Folded Reload
	;; [unrolled: 1-line block ×4, first 2 shown]
	v_add_u32_e32 v0, 6, v38
	v_and_b32_e32 v0, 7, v0
	s_waitcnt vmcnt(0)
	v_and_b32_e32 v4, 64, v60
	s_mov_b32 s22, 0
	v_mad_u64_u32 v[2:3], s[4:5], v0, 24, v[1:2]
	v_cmp_eq_u32_e64 s[4:5], 0, v4
	flat_load_dwordx2 v[0:1], v[2:3] offset:8 glc
	s_waitcnt vmcnt(0) lgkmcnt(0)
	v_cmp_ne_u64_e32 vcc, -1, v[0:1]
	s_and_b64 s[4:5], vcc, s[4:5]
	s_and_b64 exec, exec, s[4:5]
	s_cbranch_execz .LBB2_1843
; %bb.1835:
	s_mov_b64 s[4:5], 0
                                        ; implicit-def: $sgpr12_sgpr13
                                        ; implicit-def: $sgpr14_sgpr15
	s_branch .LBB2_1838
.LBB2_1836:                             ;   in Loop: Header=BB2_1838 Depth=1
	flat_load_dwordx2 v[4:5], v[2:3] offset:8 glc
	s_waitcnt vmcnt(0)
	s_andn2_b64 s[14:15], s[14:15], exec
	s_waitcnt lgkmcnt(0)
	v_cmp_eq_u64_e32 vcc, -1, v[4:5]
	s_orn2_b64 s[18:19], vcc, exec
.LBB2_1837:                             ;   in Loop: Header=BB2_1838 Depth=1
	s_or_b64 exec, exec, s[20:21]
	s_and_b64 s[16:17], exec, s[18:19]
	s_or_b64 s[4:5], s[16:17], s[4:5]
	s_andn2_b64 s[12:13], s[12:13], exec
	s_and_b64 s[16:17], s[14:15], exec
	s_or_b64 s[12:13], s[12:13], s[16:17]
	s_andn2_b64 exec, exec, s[4:5]
	s_cbranch_execz .LBB2_1841
.LBB2_1838:                             ; =>This Inner Loop Header: Depth=1
	s_cmpk_lt_i32 s22, 0x270f
	s_cselect_b64 s[16:17], -1, 0
	s_and_b64 vcc, exec, s[16:17]
	s_cbranch_vccnz .LBB2_1840
; %bb.1839:                             ;   in Loop: Header=BB2_1838 Depth=1
	s_trap 2
	ds_read_b64 v[0:1], v0
	s_andn2_b64 s[16:17], s[16:17], exec
	s_mov_b32 s22, 0
	s_waitcnt lgkmcnt(0)
	flat_load_dword v0, v[0:1] glc
	s_waitcnt vmcnt(0) lgkmcnt(0)
	buffer_wbinvl1_vol
	v_cmp_eq_u32_e32 vcc, 0, v0
	s_and_b64 s[18:19], vcc, exec
	s_or_b64 s[16:17], s[16:17], s[18:19]
	s_mov_b64 s[18:19], -1
	s_or_b64 s[14:15], s[14:15], exec
	s_and_saveexec_b64 s[20:21], s[16:17]
	s_cbranch_execz .LBB2_1837
	s_branch .LBB2_1836
.LBB2_1840:                             ;   in Loop: Header=BB2_1838 Depth=1
	s_add_i32 s22, s22, 1
                                        ; implicit-def: $vgpr0
	s_mov_b64 s[18:19], -1
	s_or_b64 s[14:15], s[14:15], exec
	s_and_saveexec_b64 s[20:21], s[16:17]
	s_cbranch_execz .LBB2_1837
	s_branch .LBB2_1836
.LBB2_1841:
	s_or_b64 exec, exec, s[4:5]
	s_and_saveexec_b64 s[4:5], s[12:13]
	s_xor_b64 s[4:5], exec, s[4:5]
	s_cbranch_execz .LBB2_1843
; %bb.1842:
	ds_write_b32 v0, v0
	s_trap 2
.LBB2_1843:
	s_or_b64 exec, exec, s[10:11]
	v_and_b32_e32 v0, 0x2000, v60
	v_cmp_ne_u32_e32 vcc, 0, v0
	s_and_saveexec_b64 s[4:5], vcc
	s_cbranch_execz .LBB2_1845
; %bb.1844:
	s_trap 2
	ds_read_b64 v[0:1], v0
	buffer_load_dword v2, off, s[0:3], s33 offset:212 ; 4-byte Folded Reload
	buffer_load_dword v3, off, s[0:3], s33 offset:216 ; 4-byte Folded Reload
	s_waitcnt vmcnt(0) lgkmcnt(0)
	flat_store_dwordx2 v[2:3], v[0:1] offset:16
.LBB2_1845:
	s_or_b64 exec, exec, s[4:5]
	s_waitcnt vmcnt(0)
	v_cmp_ne_u32_e32 vcc, 64, v14
	s_and_b64 exec, exec, vcc
	s_cbranch_execz .LBB2_1863
; %bb.1846:
	v_cmp_ne_u32_sdwa s[4:5], v14, v15 src0_sel:DWORD src1_sel:WORD_0
	s_and_saveexec_b64 s[10:11], s[4:5]
	s_xor_b64 s[4:5], exec, s[10:11]
	s_cbranch_execz .LBB2_1861
; %bb.1847:
	v_and_b32_e32 v0, 63, v31
	v_cmp_eq_u32_e32 vcc, 0, v0
	s_and_saveexec_b64 s[10:11], vcc
	s_cbranch_execz .LBB2_1860
; %bb.1848:
	s_mov_b64 s[14:15], exec
	v_mbcnt_lo_u32_b32 v0, s14, 0
	v_mbcnt_hi_u32_b32 v0, s15, v0
	v_cmp_eq_u32_e32 vcc, 0, v0
	s_waitcnt lgkmcnt(0)
	buffer_wbinvl1_vol
	s_and_saveexec_b64 s[12:13], vcc
	s_cbranch_execz .LBB2_1850
; %bb.1849:
	s_bcnt1_i32_b64 s14, s[14:15]
	v_mov_b32_e32 v0, s14
	v_mov_b32_e32 v1, 0
	ds_add_u64 v0, v[0:1]
	s_trap 2
.LBB2_1850:
	s_or_b64 exec, exec, s[12:13]
	v_lshrrev_b32_e32 v0, 6, v14
	s_trap 2
	ds_read_b64 v[2:3], v0
	s_waitcnt lgkmcnt(0)
	v_add_co_u32_e32 v0, vcc, v12, v0
	v_addc_co_u32_e32 v1, vcc, 0, v13, vcc
	v_cmp_lt_u64_e32 vcc, v[2:3], v[0:1]
	s_and_saveexec_b64 s[12:13], vcc
	s_cbranch_execz .LBB2_1859
; %bb.1851:
	s_mov_b32 s26, 0
	s_mov_b64 s[14:15], 0
                                        ; implicit-def: $sgpr16_sgpr17
                                        ; implicit-def: $sgpr18_sgpr19
	s_branch .LBB2_1853
.LBB2_1852:                             ;   in Loop: Header=BB2_1853 Depth=1
	s_or_b64 exec, exec, s[22:23]
	s_and_b64 s[20:21], exec, s[24:25]
	s_or_b64 s[14:15], s[20:21], s[14:15]
	s_andn2_b64 s[16:17], s[16:17], exec
	s_and_b64 s[20:21], s[18:19], exec
	s_or_b64 s[16:17], s[16:17], s[20:21]
	s_andn2_b64 exec, exec, s[14:15]
	s_cbranch_execz .LBB2_1857
.LBB2_1853:                             ; =>This Inner Loop Header: Depth=1
	s_add_i32 s26, s26, 1
	s_cmpk_lg_i32 s26, 0x2710
	s_cselect_b64 s[20:21], -1, 0
	s_and_b64 vcc, exec, s[20:21]
	s_cbranch_vccz .LBB2_1855
; %bb.1854:                             ;   in Loop: Header=BB2_1853 Depth=1
	s_mov_b64 s[24:25], -1
	s_or_b64 s[18:19], s[18:19], exec
	s_and_saveexec_b64 s[22:23], s[20:21]
	s_cbranch_execz .LBB2_1852
	s_branch .LBB2_1856
.LBB2_1855:                             ;   in Loop: Header=BB2_1853 Depth=1
	s_trap 2
	ds_read_b64 v[2:3], v0
	s_andn2_b64 s[20:21], s[20:21], exec
	s_mov_b32 s26, 0
	s_waitcnt lgkmcnt(0)
	flat_load_dword v2, v[2:3] glc
	s_waitcnt vmcnt(0) lgkmcnt(0)
	buffer_wbinvl1_vol
	v_cmp_eq_u32_e32 vcc, 0, v2
	s_and_b64 s[22:23], vcc, exec
	s_or_b64 s[20:21], s[20:21], s[22:23]
	s_mov_b64 s[24:25], -1
	s_or_b64 s[18:19], s[18:19], exec
	s_and_saveexec_b64 s[22:23], s[20:21]
	s_cbranch_execz .LBB2_1852
.LBB2_1856:                             ;   in Loop: Header=BB2_1853 Depth=1
	s_sleep 1
	s_trap 2
	ds_read_b64 v[2:3], v0
	s_waitcnt lgkmcnt(0)
	s_andn2_b64 s[18:19], s[18:19], exec
	v_cmp_ge_u64_e32 vcc, v[2:3], v[0:1]
	s_orn2_b64 s[24:25], vcc, exec
	s_branch .LBB2_1852
.LBB2_1857:
	s_or_b64 exec, exec, s[14:15]
	s_and_saveexec_b64 s[14:15], s[16:17]
	s_xor_b64 s[14:15], exec, s[14:15]
	s_cbranch_execz .LBB2_1859
; %bb.1858:
	v_mov_b32_e32 v0, 1
	ds_write_b32 v0, v0
	s_trap 2
.LBB2_1859:
	s_or_b64 exec, exec, s[12:13]
	;;#ASMSTART
	s_wakeup
	;;#ASMEND
.LBB2_1860:
	s_or_b64 exec, exec, s[10:11]
.LBB2_1861:
	s_andn2_saveexec_b64 s[4:5], s[4:5]
	s_cbranch_execz .LBB2_1863
; %bb.1862:
	s_waitcnt lgkmcnt(0)
	buffer_wbinvl1_vol
	s_barrier
.LBB2_1863:
	s_or_b64 exec, exec, s[6:7]
.LBB2_1864:
	s_andn2_saveexec_b64 s[26:27], s[44:45]
	s_cbranch_execz .LBB2_1866
; %bb.1865:
	s_getpc_b64 s[4:5]
	s_add_u32 s4, s4, __PRETTY_FUNCTION__._ZN10PrimitivesI12hip_bfloat1613FuncPreMulSumIS0_E12FanSymmetricILi1EELi0E11ProtoSimpleILi2ELi2ELi0ELi1ELi0ELi0EELi0ELb0ELi0ELi0ELi0EEC2EiiPKiS9_PKvPvmhhhP15ncclDevWorkCollP14ncclDevWorkP2pii@rel32@lo+4
	s_addc_u32 s5, s5, __PRETTY_FUNCTION__._ZN10PrimitivesI12hip_bfloat1613FuncPreMulSumIS0_E12FanSymmetricILi1EELi0E11ProtoSimpleILi2ELi2ELi0ELi1ELi0ELi0EELi0ELb0ELi0ELi0ELi0EEC2EiiPKiS9_PKvPvmhhhP15ncclDevWorkCollP14ncclDevWorkP2pii@rel32@hi+12
	s_getpc_b64 s[6:7]
	s_add_u32 s6, s6, __assert_fail@rel32@lo+4
	s_addc_u32 s7, s7, __assert_fail@rel32@hi+12
	v_mov_b32_e32 v0, s4
	v_mov_b32_e32 v1, s5
	s_swappc_b64 s[30:31], s[6:7]
	; divergent unreachable
.LBB2_1866:
	s_or_b64 exec, exec, s[26:27]
	buffer_load_dword v62, off, s[0:3], s33 ; 4-byte Folded Reload
	buffer_load_dword v61, off, s[0:3], s33 offset:4 ; 4-byte Folded Reload
	buffer_load_dword v60, off, s[0:3], s33 offset:8 ; 4-byte Folded Reload
	;; [unrolled: 1-line block ×6, first 2 shown]
	s_waitcnt lgkmcnt(0)
	buffer_load_dword v47, off, s[0:3], s33 offset:28 ; 4-byte Folded Reload
	buffer_load_dword v46, off, s[0:3], s33 offset:32 ; 4-byte Folded Reload
	;; [unrolled: 1-line block ×8, first 2 shown]
	v_readlane_b32 s30, v63, 27
	v_readlane_b32 s31, v63, 28
	;; [unrolled: 1-line block ×29, first 2 shown]
	s_mov_b32 s32, s33
	v_readlane_b32 s4, v63, 29
	s_or_saveexec_b64 s[6:7], -1
	buffer_load_dword v63, off, s[0:3], s33 offset:220 ; 4-byte Folded Reload
	s_mov_b64 exec, s[6:7]
	s_mov_b32 s33, s4
	s_waitcnt vmcnt(0)
	s_setpc_b64 s[30:31]
.Lfunc_end2:
	.size	_ZN12_GLOBAL__N_17runRingI12hip_bfloat1613FuncPreMulSumIS1_E11ProtoSimpleILi2ELi2ELi0ELi1ELi0ELi0EELi0ELi0ELi1ELi0EEEviiP15ncclDevWorkColl, .Lfunc_end2-_ZN12_GLOBAL__N_17runRingI12hip_bfloat1613FuncPreMulSumIS1_E11ProtoSimpleILi2ELi2ELi0ELi1ELi0ELi0EELi0ELi0ELi1ELi0EEEviiP15ncclDevWorkColl
                                        ; -- End function
	.set .L_ZN12_GLOBAL__N_17runRingI12hip_bfloat1613FuncPreMulSumIS1_E11ProtoSimpleILi2ELi2ELi0ELi1ELi0ELi0EELi0ELi0ELi1ELi0EEEviiP15ncclDevWorkColl.num_vgpr, max(64, .L__assert_fail.num_vgpr)
	.set .L_ZN12_GLOBAL__N_17runRingI12hip_bfloat1613FuncPreMulSumIS1_E11ProtoSimpleILi2ELi2ELi0ELi1ELi0ELi0EELi0ELi0ELi1ELi0EEEviiP15ncclDevWorkColl.num_agpr, max(0, .L__assert_fail.num_agpr)
	.set .L_ZN12_GLOBAL__N_17runRingI12hip_bfloat1613FuncPreMulSumIS1_E11ProtoSimpleILi2ELi2ELi0ELi1ELi0ELi0EELi0ELi0ELi1ELi0EEEviiP15ncclDevWorkColl.numbered_sgpr, max(96, .L__assert_fail.numbered_sgpr)
	.set .L_ZN12_GLOBAL__N_17runRingI12hip_bfloat1613FuncPreMulSumIS1_E11ProtoSimpleILi2ELi2ELi0ELi1ELi0ELi0EELi0ELi0ELi1ELi0EEEviiP15ncclDevWorkColl.num_named_barrier, max(0, .L__assert_fail.num_named_barrier)
	.set .L_ZN12_GLOBAL__N_17runRingI12hip_bfloat1613FuncPreMulSumIS1_E11ProtoSimpleILi2ELi2ELi0ELi1ELi0ELi0EELi0ELi0ELi1ELi0EEEviiP15ncclDevWorkColl.private_seg_size, 240+max(.L__assert_fail.private_seg_size)
	.set .L_ZN12_GLOBAL__N_17runRingI12hip_bfloat1613FuncPreMulSumIS1_E11ProtoSimpleILi2ELi2ELi0ELi1ELi0ELi0EELi0ELi0ELi1ELi0EEEviiP15ncclDevWorkColl.uses_vcc, or(1, .L__assert_fail.uses_vcc)
	.set .L_ZN12_GLOBAL__N_17runRingI12hip_bfloat1613FuncPreMulSumIS1_E11ProtoSimpleILi2ELi2ELi0ELi1ELi0ELi0EELi0ELi0ELi1ELi0EEEviiP15ncclDevWorkColl.uses_flat_scratch, or(0, .L__assert_fail.uses_flat_scratch)
	.set .L_ZN12_GLOBAL__N_17runRingI12hip_bfloat1613FuncPreMulSumIS1_E11ProtoSimpleILi2ELi2ELi0ELi1ELi0ELi0EELi0ELi0ELi1ELi0EEEviiP15ncclDevWorkColl.has_dyn_sized_stack, or(0, .L__assert_fail.has_dyn_sized_stack)
	.set .L_ZN12_GLOBAL__N_17runRingI12hip_bfloat1613FuncPreMulSumIS1_E11ProtoSimpleILi2ELi2ELi0ELi1ELi0ELi0EELi0ELi0ELi1ELi0EEEviiP15ncclDevWorkColl.has_recursion, or(1, .L__assert_fail.has_recursion)
	.set .L_ZN12_GLOBAL__N_17runRingI12hip_bfloat1613FuncPreMulSumIS1_E11ProtoSimpleILi2ELi2ELi0ELi1ELi0ELi0EELi0ELi0ELi1ELi0EEEviiP15ncclDevWorkColl.has_indirect_call, or(0, .L__assert_fail.has_indirect_call)
	.section	.AMDGPU.csdata,"",@progbits
; Function info:
; codeLenInByte = 51820
; TotalNumSgprs: 100
; NumVgprs: 64
; ScratchSize: 304
; MemoryBound: 1
	.text
	.p2align	2                               ; -- Begin function _Z54ncclDevFunc_AllReduce_RING_SIMPLE_PreMulSum_bf16_0_0_1v
	.type	_Z54ncclDevFunc_AllReduce_RING_SIMPLE_PreMulSum_bf16_0_0_1v,@function
_Z54ncclDevFunc_AllReduce_RING_SIMPLE_PreMulSum_bf16_0_0_1v: ; @_Z54ncclDevFunc_AllReduce_RING_SIMPLE_PreMulSum_bf16_0_0_1v
; %bb.0:
	s_waitcnt vmcnt(0) expcnt(0) lgkmcnt(0)
	s_mov_b32 s4, s33
	s_mov_b32 s33, s32
	s_or_saveexec_b64 s[6:7], -1
	buffer_store_dword v43, off, s[0:3], s33 offset:16 ; 4-byte Folded Spill
	s_mov_b64 exec, s[6:7]
	v_writelane_b32 v43, s4, 35
	s_addk_i32 s32, 0x800
	buffer_store_dword v40, off, s[0:3], s33 offset:12 ; 4-byte Folded Spill
	buffer_store_dword v41, off, s[0:3], s33 offset:8 ; 4-byte Folded Spill
	;; [unrolled: 1-line block ×3, first 2 shown]
	buffer_store_dword v63, off, s[0:3], s33 ; 4-byte Folded Spill
	v_writelane_b32 v43, s34, 0
	v_writelane_b32 v43, s35, 1
	;; [unrolled: 1-line block ×35, first 2 shown]
	s_trap 2
	ds_read_b32 v0, v0
	v_mov_b32_e32 v40, v31
	v_and_b32_e32 v41, 0x3ff, v40
	s_mov_b32 s85, s12
	s_mov_b64 s[86:87], s[8:9]
	s_waitcnt lgkmcnt(0)
	v_cmp_lt_i32_e32 vcc, v41, v0
	s_and_saveexec_b64 s[4:5], vcc
	s_cbranch_execz .LBB3_5
; %bb.1:
	s_load_dword s6, s[86:87], 0x0
	v_mov_b32_e32 v1, 0
	s_mov_b32 s10, 0
	v_mov_b32_e32 v4, v41
                                        ; implicit-def: $vgpr3
	s_waitcnt lgkmcnt(0)
	s_cmp_lt_u32 s85, s6
	s_cselect_b32 s6, 12, 18
	s_add_u32 s6, s86, s6
	s_addc_u32 s7, s87, 0
	global_load_ushort v1, v1, s[6:7]
	s_trap 2
	ds_read_b32 v2, v0
	s_mov_b64 s[6:7], 0
	s_waitcnt vmcnt(0) lgkmcnt(0)
	v_mul_lo_u32 v2, v2, v1
	s_branch .LBB3_3
.LBB3_2:                                ;   in Loop: Header=BB3_3 Depth=1
	s_or_b64 exec, exec, s[8:9]
	v_add_u32_e32 v4, v4, v1
	v_cmp_ge_i32_e32 vcc, v4, v0
	s_or_b64 s[6:7], vcc, s[6:7]
	v_add_u32_e32 v3, v3, v2
	s_andn2_b64 exec, exec, s[6:7]
	s_cbranch_execz .LBB3_5
.LBB3_3:                                ; =>This Inner Loop Header: Depth=1
	ds_read_b32 v5, v3
	s_waitcnt lgkmcnt(0)
	v_and_b32_e32 v5, 0x1000000, v5
	v_cmp_ne_u32_e32 vcc, 0, v5
	s_and_saveexec_b64 s[8:9], vcc
	s_cbranch_execz .LBB3_2
; %bb.4:                                ;   in Loop: Header=BB3_3 Depth=1
	ds_read_b64 v[5:6], v3 offset:104
	s_waitcnt lgkmcnt(0)
	flat_load_ushort v5, v[5:6]
	v_mov_b32_e32 v6, s10
	s_waitcnt vmcnt(0) lgkmcnt(0)
	v_and_b32_e32 v5, 0xffff, v5
	ds_write_b64 v3, v[5:6] offset:104
	s_branch .LBB3_2
.LBB3_5:
	s_or_b64 exec, exec, s[4:5]
	s_waitcnt vmcnt(0) lgkmcnt(0)
	s_barrier
	s_trap 2
	ds_read_b32 v0, v0
	s_waitcnt lgkmcnt(0)
	v_cmp_gt_i32_e32 vcc, 1, v0
	s_cbranch_vccnz .LBB3_13
; %bb.6:
	s_mov_b32 s98, 0
	v_mov_b32_e32 v42, 6
	s_branch .LBB3_8
.LBB3_7:                                ;   in Loop: Header=BB3_8 Depth=1
	s_or_b64 exec, exec, s[96:97]
	s_trap 2
	ds_read_b32 v0, v0
	s_add_i32 s98, s98, 1
	s_waitcnt lgkmcnt(0)
	v_cmp_lt_i32_e32 vcc, s98, v0
	s_cbranch_vccz .LBB3_13
.LBB3_8:                                ; =>This Inner Loop Header: Depth=1
	s_trap 2
	ds_read_b32 v0, v0
	s_cmp_eq_u32 s98, 0
	s_cbranch_scc1 .LBB3_11
; %bb.9:                                ;   in Loop: Header=BB3_8 Depth=1
	s_trap 2
	s_waitcnt lgkmcnt(0)
	ds_read_b32 v1, v0
	s_waitcnt lgkmcnt(0)
	v_xor_b32_e32 v1, v1, v0
	v_and_b32_e32 v1, 0xff0000, v1
	v_cmp_eq_u32_e32 vcc, 0, v1
	s_cbranch_vccnz .LBB3_11
; %bb.10:                               ;   in Loop: Header=BB3_8 Depth=1
	s_barrier
	ds_read_b32 v0, v0
.LBB3_11:                               ;   in Loop: Header=BB3_8 Depth=1
	s_waitcnt lgkmcnt(0)
	v_lshlrev_b32_sdwa v1, v42, v0 dst_sel:DWORD dst_unused:UNUSED_PAD src0_sel:DWORD src1_sel:BYTE_2
	v_cmp_lt_u32_e32 vcc, v41, v1
	s_and_saveexec_b64 s[96:97], vcc
	s_cbranch_execz .LBB3_7
; %bb.12:                               ;   in Loop: Header=BB3_8 Depth=1
	s_mov_b64 s[4:5], src_shared_base
	s_getpc_b64 s[6:7]
	s_add_u32 s6, s6, _ZN12_GLOBAL__N_17runRingI12hip_bfloat1613FuncPreMulSumIS1_E11ProtoSimpleILi2ELi2ELi0ELi1ELi0ELi0EELi0ELi0ELi1ELi0EEEviiP15ncclDevWorkColl@rel32@lo+4
	s_addc_u32 s7, s7, _ZN12_GLOBAL__N_17runRingI12hip_bfloat1613FuncPreMulSumIS1_E11ProtoSimpleILi2ELi2ELi0ELi1ELi0ELi0EELi0ELi0ELi1ELi0EEEviiP15ncclDevWorkColl@rel32@hi+12
	s_mov_b64 s[8:9], s[86:87]
	s_mov_b32 s12, s85
	v_mov_b32_e32 v31, v40
	v_mov_b32_e32 v0, v41
	;; [unrolled: 1-line block ×3, first 2 shown]
	s_swappc_b64 s[30:31], s[6:7]
	s_branch .LBB3_7
.LBB3_13:
	buffer_load_dword v63, off, s[0:3], s33 ; 4-byte Folded Reload
	buffer_load_dword v42, off, s[0:3], s33 offset:4 ; 4-byte Folded Reload
	buffer_load_dword v41, off, s[0:3], s33 offset:8 ; 4-byte Folded Reload
	;; [unrolled: 1-line block ×3, first 2 shown]
	v_readlane_b32 s30, v43, 33
	v_readlane_b32 s31, v43, 34
	;; [unrolled: 1-line block ×35, first 2 shown]
	s_mov_b32 s32, s33
	v_readlane_b32 s4, v43, 35
	s_or_saveexec_b64 s[6:7], -1
	buffer_load_dword v43, off, s[0:3], s33 offset:16 ; 4-byte Folded Reload
	s_mov_b64 exec, s[6:7]
	s_mov_b32 s33, s4
	s_waitcnt vmcnt(0)
	s_setpc_b64 s[30:31]
.Lfunc_end3:
	.size	_Z54ncclDevFunc_AllReduce_RING_SIMPLE_PreMulSum_bf16_0_0_1v, .Lfunc_end3-_Z54ncclDevFunc_AllReduce_RING_SIMPLE_PreMulSum_bf16_0_0_1v
                                        ; -- End function
	.set .L_Z54ncclDevFunc_AllReduce_RING_SIMPLE_PreMulSum_bf16_0_0_1v.num_vgpr, max(64, .L_ZN12_GLOBAL__N_17runRingI12hip_bfloat1613FuncPreMulSumIS1_E11ProtoSimpleILi2ELi2ELi0ELi1ELi0ELi0EELi0ELi0ELi1ELi0EEEviiP15ncclDevWorkColl.num_vgpr)
	.set .L_Z54ncclDevFunc_AllReduce_RING_SIMPLE_PreMulSum_bf16_0_0_1v.num_agpr, max(0, .L_ZN12_GLOBAL__N_17runRingI12hip_bfloat1613FuncPreMulSumIS1_E11ProtoSimpleILi2ELi2ELi0ELi1ELi0ELi0EELi0ELi0ELi1ELi0EEEviiP15ncclDevWorkColl.num_agpr)
	.set .L_Z54ncclDevFunc_AllReduce_RING_SIMPLE_PreMulSum_bf16_0_0_1v.numbered_sgpr, max(99, .L_ZN12_GLOBAL__N_17runRingI12hip_bfloat1613FuncPreMulSumIS1_E11ProtoSimpleILi2ELi2ELi0ELi1ELi0ELi0EELi0ELi0ELi1ELi0EEEviiP15ncclDevWorkColl.numbered_sgpr)
	.set .L_Z54ncclDevFunc_AllReduce_RING_SIMPLE_PreMulSum_bf16_0_0_1v.num_named_barrier, max(0, .L_ZN12_GLOBAL__N_17runRingI12hip_bfloat1613FuncPreMulSumIS1_E11ProtoSimpleILi2ELi2ELi0ELi1ELi0ELi0EELi0ELi0ELi1ELi0EEEviiP15ncclDevWorkColl.num_named_barrier)
	.set .L_Z54ncclDevFunc_AllReduce_RING_SIMPLE_PreMulSum_bf16_0_0_1v.private_seg_size, 32+max(.L_ZN12_GLOBAL__N_17runRingI12hip_bfloat1613FuncPreMulSumIS1_E11ProtoSimpleILi2ELi2ELi0ELi1ELi0ELi0EELi0ELi0ELi1ELi0EEEviiP15ncclDevWorkColl.private_seg_size)
	.set .L_Z54ncclDevFunc_AllReduce_RING_SIMPLE_PreMulSum_bf16_0_0_1v.uses_vcc, or(1, .L_ZN12_GLOBAL__N_17runRingI12hip_bfloat1613FuncPreMulSumIS1_E11ProtoSimpleILi2ELi2ELi0ELi1ELi0ELi0EELi0ELi0ELi1ELi0EEEviiP15ncclDevWorkColl.uses_vcc)
	.set .L_Z54ncclDevFunc_AllReduce_RING_SIMPLE_PreMulSum_bf16_0_0_1v.uses_flat_scratch, or(0, .L_ZN12_GLOBAL__N_17runRingI12hip_bfloat1613FuncPreMulSumIS1_E11ProtoSimpleILi2ELi2ELi0ELi1ELi0ELi0EELi0ELi0ELi1ELi0EEEviiP15ncclDevWorkColl.uses_flat_scratch)
	.set .L_Z54ncclDevFunc_AllReduce_RING_SIMPLE_PreMulSum_bf16_0_0_1v.has_dyn_sized_stack, or(0, .L_ZN12_GLOBAL__N_17runRingI12hip_bfloat1613FuncPreMulSumIS1_E11ProtoSimpleILi2ELi2ELi0ELi1ELi0ELi0EELi0ELi0ELi1ELi0EEEviiP15ncclDevWorkColl.has_dyn_sized_stack)
	.set .L_Z54ncclDevFunc_AllReduce_RING_SIMPLE_PreMulSum_bf16_0_0_1v.has_recursion, or(1, .L_ZN12_GLOBAL__N_17runRingI12hip_bfloat1613FuncPreMulSumIS1_E11ProtoSimpleILi2ELi2ELi0ELi1ELi0ELi0EELi0ELi0ELi1ELi0EEEviiP15ncclDevWorkColl.has_recursion)
	.set .L_Z54ncclDevFunc_AllReduce_RING_SIMPLE_PreMulSum_bf16_0_0_1v.has_indirect_call, or(0, .L_ZN12_GLOBAL__N_17runRingI12hip_bfloat1613FuncPreMulSumIS1_E11ProtoSimpleILi2ELi2ELi0ELi1ELi0ELi0EELi0ELi0ELi1ELi0EEEviiP15ncclDevWorkColl.has_indirect_call)
	.section	.AMDGPU.csdata,"",@progbits
; Function info:
; codeLenInByte = 1168
; TotalNumSgprs: 103
; NumVgprs: 64
; ScratchSize: 336
; MemoryBound: 0
	.text
	.p2align	2                               ; -- Begin function _ZN12_GLOBAL__N_17runRingI12hip_bfloat1613FuncPreMulSumIS1_E11ProtoSimpleILi2ELi2ELi0ELi1ELi0ELi0EELi0ELi0ELi1ELi1EEEviiP15ncclDevWorkColl
	.type	_ZN12_GLOBAL__N_17runRingI12hip_bfloat1613FuncPreMulSumIS1_E11ProtoSimpleILi2ELi2ELi0ELi1ELi0ELi0EELi0ELi0ELi1ELi1EEEviiP15ncclDevWorkColl,@function
_ZN12_GLOBAL__N_17runRingI12hip_bfloat1613FuncPreMulSumIS1_E11ProtoSimpleILi2ELi2ELi0ELi1ELi0ELi0EELi0ELi0ELi1ELi1EEEviiP15ncclDevWorkColl: ; @_ZN12_GLOBAL__N_17runRingI12hip_bfloat1613FuncPreMulSumIS1_E11ProtoSimpleILi2ELi2ELi0ELi1ELi0ELi0EELi0ELi0ELi1ELi1EEEviiP15ncclDevWorkColl
; %bb.0:
	s_waitcnt vmcnt(0) expcnt(0) lgkmcnt(0)
	s_mov_b32 s4, s33
	s_mov_b32 s33, s32
	s_or_saveexec_b64 s[6:7], -1
	buffer_store_dword v63, off, s[0:3], s33 offset:328 ; 4-byte Folded Spill
	buffer_store_dword v62, off, s[0:3], s33 offset:332 ; 4-byte Folded Spill
	s_mov_b64 exec, s[6:7]
	v_writelane_b32 v63, s4, 34
	s_addk_i32 s32, 0x5800
	buffer_store_dword v40, off, s[0:3], s33 offset:52 ; 4-byte Folded Spill
	buffer_store_dword v41, off, s[0:3], s33 offset:48 ; 4-byte Folded Spill
	;; [unrolled: 1-line block ×13, first 2 shown]
	buffer_store_dword v61, off, s[0:3], s33 ; 4-byte Folded Spill
	v_writelane_b32 v63, s34, 0
	v_writelane_b32 v63, s35, 1
	;; [unrolled: 1-line block ×34, first 2 shown]
	v_mov_b32_e32 v19, v1
	buffer_store_dword v0, off, s[0:3], s33 offset:216 ; 4-byte Folded Spill
	s_trap 2
	flat_load_dword v1, v[2:3]
	ds_read_b32 v6, v0
	s_mov_b64 s[28:29], s[8:9]
                                        ; implicit-def: $vgpr4_vgpr5
                                        ; implicit-def: $vgpr7_vgpr8
                                        ; kill: killed $vgpr7_vgpr8
                                        ; implicit-def: $vgpr21_vgpr22
	s_waitcnt lgkmcnt(0)
	v_readfirstlane_b32 s50, v6
	s_waitcnt vmcnt(0)
	v_cmp_ne_u32_sdwa s[4:5], v6, v1 src0_sel:DWORD src1_sel:BYTE_0
	s_and_saveexec_b64 s[6:7], s[4:5]
	s_xor_b64 s[4:5], exec, s[6:7]
	s_cbranch_execz .LBB4_6
; %bb.1:
	v_not_b32_sdwa v0, v1 dst_sel:DWORD dst_unused:UNUSED_PAD src0_sel:BYTE_0
	v_cmp_ne_u32_sdwa s[6:7], v6, v1 src0_sel:DWORD src1_sel:BYTE_1
                                        ; implicit-def: $vgpr4_vgpr5
                                        ; implicit-def: $vgpr7_vgpr8
                                        ; kill: killed $vgpr7_vgpr8
                                        ; implicit-def: $vgpr21_vgpr22
	s_and_saveexec_b64 s[8:9], s[6:7]
	s_xor_b64 s[6:7], exec, s[8:9]
	s_cbranch_execz .LBB4_3
; %bb.2:
	flat_load_dwordx4 v[7:10], v[2:3] offset:72
	flat_load_dwordx2 v[4:5], v[2:3] offset:96
	v_add_u32_e32 v0, v6, v0
	v_ashrrev_i32_e32 v1, 31, v0
	s_waitcnt vmcnt(0) lgkmcnt(0)
	v_mul_lo_u32 v1, v9, v1
	v_mad_u64_u32 v[6:7], s[8:9], v9, v0, v[7:8]
	v_mul_lo_u32 v0, v10, v0
	v_mov_b32_e32 v22, v10
	v_lshrrev_b64 v[4:5], 13, v[4:5]
	v_mov_b32_e32 v21, v9
	v_add3_u32 v7, v0, v7, v1
	buffer_store_dword v6, off, s[0:3], s33 offset:268 ; 4-byte Folded Spill
	s_nop 0
	buffer_store_dword v7, off, s[0:3], s33 offset:272 ; 4-byte Folded Spill
                                        ; implicit-def: $vgpr1
                                        ; implicit-def: $vgpr0
.LBB4_3:
	s_andn2_saveexec_b64 s[6:7], s[6:7]
	s_cbranch_execz .LBB4_5
; %bb.4:
	flat_load_dwordx4 v[4:7], v[2:3] offset:72
	flat_load_dwordx4 v[21:24], v[2:3] offset:88
	v_add_u32_sdwa v0, v1, v0 dst_sel:DWORD dst_unused:UNUSED_PAD src0_sel:BYTE_1 src1_sel:DWORD
	v_ashrrev_i32_e32 v1, 31, v0
	s_waitcnt vmcnt(0) lgkmcnt(0)
	v_mul_lo_u32 v1, v6, v1
	v_mad_u64_u32 v[4:5], s[8:9], v6, v0, v[4:5]
	v_mul_lo_u32 v0, v7, v0
	v_add3_u32 v5, v0, v5, v1
	buffer_store_dword v4, off, s[0:3], s33 offset:268 ; 4-byte Folded Spill
	s_nop 0
	buffer_store_dword v5, off, s[0:3], s33 offset:272 ; 4-byte Folded Spill
	v_lshrrev_b32_e32 v4, 2, v24
.LBB4_5:
	s_or_b64 exec, exec, s[6:7]
.LBB4_6:
	s_andn2_saveexec_b64 s[4:5], s[4:5]
	s_cbranch_execz .LBB4_8
; %bb.7:
	flat_load_dwordx2 v[0:1], v[2:3] offset:96
	flat_load_dwordx2 v[21:22], v[2:3] offset:72
	s_waitcnt vmcnt(0) lgkmcnt(0)
	v_lshlrev_b64 v[4:5], 8, v[0:1]
	v_mov_b32_e32 v0, 0
	v_mov_b32_e32 v1, 0
	buffer_store_dword v0, off, s[0:3], s33 offset:268 ; 4-byte Folded Spill
	s_nop 0
	buffer_store_dword v1, off, s[0:3], s33 offset:272 ; 4-byte Folded Spill
.LBB4_8:
	s_or_b64 exec, exec, s[4:5]
	s_trap 2
	ds_read_b64 v[0:1], v0
	s_waitcnt lgkmcnt(0)
	v_cmp_ne_u32_e32 vcc, -1, v0
	v_cndmask_b32_e64 v18, 0, 1, vcc
	v_cmp_ne_u32_e32 vcc, -1, v1
	v_addc_co_u32_e64 v0, s[4:5], 0, v18, vcc
	v_lshlrev_b32_e32 v1, 1, v0
	v_cmp_le_u32_e64 s[4:5], v1, v19
	s_and_saveexec_b64 s[6:7], s[4:5]
	s_xor_b64 s[6:7], exec, s[6:7]
                                        ; implicit-def: $vgpr62 : SGPR spill to VGPR lane
	v_writelane_b32 v62, s6, 0
	v_writelane_b32 v62, s7, 1
	s_cbranch_execz .LBB4_3374
; %bb.9:
	flat_load_dwordx4 v[10:13], v[2:3] offset:16
	flat_load_dwordx2 v[14:15], v[2:3] offset:104
	flat_load_ushort v7, v[2:3] offset:8
	flat_load_dword v6, v[2:3] offset:4
	s_trap 2
	s_load_dword s4, s[28:29], 0x0
	v_mov_b32_e32 v1, 0
	v_mov_b32_e32 v5, 4
	s_waitcnt lgkmcnt(0)
	s_cmp_lt_u32 s12, s4
	s_cselect_b32 s4, 12, 18
	s_add_u32 s4, s28, s4
	s_addc_u32 s5, s29, 0
	global_load_ushort v20, v1, s[4:5]
	ds_read_b32 v1, v0
	s_waitcnt lgkmcnt(0)
	v_readfirstlane_b32 s8, v1
	buffer_load_dword v1, off, s[0:3], s33 offset:216 ; 4-byte Folded Reload
	s_waitcnt vmcnt(0)
	v_cmp_ge_u32_e64 s[4:5], v1, v18
	s_and_saveexec_b64 s[6:7], s[4:5]
	s_cbranch_execz .LBB4_19
; %bb.10:
	buffer_load_dword v1, off, s[0:3], s33 offset:216 ; 4-byte Folded Reload
                                        ; implicit-def: $vgpr5
	s_waitcnt vmcnt(0)
	v_cmp_ge_u32_e64 s[4:5], v1, v0
	s_and_saveexec_b64 s[10:11], s[4:5]
	s_xor_b64 s[4:5], exec, s[10:11]
	s_cbranch_execz .LBB4_16
; %bb.11:
	buffer_load_dword v5, off, s[0:3], s33 offset:216 ; 4-byte Folded Reload
	v_cndmask_b32_e64 v1, 0, 1, vcc
	v_sub_u32_e32 v1, v19, v1
	s_waitcnt vmcnt(0)
	v_cmp_ge_u32_e32 vcc, v5, v1
	s_and_saveexec_b64 s[10:11], vcc
	s_xor_b64 s[10:11], exec, s[10:11]
; %bb.12:
                                        ; implicit-def: $vgpr0
; %bb.13:
	s_or_saveexec_b64 s[10:11], s[10:11]
	v_mov_b32_e32 v5, 16
	s_xor_b64 exec, exec, s[10:11]
	s_cbranch_execz .LBB4_15
; %bb.14:
	buffer_load_dword v1, off, s[0:3], s33 offset:216 ; 4-byte Folded Reload
	v_sub_u32_e32 v0, v19, v0
	s_waitcnt vmcnt(0)
	v_cmp_lt_i32_e32 vcc, v1, v0
	v_cndmask_b32_e64 v5, 32, 0, vcc
.LBB4_15:
	s_or_b64 exec, exec, s[10:11]
.LBB4_16:
	s_andn2_saveexec_b64 s[4:5], s[4:5]
; %bb.17:
	v_mov_b32_e32 v5, 8
; %bb.18:
	s_or_b64 exec, exec, s[4:5]
.LBB4_19:
	s_or_b64 exec, exec, s[6:7]
	v_and_b32_e32 v0, 36, v5
	v_cmp_ne_u32_e32 vcc, 0, v0
	v_mov_b32_e32 v16, -1
	s_and_saveexec_b64 s[4:5], vcc
	s_cbranch_execz .LBB4_21
; %bb.20:
	s_trap 2
	ds_read_b32 v16, v0
.LBB4_21:
	s_or_b64 exec, exec, s[4:5]
	v_and_b32_e32 v0, 24, v5
	v_cmp_ne_u32_e64 s[4:5], 0, v0
	s_and_saveexec_b64 s[6:7], s[4:5]
	s_cbranch_execz .LBB4_23
; %bb.22:
	s_trap 2
	s_waitcnt lgkmcnt(0)
	ds_read_b32 v16, v0
.LBB4_23:
	s_or_b64 exec, exec, s[6:7]
	v_lshrrev_b64 v[0:1], 31, v[6:7]
	v_mov_b32_e32 v6, 0
	v_mov_b32_e32 v7, 0
	buffer_store_dword v6, off, s[0:3], s33 offset:300 ; 4-byte Folded Spill
	s_nop 0
	buffer_store_dword v7, off, s[0:3], s33 offset:304 ; 4-byte Folded Spill
	v_mov_b32_e32 v6, 0
	v_mov_b32_e32 v7, 0
	buffer_store_dword v6, off, s[0:3], s33 offset:160 ; 4-byte Folded Spill
	s_nop 0
	buffer_store_dword v7, off, s[0:3], s33 offset:164 ; 4-byte Folded Spill
	buffer_store_dword v8, off, s[0:3], s33 offset:168 ; 4-byte Folded Spill
	;; [unrolled: 1-line block ×3, first 2 shown]
	v_and_b32_e32 v0, 3, v0
                                        ; implicit-def: $vgpr6_vgpr7
                                        ; kill: killed $vgpr6_vgpr7
                                        ; implicit-def: $vgpr1
                                        ; kill: killed $vgpr1
                                        ; implicit-def: $vgpr6_vgpr7
                                        ; implicit-def: $vgpr8_vgpr9
                                        ; kill: killed $vgpr8_vgpr9
                                        ; implicit-def: $vgpr38_vgpr39
                                        ; implicit-def: $vgpr32_vgpr33
	s_and_saveexec_b64 s[4:5], vcc
	s_cbranch_execz .LBB4_33
; %bb.24:
	s_trap 2
	ds_read_b64 v[6:7], v0
	s_waitcnt lgkmcnt(1)
	v_ashrrev_i32_e32 v17, 31, v16
	v_lshlrev_b64 v[8:9], 3, v[16:17]
	v_and_b32_e32 v1, 0xffff, v0
	s_movk_i32 s6, 0xa8
	s_waitcnt lgkmcnt(0)
	v_add_co_u32_e32 v6, vcc, v6, v8
	v_addc_co_u32_e32 v7, vcc, v7, v9, vcc
	flat_load_dwordx2 v[6:7], v[6:7]
	s_waitcnt vmcnt(0) lgkmcnt(0)
	v_mad_u64_u32 v[8:9], s[6:7], v1, s6, v[6:7]
                                        ; implicit-def: $vgpr6_vgpr7
                                        ; kill: killed $vgpr6_vgpr7
	flat_load_dword v1, v[8:9] offset:640
	s_waitcnt vmcnt(0) lgkmcnt(0)
	v_cmp_eq_u32_e32 vcc, 1, v1
	s_and_saveexec_b64 s[6:7], vcc
	s_cbranch_execz .LBB4_26
; %bb.25:
	flat_load_dwordx2 v[23:24], v[8:9] offset:648
	v_or_b32_e32 v5, 0x2000, v5
	s_waitcnt vmcnt(0) lgkmcnt(0)
	flat_load_dwordx2 v[6:7], v[23:24]
	s_trap 2
	s_waitcnt vmcnt(0) lgkmcnt(0)
	ds_write_b64 v0, v[6:7]
	flat_load_dwordx2 v[6:7], v[23:24] offset:8
	s_waitcnt vmcnt(0) lgkmcnt(0)
	ds_write_b64 v0, v[6:7]
	buffer_store_dword v23, off, s[0:3], s33 offset:320 ; 4-byte Folded Spill
	s_nop 0
	buffer_store_dword v24, off, s[0:3], s33 offset:324 ; 4-byte Folded Spill
	flat_load_dwordx2 v[6:7], v[23:24] offset:16
	s_waitcnt vmcnt(0) lgkmcnt(0)
	ds_write_b64 v0, v[6:7]
.LBB4_26:
	s_or_b64 exec, exec, s[6:7]
	flat_load_dwordx2 v[6:7], v[8:9] offset:608
	v_and_b32_e32 v1, 32, v5
                                        ; implicit-def: $vgpr32_vgpr33
	s_waitcnt vmcnt(0) lgkmcnt(0)
	v_add_co_u32_e32 v6, vcc, 3, v6
	v_addc_co_u32_e32 v7, vcc, 0, v7, vcc
	v_and_b32_e32 v6, -4, v6
	v_cmp_ne_u32_e32 vcc, 0, v1
	s_and_saveexec_b64 s[6:7], vcc
	s_cbranch_execz .LBB4_28
; %bb.27:
	flat_load_dwordx2 v[32:33], v[8:9] offset:560
	s_waitcnt vmcnt(0) lgkmcnt(0)
	flat_store_dwordx2 v[32:33], v[6:7]
.LBB4_28:
	s_or_b64 exec, exec, s[6:7]
	v_add_co_u32_e32 v23, vcc, 0x1f8, v8
	v_addc_co_u32_e32 v24, vcc, 0, v9, vcc
	buffer_store_dword v23, off, s[0:3], s33 offset:300 ; 4-byte Folded Spill
	s_nop 0
	buffer_store_dword v24, off, s[0:3], s33 offset:304 ; 4-byte Folded Spill
	v_mov_b32_e32 v23, 0
	v_and_b32_e32 v1, 4, v5
	v_mov_b32_e32 v24, 0
	buffer_store_dword v23, off, s[0:3], s33 offset:160 ; 4-byte Folded Spill
	s_nop 0
	buffer_store_dword v24, off, s[0:3], s33 offset:164 ; 4-byte Folded Spill
	buffer_store_dword v25, off, s[0:3], s33 offset:168 ; 4-byte Folded Spill
	;; [unrolled: 1-line block ×3, first 2 shown]
	v_cmp_ne_u32_e32 vcc, 0, v1
                                        ; implicit-def: $vgpr1
                                        ; kill: killed $vgpr1
                                        ; implicit-def: $vgpr23_vgpr24
                                        ; kill: killed $vgpr23_vgpr24
                                        ; implicit-def: $vgpr38_vgpr39
	s_and_saveexec_b64 s[6:7], vcc
	s_cbranch_execz .LBB4_32
; %bb.29:
	v_and_b32_e32 v1, 0x800, v5
	v_cmp_eq_u32_e32 vcc, 0, v1
	s_and_saveexec_b64 s[10:11], vcc
	s_cbranch_execz .LBB4_31
; %bb.30:
	s_trap 2
	buffer_load_dword v23, off, s[0:3], s33 offset:300 ; 4-byte Folded Reload
	buffer_load_dword v24, off, s[0:3], s33 offset:304 ; 4-byte Folded Reload
	s_waitcnt vmcnt(0)
	ds_write_b64 v0, v[23:24]
.LBB4_31:
	s_or_b64 exec, exec, s[10:11]
	flat_load_dwordx2 v[32:33], v[8:9] offset:552
	s_waitcnt vmcnt(0) lgkmcnt(0)
	flat_load_dwordx2 v[38:39], v[32:33] glc
	flat_load_dword v1, v[8:9] offset:576
	flat_load_dwordx2 v[25:26], v[8:9] offset:600
	s_nop 0
	flat_load_dwordx2 v[8:9], v[8:9] offset:520
	s_waitcnt vmcnt(0) lgkmcnt(0)
	buffer_store_dword v8, off, s[0:3], s33 offset:152 ; 4-byte Folded Spill
	s_nop 0
	buffer_store_dword v9, off, s[0:3], s33 offset:156 ; 4-byte Folded Spill
	v_mov_b32_e32 v23, v25
	v_ashrrev_i32_e32 v1, 1, v1
	v_mov_b32_e32 v24, v26
	buffer_store_dword v1, off, s[0:3], s33 offset:184 ; 4-byte Folded Spill
	buffer_store_dword v23, off, s[0:3], s33 offset:160 ; 4-byte Folded Spill
	s_nop 0
	buffer_store_dword v24, off, s[0:3], s33 offset:164 ; 4-byte Folded Spill
	buffer_store_dword v25, off, s[0:3], s33 offset:168 ; 4-byte Folded Spill
	;; [unrolled: 1-line block ×3, first 2 shown]
	v_or_b32_e32 v8, 0x100, v5
	v_cmp_eq_u64_e32 vcc, 0, v[25:26]
	v_cndmask_b32_e32 v5, v8, v5, vcc
.LBB4_32:
	s_or_b64 exec, exec, s[6:7]
.LBB4_33:
	s_or_b64 exec, exec, s[4:5]
	v_and_b32_e32 v1, 24, v5
	v_cmp_ne_u32_e32 vcc, 0, v1
                                        ; implicit-def: $vgpr8_vgpr9
                                        ; kill: killed $vgpr8_vgpr9
	s_and_saveexec_b64 s[4:5], vcc
	s_cbranch_execz .LBB4_41
; %bb.34:
	s_trap 2
	ds_read_b64 v[6:7], v0
	s_waitcnt lgkmcnt(0)
	v_ashrrev_i32_e32 v17, 31, v16
	v_lshlrev_b64 v[8:9], 3, v[16:17]
	v_and_b32_e32 v0, 0xffff, v0
	s_movk_i32 s6, 0xa8
	v_add_co_u32_e32 v6, vcc, v6, v8
	v_addc_co_u32_e32 v7, vcc, v7, v9, vcc
	flat_load_dwordx2 v[6:7], v[6:7]
	s_waitcnt vmcnt(0) lgkmcnt(0)
	v_mad_u64_u32 v[0:1], s[6:7], v0, s6, v[6:7]
	buffer_store_dword v0, off, s[0:3], s33 offset:300 ; 4-byte Folded Spill
	s_nop 0
	buffer_store_dword v1, off, s[0:3], s33 offset:304 ; 4-byte Folded Spill
	flat_load_dwordx4 v[6:9], v[0:1] offset:96
	v_or_b32_e32 v0, 0x100, v5
	s_waitcnt vmcnt(0) lgkmcnt(0)
	buffer_store_dword v6, off, s[0:3], s33 offset:160 ; 4-byte Folded Spill
	s_nop 0
	buffer_store_dword v7, off, s[0:3], s33 offset:164 ; 4-byte Folded Spill
	buffer_store_dword v8, off, s[0:3], s33 offset:168 ; 4-byte Folded Spill
	;; [unrolled: 1-line block ×3, first 2 shown]
	v_cmp_eq_u64_e32 vcc, 0, v[6:7]
	v_cndmask_b32_e32 v5, v0, v5, vcc
	v_and_b32_e32 v0, 16, v5
	v_cmp_ne_u32_e32 vcc, 0, v0
                                        ; implicit-def: $vgpr0_vgpr1
                                        ; kill: killed $vgpr0_vgpr1
	s_and_saveexec_b64 s[6:7], vcc
	s_cbranch_execz .LBB4_36
; %bb.35:
	buffer_load_dword v0, off, s[0:3], s33 offset:300 ; 4-byte Folded Reload
	buffer_load_dword v1, off, s[0:3], s33 offset:304 ; 4-byte Folded Reload
	s_waitcnt vmcnt(0)
	flat_load_dwordx2 v[32:33], v[0:1] offset:48
	flat_load_dwordx2 v[6:7], v[0:1] offset:120
	s_waitcnt vmcnt(0) lgkmcnt(0)
	buffer_store_dword v6, off, s[0:3], s33 offset:176 ; 4-byte Folded Spill
	s_nop 0
	buffer_store_dword v7, off, s[0:3], s33 offset:180 ; 4-byte Folded Spill
	flat_load_dwordx2 v[0:1], v[0:1] offset:16
	s_waitcnt vmcnt(0) lgkmcnt(0)
	buffer_store_dword v0, off, s[0:3], s33 offset:152 ; 4-byte Folded Spill
	s_nop 0
	buffer_store_dword v1, off, s[0:3], s33 offset:156 ; 4-byte Folded Spill
.LBB4_36:
	s_or_b64 exec, exec, s[6:7]
	buffer_load_dword v6, off, s[0:3], s33 offset:160 ; 4-byte Folded Reload
	buffer_load_dword v7, off, s[0:3], s33 offset:164 ; 4-byte Folded Reload
	;; [unrolled: 1-line block ×4, first 2 shown]
	s_waitcnt vmcnt(1)
	v_add_co_u32_e32 v0, vcc, 3, v8
	s_waitcnt vmcnt(0)
	v_addc_co_u32_e32 v7, vcc, 0, v9, vcc
	v_and_b32_e32 v6, -4, v0
	v_and_b32_e32 v0, 8, v5
	v_cmp_ne_u32_e32 vcc, 0, v0
	s_and_saveexec_b64 s[6:7], vcc
	s_cbranch_execz .LBB4_40
; %bb.37:
	v_and_b32_e32 v0, 0x800, v5
	v_cmp_eq_u32_e32 vcc, 0, v0
	s_and_saveexec_b64 s[10:11], vcc
	s_cbranch_execz .LBB4_39
; %bb.38:
	s_trap 2
	buffer_load_dword v0, off, s[0:3], s33 offset:300 ; 4-byte Folded Reload
	buffer_load_dword v1, off, s[0:3], s33 offset:304 ; 4-byte Folded Reload
	s_waitcnt vmcnt(0)
	ds_write_b64 v0, v[0:1]
.LBB4_39:
	s_or_b64 exec, exec, s[10:11]
	buffer_load_dword v8, off, s[0:3], s33 offset:300 ; 4-byte Folded Reload
	buffer_load_dword v9, off, s[0:3], s33 offset:304 ; 4-byte Folded Reload
	s_waitcnt vmcnt(0)
	flat_load_dwordx2 v[32:33], v[8:9] offset:56
	s_waitcnt vmcnt(0) lgkmcnt(0)
	flat_load_dwordx2 v[38:39], v[32:33] glc
	flat_load_dword v0, v[8:9] offset:72
	s_nop 0
	flat_load_dwordx2 v[8:9], v[8:9] offset:16
	s_waitcnt vmcnt(0) lgkmcnt(0)
	buffer_store_dword v8, off, s[0:3], s33 offset:152 ; 4-byte Folded Spill
	s_nop 0
	buffer_store_dword v9, off, s[0:3], s33 offset:156 ; 4-byte Folded Spill
	v_ashrrev_i32_e32 v0, 1, v0
	buffer_store_dword v0, off, s[0:3], s33 offset:184 ; 4-byte Folded Spill
.LBB4_40:
	s_or_b64 exec, exec, s[6:7]
.LBB4_41:
	s_or_b64 exec, exec, s[4:5]
	buffer_load_dword v0, off, s[0:3], s33 offset:216 ; 4-byte Folded Reload
	s_waitcnt vmcnt(0)
	v_cmp_eq_u32_e64 s[4:5], 0, v0
	s_and_saveexec_b64 s[6:7], s[4:5]
	s_cbranch_execz .LBB4_43
; %bb.42:
	flat_load_dwordx2 v[0:1], v[2:3] offset:32
	v_mov_b32_e32 v8, v12
	v_mov_b32_e32 v9, v13
	s_waitcnt vmcnt(0) lgkmcnt(0)
	ds_write2_b64 v0, v[8:9], v[10:11] offset1:1
	s_trap 2
	ds_write_b64 v0, v[0:1]
	ds_write_b64 v0, v[14:15]
.LBB4_43:
	s_or_b64 exec, exec, s[6:7]
	v_mov_b32_e32 v36, 0
	v_mov_b32_e32 v37, 0
	v_cmp_lt_i64_e32 vcc, 0, v[21:22]
	s_mov_b64 s[6:7], exec
	v_writelane_b32 v62, s6, 2
	v_writelane_b32 v62, s7, 3
	s_and_b64 s[6:7], s[6:7], vcc
	s_mov_b64 exec, s[6:7]
	s_cbranch_execz .LBB4_3340
; %bb.44:
	flat_load_dword v0, v[2:3] offset:4
	buffer_load_dword v8, off, s[0:3], s33 offset:216 ; 4-byte Folded Reload
	v_mov_b32_e32 v2, 0
	buffer_load_dword v3, off, s[0:3], s33 offset:184 ; 4-byte Folded Reload
	v_and_b32_e32 v13, 0x1fffff00, v4
	buffer_store_dword v31, off, s[0:3], s33 offset:312 ; 4-byte Folded Spill
	v_mov_b32_e32 v14, v2
	v_and_b32_e32 v1, 63, v31
	v_lshrrev_b32_e32 v59, 6, v19
	v_mov_b32_e32 v4, 0xfffffe00
	s_movk_i32 s24, 0x800
	v_lshl_add_u32 v54, v59, 9, v4
	s_ashr_i32 s9, s8, 31
	s_movk_i32 s26, 0x200
	s_lshr_b32 s9, s9, 29
	s_add_i32 s8, s8, s9
	v_ashrrev_i32_e32 v55, 31, v54
	v_writelane_b32 v62, s28, 4
	s_ashr_i32 s51, s50, 31
	s_ashr_i32 s9, s8, 4
	v_writelane_b32 v62, s29, 5
	s_movk_i32 s52, 0x400
	s_movk_i32 s27, 0x80
	v_cmp_eq_u32_e64 s[6:7], 64, v19
	v_cmp_ne_u32_e64 s[10:11], 64, v19
	v_cmp_ne_u32_sdwa s[56:57], v19, v20 src0_sel:DWORD src1_sel:WORD_0
	v_mov_b32_e32 v36, 0
	s_mov_b64 s[58:59], 0
	v_mov_b32_e32 v37, 0
	s_mov_b32 s46, 0x7f800000
	s_movk_i32 s47, 0x7fff
	s_mov_b32 s44, 0xffff0000
	s_movk_i32 s45, 0x108
	s_waitcnt vmcnt(0) lgkmcnt(0)
	v_and_b32_e32 v0, 1, v0
	v_and_b32_e32 v11, 63, v8
	v_lshrrev_b32_e32 v12, 6, v8
	v_ashrrev_i32_e32 v3, 31, v3
	buffer_store_dword v3, off, s[0:3], s33 offset:196 ; 4-byte Folded Spill
	s_trap 2
	buffer_store_dword v20, off, s[0:3], s33 offset:316 ; 4-byte Folded Spill
	buffer_store_dword v19, off, s[0:3], s33 offset:308 ; 4-byte Folded Spill
	buffer_load_dword v9, off, s[0:3], s33 offset:176 ; 4-byte Folded Reload
	buffer_load_dword v10, off, s[0:3], s33 offset:180 ; 4-byte Folded Reload
	s_nop 0
	buffer_store_dword v13, off, s[0:3], s33 offset:236 ; 4-byte Folded Spill
	s_nop 0
	buffer_store_dword v14, off, s[0:3], s33 offset:240 ; 4-byte Folded Spill
	v_mov_b32_e32 v3, 0xfffff800
	v_lshl_add_u32 v3, v59, 11, v3
	v_ashrrev_i32_e32 v4, 31, v3
	buffer_store_dword v11, off, s[0:3], s33 offset:200 ; 4-byte Folded Spill
	buffer_store_dword v12, off, s[0:3], s33 offset:220 ; 4-byte Folded Spill
	v_add_co_u32_e64 v47, s[24:25], s24, v3
	v_cmp_ge_u32_e32 vcc, v8, v19
	v_cmp_lt_u32_e64 s[20:21], v11, v18
	v_cmp_le_u32_e64 s[22:23], v11, v18
	v_mov_b32_e32 v18, 0
	v_cmp_eq_u32_e64 s[18:19], 0, v11
	v_mov_b32_e32 v19, 0
	v_mad_i64_i32 v[16:17], s[16:17], v13, s50, 0
	v_cmp_eq_u32_e64 s[16:17], 0, v1
	v_lshlrev_b32_e32 v1, 4, v11
	v_lshl_or_b32 v1, v12, 11, v1
	buffer_store_dword v1, off, s[0:3], s33 offset:224 ; 4-byte Folded Spill
	buffer_store_dword v3, off, s[0:3], s33 offset:188 ; 4-byte Folded Spill
	s_nop 0
	buffer_store_dword v4, off, s[0:3], s33 offset:192 ; 4-byte Folded Spill
	s_waitcnt vmcnt(7)
	v_cmp_eq_u64_e64 s[12:13], 0, v[9:10]
	v_cmp_ne_u64_e64 s[14:15], 0, v[9:10]
	v_lshlrev_b32_e32 v9, 10, v59
	v_add_u32_e32 v9, 0xfffffc00, v9
	v_lshlrev_b32_e32 v10, 7, v59
	v_ashrrev_i32_e32 v49, 31, v9
	v_add_u32_e32 v40, 0xffffff80, v10
	v_ashrrev_i32_e32 v41, 31, v40
	buffer_store_dword v9, off, s[0:3], s33 offset:128 ; 4-byte Folded Spill
	v_addc_co_u32_e64 v1, s[24:25], 0, v4, s[24:25]
	buffer_store_dword v1, off, s[0:3], s33 offset:148 ; 4-byte Folded Spill
	v_add_co_u32_e64 v1, s[24:25], s26, v54
	v_addc_co_u32_e64 v42, s[24:25], 0, v55, s[24:25]
	s_add_u32 s24, s50, -1
	v_writelane_b32 v62, s24, 6
	v_add_co_u32_e64 v3, s[24:25], s52, v9
	buffer_store_dword v3, off, s[0:3], s33 offset:132 ; 4-byte Folded Spill
	v_addc_co_u32_e64 v3, s[24:25], 0, v49, s[24:25]
	buffer_store_dword v3, off, s[0:3], s33 offset:136 ; 4-byte Folded Spill
	v_add_co_u32_e64 v3, s[24:25], s27, v40
	buffer_store_dword v3, off, s[0:3], s33 offset:140 ; 4-byte Folded Spill
	v_addc_co_u32_e64 v3, s[24:25], 0, v41, s[24:25]
	s_addc_u32 s54, s51, -1
	s_add_i32 s55, s50, s50
	s_not_b32 s24, s50
	s_cmp_gt_i32 s50, 0
	s_cselect_b32 s24, s24, -1
	s_ashr_i32 s8, s8, 31
	s_lshr_b32 s8, s8, 28
	s_add_i32 s64, s24, s55
	s_add_i32 s9, s9, s8
	s_ashr_i32 s65, s64, 31
	s_ashr_i32 s66, s9, 4
	s_cmp_gt_i32 s50, 2
	s_cselect_b64 s[60:61], -1, 0
	s_lshr_b32 s8, s33, 6
	s_add_i32 s67, s8, 0x70
	s_lshr_b32 s8, s33, 6
	s_add_i32 s68, s8, 0x50
	;; [unrolled: 2-line block ×10, first 2 shown]
	s_lshr_b32 s8, s33, 6
	v_cmp_eq_u32_e64 s[24:25], 1, v0
	s_add_i32 s85, s8, 0x70
	s_lshr_b32 s8, s33, 6
	s_xor_b64 s[62:63], s[24:25], -1
	s_add_i32 s86, s8, 0x50
	s_add_i32 s8, s50, 1
	s_cmp_ge_i32 s8, s50
	s_cselect_b32 s9, s50, 0
	s_sub_i32 s87, s8, s9
	v_lshlrev_b32_e32 v0, 4, v8
	s_ashr_i32 s96, s87, 31
	s_add_i32 s97, s50, -2
	s_xor_b64 s[72:73], vcc, -1
	buffer_store_dword v3, off, s[0:3], s33 offset:144 ; 4-byte Folded Spill
	buffer_store_dword v0, off, s[0:3], s33 offset:212 ; 4-byte Folded Spill
	;; [unrolled: 1-line block ×3, first 2 shown]
	s_nop 0
	buffer_store_dword v22, off, s[0:3], s33 offset:280 ; 4-byte Folded Spill
	buffer_store_dword v23, off, s[0:3], s33 offset:284 ; 4-byte Folded Spill
	;; [unrolled: 1-line block ×4, first 2 shown]
	s_nop 0
	buffer_store_dword v17, off, s[0:3], s33 offset:296 ; 4-byte Folded Spill
	s_branch .LBB4_47
.LBB4_45:                               ;   in Loop: Header=BB4_47 Depth=1
	s_or_b64 exec, exec, s[40:41]
.LBB4_46:                               ;   in Loop: Header=BB4_47 Depth=1
	s_or_b64 exec, exec, s[28:29]
	buffer_load_dword v16, off, s[0:3], s33 offset:292 ; 4-byte Folded Reload
	buffer_load_dword v17, off, s[0:3], s33 offset:296 ; 4-byte Folded Reload
	;; [unrolled: 1-line block ×8, first 2 shown]
	s_waitcnt vmcnt(0)
	v_add_co_u32_e32 v18, vcc, v18, v16
	v_addc_co_u32_e32 v19, vcc, v19, v17, vcc
	v_cmp_ge_i64_e32 vcc, v[18:19], v[21:22]
	s_or_b64 s[58:59], vcc, s[58:59]
	s_andn2_b64 exec, exec, s[58:59]
	s_cbranch_execz .LBB4_3339
.LBB4_47:                               ; =>This Loop Header: Depth=1
                                        ;     Child Loop BB4_57 Depth 2
                                        ;       Child Loop BB4_65 Depth 3
                                        ;       Child Loop BB4_89 Depth 3
	;; [unrolled: 1-line block ×9, first 2 shown]
                                        ;     Child Loop BB4_576 Depth 2
                                        ;       Child Loop BB4_582 Depth 3
                                        ;       Child Loop BB4_606 Depth 3
	;; [unrolled: 1-line block ×3, first 2 shown]
                                        ;     Child Loop BB4_648 Depth 2
                                        ;       Child Loop BB4_651 Depth 3
                                        ;         Child Loop BB4_659 Depth 4
                                        ;         Child Loop BB4_687 Depth 4
	;; [unrolled: 1-line block ×4, first 2 shown]
                                        ;           Child Loop BB4_736 Depth 5
                                        ;           Child Loop BB4_805 Depth 5
                                        ;         Child Loop BB4_944 Depth 4
                                        ;           Child Loop BB4_945 Depth 5
                                        ;           Child Loop BB4_1014 Depth 5
                                        ;         Child Loop BB4_1155 Depth 4
                                        ;         Child Loop BB4_1262 Depth 4
                                        ;           Child Loop BB4_1263 Depth 5
                                        ;           Child Loop BB4_1276 Depth 5
                                        ;         Child Loop BB4_1303 Depth 4
                                        ;         Child Loop BB4_1322 Depth 4
                                        ;       Child Loop BB4_1341 Depth 3
                                        ;         Child Loop BB4_1347 Depth 4
                                        ;         Child Loop BB4_1375 Depth 4
	;; [unrolled: 1-line block ×3, first 2 shown]
                                        ;     Child Loop BB4_1416 Depth 2
                                        ;       Child Loop BB4_1424 Depth 3
                                        ;       Child Loop BB4_1452 Depth 3
	;; [unrolled: 1-line block ×4, first 2 shown]
                                        ;         Child Loop BB4_1495 Depth 4
                                        ;         Child Loop BB4_1562 Depth 4
	;; [unrolled: 1-line block ×4, first 2 shown]
                                        ;       Child Loop BB4_1705 Depth 3
                                        ;       Child Loop BB4_1710 Depth 3
                                        ;         Child Loop BB4_1711 Depth 4
                                        ;         Child Loop BB4_1778 Depth 4
	;; [unrolled: 1-line block ×4, first 2 shown]
                                        ;       Child Loop BB4_1918 Depth 3
                                        ;       Child Loop BB4_1926 Depth 3
	;; [unrolled: 1-line block ×3, first 2 shown]
                                        ;         Child Loop BB4_2036 Depth 4
                                        ;         Child Loop BB4_2047 Depth 4
	;; [unrolled: 1-line block ×4, first 2 shown]
                                        ;       Child Loop BB4_2074 Depth 3
                                        ;       Child Loop BB4_2086 Depth 3
                                        ;         Child Loop BB4_2087 Depth 4
                                        ;         Child Loop BB4_2156 Depth 4
                                        ;       Child Loop BB4_2297 Depth 3
                                        ;         Child Loop BB4_2298 Depth 4
                                        ;         Child Loop BB4_2367 Depth 4
                                        ;       Child Loop BB4_2508 Depth 3
                                        ;       Child Loop BB4_2615 Depth 3
                                        ;         Child Loop BB4_2616 Depth 4
                                        ;         Child Loop BB4_2629 Depth 4
                                        ;       Child Loop BB4_2656 Depth 3
                                        ;       Child Loop BB4_2679 Depth 3
                                        ;     Child Loop BB4_2697 Depth 2
                                        ;       Child Loop BB4_2703 Depth 3
                                        ;       Child Loop BB4_2731 Depth 3
	;; [unrolled: 1-line block ×3, first 2 shown]
                                        ;     Child Loop BB4_2773 Depth 2
                                        ;       Child Loop BB4_2776 Depth 3
                                        ;         Child Loop BB4_2784 Depth 4
                                        ;         Child Loop BB4_2812 Depth 4
                                        ;         Child Loop BB4_2831 Depth 4
                                        ;         Child Loop BB4_2854 Depth 4
                                        ;           Child Loop BB4_2856 Depth 5
                                        ;           Child Loop BB4_2861 Depth 5
                                        ;         Child Loop BB4_2874 Depth 4
                                        ;         Child Loop BB4_2879 Depth 4
                                        ;           Child Loop BB4_2881 Depth 5
                                        ;           Child Loop BB4_2886 Depth 5
                                        ;         Child Loop BB4_2892 Depth 4
                                        ;         Child Loop BB4_2900 Depth 4
	;; [unrolled: 1-line block ×3, first 2 shown]
                                        ;           Child Loop BB4_2912 Depth 5
                                        ;           Child Loop BB4_2917 Depth 5
                                        ;         Child Loop BB4_2921 Depth 4
                                        ;         Child Loop BB4_2933 Depth 4
	;; [unrolled: 1-line block ×7, first 2 shown]
                                        ;       Child Loop BB4_3025 Depth 3
                                        ;         Child Loop BB4_3031 Depth 4
                                        ;         Child Loop BB4_3059 Depth 4
	;; [unrolled: 1-line block ×3, first 2 shown]
                                        ;     Child Loop BB4_3104 Depth 2
                                        ;       Child Loop BB4_3112 Depth 3
                                        ;       Child Loop BB4_3136 Depth 3
	;; [unrolled: 1-line block ×9, first 2 shown]
                                        ;     Child Loop BB4_3273 Depth 2
                                        ;       Child Loop BB4_3279 Depth 3
                                        ;       Child Loop BB4_3303 Depth 3
                                        ;       Child Loop BB4_3326 Depth 3
	v_sub_co_u32_e32 v3, vcc, v21, v18
	v_subb_co_u32_e32 v4, vcc, v22, v19, vcc
	buffer_store_dword v3, off, s[0:3], s33 offset:228 ; 4-byte Folded Spill
	s_nop 0
	buffer_store_dword v4, off, s[0:3], s33 offset:232 ; 4-byte Folded Spill
	v_cmp_lt_i64_e32 vcc, v[3:4], v[16:17]
	s_and_saveexec_b64 s[28:29], vcc
	s_cbranch_execz .LBB4_53
; %bb.48:                               ;   in Loop: Header=BB4_47 Depth=1
	buffer_load_dword v8, off, s[0:3], s33 offset:228 ; 4-byte Folded Reload
	buffer_load_dword v9, off, s[0:3], s33 offset:232 ; 4-byte Folded Reload
	v_readlane_b32 s8, v62, 6
	v_mov_b32_e32 v3, s54
	s_waitcnt vmcnt(0)
	v_add_co_u32_e32 v0, vcc, s8, v8
	s_waitcnt vmcnt(0)
	v_addc_co_u32_e32 v8, vcc, v3, v9, vcc
	v_or_b32_e32 v3, s51, v8
	v_cmp_ne_u64_e32 vcc, 0, v[2:3]
                                        ; implicit-def: $vgpr3_vgpr4
	s_and_saveexec_b64 s[8:9], vcc
	s_xor_b64 s[40:41], exec, s[8:9]
	s_cbranch_execz .LBB4_50
; %bb.49:                               ;   in Loop: Header=BB4_47 Depth=1
	s_ashr_i32 s42, s51, 31
	s_add_u32 s8, s50, s42
	s_mov_b32 s43, s42
	s_addc_u32 s9, s51, s42
	s_xor_b64 s[74:75], s[8:9], s[42:43]
	v_cvt_f32_u32_e32 v3, s74
	v_cvt_f32_u32_e32 v4, s75
	s_sub_u32 s26, 0, s74
	s_subb_u32 s27, 0, s75
	v_ashrrev_i32_e32 v10, 31, v8
	v_mac_f32_e32 v3, 0x4f800000, v4
	v_rcp_f32_e32 v3, v3
	v_add_co_u32_e32 v0, vcc, v0, v10
	v_xor_b32_e32 v0, v0, v10
	v_mul_f32_e32 v3, 0x5f7ffffc, v3
	v_mul_f32_e32 v4, 0x2f800000, v3
	v_trunc_f32_e32 v4, v4
	v_mac_f32_e32 v3, 0xcf800000, v4
	v_cvt_u32_f32_e32 v4, v4
	v_cvt_u32_f32_e32 v3, v3
	v_addc_co_u32_e32 v8, vcc, v8, v10, vcc
	v_readfirstlane_b32 s43, v4
	v_readfirstlane_b32 s8, v3
	s_mul_i32 s9, s26, s43
	s_mul_hi_u32 s77, s26, s8
	s_mul_i32 s76, s27, s8
	s_add_i32 s9, s77, s9
	s_add_i32 s9, s9, s76
	s_mul_i32 s78, s26, s8
	s_mul_i32 s77, s8, s9
	s_mul_hi_u32 s79, s8, s78
	s_mul_hi_u32 s76, s8, s9
	s_add_u32 s77, s79, s77
	s_addc_u32 s76, 0, s76
	s_mul_hi_u32 s88, s43, s78
	s_mul_i32 s78, s43, s78
	s_add_u32 s77, s77, s78
	s_mul_hi_u32 s79, s43, s9
	s_addc_u32 s76, s76, s88
	s_addc_u32 s77, s79, 0
	s_mul_i32 s9, s43, s9
	s_add_u32 s9, s76, s9
	s_addc_u32 s76, 0, s77
	s_add_u32 s77, s8, s9
	s_cselect_b64 s[8:9], -1, 0
	s_cmp_lg_u64 s[8:9], 0
	s_addc_u32 s43, s43, s76
	s_mul_i32 s8, s26, s43
	s_mul_hi_u32 s9, s26, s77
	s_add_i32 s8, s9, s8
	s_mul_i32 s27, s27, s77
	s_add_i32 s8, s8, s27
	s_mul_i32 s26, s26, s77
	s_mul_hi_u32 s27, s43, s26
	s_mul_i32 s76, s43, s26
	s_mul_i32 s79, s77, s8
	s_mul_hi_u32 s26, s77, s26
	s_mul_hi_u32 s78, s77, s8
	s_add_u32 s26, s26, s79
	s_addc_u32 s78, 0, s78
	s_add_u32 s26, s26, s76
	s_mul_hi_u32 s9, s43, s8
	s_addc_u32 s26, s78, s27
	s_addc_u32 s9, s9, 0
	s_mul_i32 s8, s43, s8
	s_add_u32 s8, s26, s8
	s_addc_u32 s26, 0, s9
	s_add_u32 s27, s77, s8
	s_cselect_b64 s[8:9], -1, 0
	s_cmp_lg_u64 s[8:9], 0
	s_addc_u32 s26, s43, s26
	v_mad_u64_u32 v[3:4], s[8:9], v0, s26, 0
	v_mul_hi_u32 v9, v0, s27
	v_xor_b32_e32 v11, v8, v10
	v_add_co_u32_e32 v12, vcc, v9, v3
	v_addc_co_u32_e32 v13, vcc, 0, v4, vcc
	v_mad_u64_u32 v[3:4], s[8:9], v11, s27, 0
	v_mad_u64_u32 v[8:9], s[8:9], v11, s26, 0
	v_add_co_u32_e32 v3, vcc, v12, v3
	v_addc_co_u32_e32 v3, vcc, v13, v4, vcc
	v_addc_co_u32_e32 v4, vcc, 0, v9, vcc
	v_add_co_u32_e32 v8, vcc, v3, v8
	v_addc_co_u32_e32 v9, vcc, 0, v4, vcc
	v_mul_lo_u32 v12, s75, v8
	v_mul_lo_u32 v13, s74, v9
	v_mad_u64_u32 v[3:4], s[8:9], s74, v8, 0
	v_add3_u32 v4, v4, v13, v12
	v_sub_u32_e32 v12, v11, v4
	v_mov_b32_e32 v13, s75
	v_sub_co_u32_e32 v0, vcc, v0, v3
	v_subb_co_u32_e64 v3, s[26:27], v12, v13, vcc
	v_subrev_co_u32_e64 v12, s[26:27], s74, v0
	v_subbrev_co_u32_e64 v3, s[26:27], 0, v3, s[26:27]
	v_cmp_le_u32_e64 s[26:27], s75, v3
	v_cndmask_b32_e64 v13, 0, -1, s[26:27]
	v_cmp_le_u32_e64 s[26:27], s74, v12
	v_cndmask_b32_e64 v12, 0, -1, s[26:27]
	v_cmp_eq_u32_e64 s[26:27], s75, v3
	v_cndmask_b32_e64 v3, v13, v12, s[26:27]
	v_add_co_u32_e64 v12, s[26:27], 2, v8
	v_subb_co_u32_e32 v4, vcc, v11, v4, vcc
	v_addc_co_u32_e64 v13, s[26:27], 0, v9, s[26:27]
	v_cmp_le_u32_e32 vcc, s75, v4
	v_add_co_u32_e64 v14, s[26:27], 1, v8
	v_cndmask_b32_e64 v11, 0, -1, vcc
	v_cmp_le_u32_e32 vcc, s74, v0
	v_addc_co_u32_e64 v15, s[26:27], 0, v9, s[26:27]
	v_cndmask_b32_e64 v0, 0, -1, vcc
	v_cmp_eq_u32_e32 vcc, s75, v4
	v_cmp_ne_u32_e64 s[26:27], 0, v3
	v_cndmask_b32_e32 v0, v11, v0, vcc
	v_cndmask_b32_e64 v3, v15, v13, s[26:27]
	v_cmp_ne_u32_e32 vcc, 0, v0
	v_cndmask_b32_e32 v0, v9, v3, vcc
	v_cndmask_b32_e64 v3, v14, v12, s[26:27]
	v_cndmask_b32_e32 v3, v8, v3, vcc
	v_xor_b32_e32 v4, s42, v10
	v_xor_b32_e32 v3, v3, v4
	;; [unrolled: 1-line block ×3, first 2 shown]
	v_sub_co_u32_e32 v3, vcc, v3, v4
	v_subb_co_u32_e32 v4, vcc, v0, v4, vcc
                                        ; implicit-def: $vgpr0
.LBB4_50:                               ;   in Loop: Header=BB4_47 Depth=1
	s_andn2_saveexec_b64 s[40:41], s[40:41]
	s_cbranch_execz .LBB4_52
; %bb.51:                               ;   in Loop: Header=BB4_47 Depth=1
	v_cvt_f32_u32_e32 v3, s50
	s_sub_i32 s8, 0, s50
	v_rcp_iflag_f32_e32 v3, v3
	v_mul_f32_e32 v3, 0x4f7ffffe, v3
	v_cvt_u32_f32_e32 v3, v3
	v_mul_lo_u32 v4, s8, v3
	v_mul_hi_u32 v4, v3, v4
	v_add_u32_e32 v3, v3, v4
	v_mul_hi_u32 v3, v0, v3
	v_mul_lo_u32 v4, v3, s50
	v_sub_u32_e32 v0, v0, v4
	v_cmp_le_u32_e32 vcc, s50, v0
	v_subrev_u32_e32 v4, s50, v0
	v_cndmask_b32_e32 v0, v0, v4, vcc
	v_cmp_le_u32_e64 s[26:27], s50, v0
	v_add_u32_e32 v0, 1, v3
	v_cndmask_b32_e32 v0, v3, v0, vcc
	v_add_u32_e32 v3, 1, v0
	v_cndmask_b32_e64 v3, v0, v3, s[26:27]
	v_mov_b32_e32 v4, v2
.LBB4_52:                               ;   in Loop: Header=BB4_47 Depth=1
	s_or_b64 exec, exec, s[40:41]
	v_add_co_u32_e32 v0, vcc, 7, v3
	v_addc_co_u32_e32 v4, vcc, 0, v4, vcc
	v_and_b32_e32 v3, -8, v0
	buffer_store_dword v3, off, s[0:3], s33 offset:236 ; 4-byte Folded Spill
	s_nop 0
	buffer_store_dword v4, off, s[0:3], s33 offset:240 ; 4-byte Folded Spill
.LBB4_53:                               ;   in Loop: Header=BB4_47 Depth=1
	s_or_b64 exec, exec, s[28:29]
	buffer_load_dword v10, off, s[0:3], s33 offset:236 ; 4-byte Folded Reload
	buffer_load_dword v11, off, s[0:3], s33 offset:240 ; 4-byte Folded Reload
	v_mov_b32_e32 v26, 0
	s_waitcnt vmcnt(0)
	v_mul_lo_u32 v8, v10, s65
	s_waitcnt vmcnt(0)
	v_mul_lo_u32 v0, v11, s64
	v_mad_u64_u32 v[3:4], s[8:9], v10, s64, 0
	v_add3_u32 v4, v4, v8, v0
	buffer_load_dword v8, off, s[0:3], s33 offset:268 ; 4-byte Folded Reload
	buffer_load_dword v9, off, s[0:3], s33 offset:272 ; 4-byte Folded Reload
	v_mov_b32_e32 v0, 0
	s_waitcnt vmcnt(0)
	v_add_co_u32_e32 v8, vcc, v18, v8
	buffer_store_dword v18, off, s[0:3], s33 offset:260 ; 4-byte Folded Spill
	s_nop 0
	buffer_store_dword v19, off, s[0:3], s33 offset:264 ; 4-byte Folded Spill
	s_waitcnt vmcnt(2)
	v_addc_co_u32_e32 v9, vcc, v19, v9, vcc
	buffer_store_dword v8, off, s[0:3], s33 offset:204 ; 4-byte Folded Spill
	s_nop 0
	buffer_store_dword v9, off, s[0:3], s33 offset:208 ; 4-byte Folded Spill
	buffer_load_dword v8, off, s[0:3], s33 offset:228 ; 4-byte Folded Reload
	s_nop 0
	buffer_load_dword v9, off, s[0:3], s33 offset:232 ; 4-byte Folded Reload
	s_waitcnt vmcnt(0)
	v_sub_co_u32_e32 v8, vcc, v8, v3
	s_waitcnt vmcnt(0)
	v_subb_co_u32_e32 v9, vcc, v9, v4, vcc
	v_cmp_lt_i64_e32 vcc, v[10:11], v[8:9]
	v_cndmask_b32_e32 v8, v8, v10, vcc
	v_max_i32_e32 v52, 0, v8
	v_add_u32_e32 v9, 31, v52
	v_lshrrev_b32_e32 v9, 1, v9
	v_and_b32_e32 v9, 0x3ffffff0, v9
	v_cmp_lt_i32_e32 vcc, 0, v8
	v_max_i32_e32 v60, s66, v9
	s_and_b64 s[8:9], s[72:73], vcc
	s_and_saveexec_b64 s[28:29], s[8:9]
	s_cbranch_execz .LBB4_572
; %bb.54:                               ;   in Loop: Header=BB4_47 Depth=1
	v_lshlrev_b64 v[28:29], 1, v[3:4]
	s_mov_b32 s9, 1
	s_mov_b64 s[42:43], -1
	v_mov_b32_e32 v26, 0
	s_mov_b64 s[40:41], 0
	buffer_store_dword v28, off, s[0:3], s33 offset:244 ; 4-byte Folded Spill
	s_nop 0
	buffer_store_dword v29, off, s[0:3], s33 offset:248 ; 4-byte Folded Spill
	s_branch .LBB4_57
.LBB4_55:                               ;   in Loop: Header=BB4_57 Depth=2
	s_or_b64 exec, exec, s[74:75]
	v_add_co_u32_e32 v6, vcc, 2, v6
	v_addc_co_u32_e32 v7, vcc, 0, v7, vcc
	flat_store_dwordx2 v[32:33], v[6:7]
.LBB4_56:                               ;   in Loop: Header=BB4_57 Depth=2
	s_or_b64 exec, exec, s[26:27]
	v_add_u32_e32 v26, v60, v26
	v_cmp_ge_i32_e32 vcc, v26, v52
	s_xor_b64 s[26:27], s[42:43], -1
	s_or_b64 s[26:27], s[26:27], vcc
	s_and_b64 s[26:27], exec, s[26:27]
	s_or_b64 s[40:41], s[26:27], s[40:41]
	s_mov_b64 s[42:43], 0
	v_mov_b32_e32 v0, s9
	s_mov_b32 s9, 2
	s_andn2_b64 exec, exec, s[40:41]
	s_cbranch_execz .LBB4_571
.LBB4_57:                               ;   Parent Loop BB4_47 Depth=1
                                        ; =>  This Loop Header: Depth=2
                                        ;       Child Loop BB4_65 Depth 3
                                        ;       Child Loop BB4_89 Depth 3
	;; [unrolled: 1-line block ×9, first 2 shown]
	s_and_saveexec_b64 s[26:27], s[4:5]
	s_cbranch_execz .LBB4_59
; %bb.58:                               ;   in Loop: Header=BB4_57 Depth=2
	s_trap 2
	ds_read_b64 v[3:4], v0
	buffer_load_dword v8, off, s[0:3], s33 offset:204 ; 4-byte Folded Reload
	buffer_load_dword v9, off, s[0:3], s33 offset:208 ; 4-byte Folded Reload
	v_ashrrev_i32_e32 v27, 31, v26
	s_waitcnt vmcnt(0)
	v_lshlrev_b64 v[8:9], 1, v[8:9]
	s_waitcnt lgkmcnt(0)
	v_add_co_u32_e32 v0, vcc, v3, v8
	v_addc_co_u32_e32 v3, vcc, v4, v9, vcc
	v_add_co_u32_e32 v0, vcc, v0, v28
	v_addc_co_u32_e32 v8, vcc, v3, v29, vcc
	v_lshlrev_b64 v[3:4], 1, v[26:27]
	v_add_co_u32_e32 v3, vcc, v0, v3
	v_addc_co_u32_e32 v4, vcc, v8, v4, vcc
	ds_write_b64 v0, v[3:4]
	v_mov_b32_e32 v3, v2
	ds_write_b64 v0, v[2:3]
.LBB4_59:                               ;   in Loop: Header=BB4_57 Depth=2
	s_or_b64 exec, exec, s[26:27]
	v_sub_u32_e32 v0, v52, v26
	v_min_i32_e32 v60, v60, v0
	v_and_b32_e32 v0, 8, v5
	v_cmp_ne_u32_e32 vcc, 0, v0
	s_and_saveexec_b64 s[74:75], vcc
	s_cbranch_execz .LBB4_81
; %bb.60:                               ;   in Loop: Header=BB4_57 Depth=2
	s_waitcnt lgkmcnt(0)
	v_add_co_u32_e32 v8, vcc, 8, v38
	v_addc_co_u32_e32 v9, vcc, 0, v39, vcc
	v_add_co_u32_e32 v3, vcc, 2, v6
	v_addc_co_u32_e32 v4, vcc, 0, v7, vcc
	v_cmp_lt_u64_e32 vcc, v[8:9], v[3:4]
	s_and_saveexec_b64 s[76:77], vcc
	s_cbranch_execz .LBB4_72
; %bb.61:                               ;   in Loop: Header=BB4_57 Depth=2
	v_and_b32_e32 v0, 64, v5
	s_mov_b32 s48, 0
	v_cmp_eq_u32_e32 vcc, 0, v0
	s_mov_b64 s[78:79], 0
                                        ; implicit-def: $sgpr88_sgpr89
                                        ; implicit-def: $sgpr90_sgpr91
                                        ; implicit-def: $sgpr92_sgpr93
	s_branch .LBB4_65
.LBB4_62:                               ;   in Loop: Header=BB4_65 Depth=3
	s_waitcnt vmcnt(0) lgkmcnt(0)
	v_add_co_u32_e64 v7, s[26:27], 8, v38
	v_addc_co_u32_e64 v8, s[26:27], 0, v39, s[26:27]
	v_cmp_ge_u64_e64 s[26:27], v[7:8], v[3:4]
	s_or_b64 s[34:35], s[34:35], exec
	s_orn2_b64 s[30:31], s[26:27], exec
.LBB4_63:                               ;   in Loop: Header=BB4_65 Depth=3
	s_or_b64 exec, exec, s[38:39]
	s_andn2_b64 s[26:27], s[92:93], exec
	s_and_b64 s[92:93], s[34:35], exec
	s_or_b64 s[92:93], s[26:27], s[92:93]
	s_andn2_b64 s[26:27], s[90:91], exec
	s_and_b64 s[90:91], s[30:31], exec
	s_or_b64 s[90:91], s[26:27], s[90:91]
.LBB4_64:                               ;   in Loop: Header=BB4_65 Depth=3
	s_or_b64 exec, exec, s[94:95]
	s_and_b64 s[26:27], exec, s[90:91]
	s_or_b64 s[78:79], s[26:27], s[78:79]
	s_andn2_b64 s[26:27], s[88:89], exec
	s_and_b64 s[88:89], s[92:93], exec
	s_or_b64 s[88:89], s[26:27], s[88:89]
	s_andn2_b64 exec, exec, s[78:79]
	s_cbranch_execz .LBB4_69
.LBB4_65:                               ;   Parent Loop BB4_47 Depth=1
                                        ;     Parent Loop BB4_57 Depth=2
                                        ; =>    This Inner Loop Header: Depth=3
	s_sleep 1
	s_waitcnt vmcnt(0) lgkmcnt(0)
	flat_load_dwordx2 v[38:39], v[32:33] glc
	s_or_b64 s[92:93], s[92:93], exec
	s_or_b64 s[90:91], s[90:91], exec
                                        ; implicit-def: $vgpr0
	s_and_saveexec_b64 s[94:95], vcc
	s_cbranch_execz .LBB4_64
; %bb.66:                               ;   in Loop: Header=BB4_65 Depth=3
	s_cmpk_lt_i32 s48, 0x270f
	s_cselect_b64 s[36:37], -1, 0
	s_cmpk_gt_i32 s48, 0x270e
	s_mov_b64 s[30:31], -1
	s_cbranch_scc0 .LBB4_68
; %bb.67:                               ;   in Loop: Header=BB4_65 Depth=3
	s_trap 2
	ds_read_b64 v[7:8], v0
	s_andn2_b64 s[36:37], s[36:37], exec
	s_mov_b32 s48, 0
	s_mov_b64 s[34:35], 0
	s_waitcnt vmcnt(0) lgkmcnt(0)
	flat_load_dword v0, v[7:8] glc
	s_waitcnt vmcnt(0) lgkmcnt(0)
	buffer_wbinvl1_vol
	v_cmp_eq_u32_e64 s[26:27], 0, v0
	s_and_b64 s[26:27], s[26:27], exec
	s_or_b64 s[36:37], s[36:37], s[26:27]
	s_and_saveexec_b64 s[38:39], s[36:37]
	s_cbranch_execz .LBB4_63
	s_branch .LBB4_62
.LBB4_68:                               ;   in Loop: Header=BB4_65 Depth=3
	s_add_i32 s48, s48, 1
	s_mov_b64 s[34:35], -1
                                        ; implicit-def: $vgpr0
	s_and_saveexec_b64 s[38:39], s[36:37]
	s_cbranch_execz .LBB4_63
	s_branch .LBB4_62
.LBB4_69:                               ;   in Loop: Header=BB4_57 Depth=2
	s_or_b64 exec, exec, s[78:79]
	s_xor_b64 s[26:27], s[88:89], -1
	s_and_saveexec_b64 s[78:79], s[26:27]
	s_xor_b64 s[26:27], exec, s[78:79]
	s_cbranch_execz .LBB4_71
; %bb.70:                               ;   in Loop: Header=BB4_57 Depth=2
	v_or_b32_e32 v5, 64, v5
	s_waitcnt lgkmcnt(0)
	ds_write_b32 v0, v0
	s_trap 2
.LBB4_71:                               ;   in Loop: Header=BB4_57 Depth=2
	s_or_b64 exec, exec, s[26:27]
.LBB4_72:                               ;   in Loop: Header=BB4_57 Depth=2
	s_or_b64 exec, exec, s[76:77]
	v_and_b32_e32 v0, 0x100, v5
	v_cmp_ne_u32_e32 vcc, 0, v0
	v_and_b32_e32 v0, 7, v6
	s_mov_b64 s[26:27], -1
	;;#ASMSTART
	s_wakeup
	;;#ASMEND
                                        ; implicit-def: $vgpr10_vgpr11
	s_and_saveexec_b64 s[76:77], vcc
	s_cbranch_execz .LBB4_76
; %bb.73:                               ;   in Loop: Header=BB4_57 Depth=2
	buffer_load_dword v6, off, s[0:3], s33 offset:160 ; 4-byte Folded Reload
	buffer_load_dword v7, off, s[0:3], s33 offset:164 ; 4-byte Folded Reload
	;; [unrolled: 1-line block ×4, first 2 shown]
	v_ashrrev_i32_e32 v61, 31, v60
                                        ; implicit-def: $vgpr10_vgpr11
	s_waitcnt vmcnt(0)
	v_mad_u64_u32 v[8:9], s[26:27], v0, 24, v[6:7]
	v_lshlrev_b64 v[6:7], 1, v[60:61]
	flat_store_dwordx2 v[8:9], v[6:7] offset:8
	flat_load_dword v6, v[8:9]
	s_waitcnt vmcnt(0) lgkmcnt(0)
	v_cmp_ne_u32_e32 vcc, 1, v6
	v_cmp_eq_u32_e64 s[26:27], 1, v6
	s_and_saveexec_b64 s[78:79], s[26:27]
	s_cbranch_execz .LBB4_75
; %bb.74:                               ;   in Loop: Header=BB4_57 Depth=2
	flat_load_dword v6, v[8:9] offset:4 glc
	s_waitcnt vmcnt(0) lgkmcnt(0)
	v_ashrrev_i32_e32 v7, 31, v6
	v_lshrrev_b64 v[10:11], 1, v[6:7]
.LBB4_75:                               ;   in Loop: Header=BB4_57 Depth=2
	s_or_b64 exec, exec, s[78:79]
	s_orn2_b64 s[26:27], vcc, exec
.LBB4_76:                               ;   in Loop: Header=BB4_57 Depth=2
	s_or_b64 exec, exec, s[76:77]
	s_and_saveexec_b64 s[76:77], s[26:27]
	s_cbranch_execz .LBB4_78
; %bb.77:                               ;   in Loop: Header=BB4_57 Depth=2
	buffer_load_dword v6, off, s[0:3], s33 offset:184 ; 4-byte Folded Reload
	s_waitcnt vmcnt(0)
	v_mad_i64_i32 v[10:11], s[26:27], v0, v6, 0
.LBB4_78:                               ;   in Loop: Header=BB4_57 Depth=2
	s_or_b64 exec, exec, s[76:77]
	buffer_load_dword v8, off, s[0:3], s33 offset:152 ; 4-byte Folded Reload
	buffer_load_dword v9, off, s[0:3], s33 offset:156 ; 4-byte Folded Reload
	v_lshlrev_b64 v[6:7], 1, v[10:11]
	s_waitcnt vmcnt(0)
	v_add_co_u32_e32 v6, vcc, v8, v6
	v_addc_co_u32_e32 v7, vcc, v9, v7, vcc
	ds_write_b64 v0, v[6:7] offset:784
	v_and_b32_e32 v0, 0x2000, v5
	v_cmp_ne_u32_e32 vcc, 0, v0
	s_and_saveexec_b64 s[26:27], vcc
	s_cbranch_execz .LBB4_80
; %bb.79:                               ;   in Loop: Header=BB4_57 Depth=2
	ds_read_b64 v[6:7], v0 offset:872
	s_waitcnt lgkmcnt(0)
	v_add_co_u32_e32 v6, vcc, 1, v6
	v_addc_co_u32_e32 v7, vcc, 0, v7, vcc
	ds_write_b64 v0, v[6:7] offset:872
.LBB4_80:                               ;   in Loop: Header=BB4_57 Depth=2
	s_or_b64 exec, exec, s[26:27]
	v_mov_b32_e32 v7, v4
	v_mov_b32_e32 v6, v3
.LBB4_81:                               ;   in Loop: Header=BB4_57 Depth=2
	s_or_b64 exec, exec, s[74:75]
	s_and_saveexec_b64 s[26:27], s[10:11]
	s_cbranch_execz .LBB4_100
; %bb.82:                               ;   in Loop: Header=BB4_57 Depth=2
	s_and_saveexec_b64 s[74:75], s[56:57]
	s_xor_b64 s[74:75], exec, s[74:75]
	s_cbranch_execz .LBB4_97
; %bb.83:                               ;   in Loop: Header=BB4_57 Depth=2
	s_and_saveexec_b64 s[76:77], s[16:17]
	s_cbranch_execz .LBB4_96
; %bb.84:                               ;   in Loop: Header=BB4_57 Depth=2
	s_mov_b64 s[88:89], exec
	v_mbcnt_lo_u32_b32 v0, s88, 0
	v_mbcnt_hi_u32_b32 v0, s89, v0
	v_cmp_eq_u32_e32 vcc, 0, v0
	s_waitcnt vmcnt(0) lgkmcnt(0)
	buffer_wbinvl1_vol
	s_and_saveexec_b64 s[78:79], vcc
	s_cbranch_execz .LBB4_86
; %bb.85:                               ;   in Loop: Header=BB4_57 Depth=2
	s_bcnt1_i32_b64 s8, s[88:89]
	v_mov_b32_e32 v3, s8
	v_mov_b32_e32 v4, v2
	ds_add_u64 v0, v[3:4]
	s_trap 2
.LBB4_86:                               ;   in Loop: Header=BB4_57 Depth=2
	s_or_b64 exec, exec, s[78:79]
	s_trap 2
	ds_read_b64 v[3:4], v0
	s_waitcnt lgkmcnt(0)
	v_add_co_u32_e32 v36, vcc, v36, v59
	v_addc_co_u32_e32 v37, vcc, 0, v37, vcc
	v_cmp_lt_u64_e32 vcc, v[3:4], v[36:37]
	s_and_saveexec_b64 s[78:79], vcc
	s_cbranch_execz .LBB4_95
; %bb.87:                               ;   in Loop: Header=BB4_57 Depth=2
	s_mov_b32 s8, 0
	s_mov_b64 s[88:89], 0
                                        ; implicit-def: $sgpr90_sgpr91
                                        ; implicit-def: $sgpr92_sgpr93
	s_branch .LBB4_89
.LBB4_88:                               ;   in Loop: Header=BB4_89 Depth=3
	s_or_b64 exec, exec, s[30:31]
	s_and_b64 s[94:95], exec, vcc
	s_or_b64 s[88:89], s[94:95], s[88:89]
	s_andn2_b64 s[90:91], s[90:91], exec
	s_and_b64 s[94:95], s[92:93], exec
	s_or_b64 s[90:91], s[90:91], s[94:95]
	s_andn2_b64 exec, exec, s[88:89]
	s_cbranch_execz .LBB4_93
.LBB4_89:                               ;   Parent Loop BB4_47 Depth=1
                                        ;     Parent Loop BB4_57 Depth=2
                                        ; =>    This Inner Loop Header: Depth=3
	s_add_i32 s8, s8, 1
	s_cmpk_lg_i32 s8, 0x2710
	s_cselect_b64 s[94:95], -1, 0
	s_and_b64 vcc, exec, s[94:95]
	s_cbranch_vccz .LBB4_91
; %bb.90:                               ;   in Loop: Header=BB4_89 Depth=3
	s_mov_b64 vcc, -1
	s_or_b64 s[92:93], s[92:93], exec
	s_and_saveexec_b64 s[30:31], s[94:95]
	s_cbranch_execz .LBB4_88
	s_branch .LBB4_92
.LBB4_91:                               ;   in Loop: Header=BB4_89 Depth=3
	s_trap 2
	ds_read_b64 v[3:4], v0
	s_andn2_b64 s[94:95], s[94:95], exec
	s_mov_b32 s8, 0
	s_waitcnt lgkmcnt(0)
	flat_load_dword v0, v[3:4] glc
	s_waitcnt vmcnt(0) lgkmcnt(0)
	buffer_wbinvl1_vol
	v_cmp_eq_u32_e32 vcc, 0, v0
	s_and_b64 vcc, vcc, exec
	s_or_b64 s[94:95], s[94:95], vcc
	s_mov_b64 vcc, -1
	s_or_b64 s[92:93], s[92:93], exec
	s_and_saveexec_b64 s[30:31], s[94:95]
	s_cbranch_execz .LBB4_88
.LBB4_92:                               ;   in Loop: Header=BB4_89 Depth=3
	s_sleep 1
	s_trap 2
	ds_read_b64 v[3:4], v0
	s_waitcnt lgkmcnt(0)
	s_andn2_b64 s[92:93], s[92:93], exec
	v_cmp_ge_u64_e32 vcc, v[3:4], v[36:37]
	s_orn2_b64 vcc, vcc, exec
	s_branch .LBB4_88
.LBB4_93:                               ;   in Loop: Header=BB4_57 Depth=2
	s_or_b64 exec, exec, s[88:89]
	s_and_saveexec_b64 s[88:89], s[90:91]
	s_xor_b64 s[88:89], exec, s[88:89]
	s_cbranch_execz .LBB4_95
; %bb.94:                               ;   in Loop: Header=BB4_57 Depth=2
	v_mov_b32_e32 v0, 1
	ds_write_b32 v0, v0
	s_trap 2
.LBB4_95:                               ;   in Loop: Header=BB4_57 Depth=2
	s_or_b64 exec, exec, s[78:79]
	;;#ASMSTART
	s_wakeup
	;;#ASMEND
.LBB4_96:                               ;   in Loop: Header=BB4_57 Depth=2
	s_or_b64 exec, exec, s[76:77]
.LBB4_97:                               ;   in Loop: Header=BB4_57 Depth=2
	s_andn2_saveexec_b64 s[74:75], s[74:75]
	s_cbranch_execz .LBB4_99
; %bb.98:                               ;   in Loop: Header=BB4_57 Depth=2
	s_waitcnt vmcnt(0) lgkmcnt(0)
	buffer_wbinvl1_vol
	s_barrier
.LBB4_99:                               ;   in Loop: Header=BB4_57 Depth=2
	s_or_b64 exec, exec, s[74:75]
.LBB4_100:                              ;   in Loop: Header=BB4_57 Depth=2
	s_or_b64 exec, exec, s[26:27]
	s_trap 2
	ds_read_b32 v0, v0
	v_and_b32_e32 v3, 0x4000, v5
	v_cmp_ne_u32_e32 vcc, 0, v3
	s_xor_b64 s[26:27], s[6:7], -1
	s_and_b64 s[74:75], s[26:27], vcc
	s_and_saveexec_b64 s[26:27], s[74:75]
	s_cbranch_execz .LBB4_119
; %bb.101:                              ;   in Loop: Header=BB4_57 Depth=2
	s_and_saveexec_b64 s[74:75], s[56:57]
	s_xor_b64 s[74:75], exec, s[74:75]
	s_cbranch_execz .LBB4_116
; %bb.102:                              ;   in Loop: Header=BB4_57 Depth=2
	s_and_saveexec_b64 s[76:77], s[16:17]
	s_cbranch_execz .LBB4_115
; %bb.103:                              ;   in Loop: Header=BB4_57 Depth=2
	s_mov_b64 s[88:89], exec
	v_mbcnt_lo_u32_b32 v3, s88, 0
	v_mbcnt_hi_u32_b32 v3, s89, v3
	v_cmp_eq_u32_e32 vcc, 0, v3
	s_waitcnt vmcnt(0) lgkmcnt(0)
	buffer_wbinvl1_vol
	s_and_saveexec_b64 s[78:79], vcc
	s_cbranch_execz .LBB4_105
; %bb.104:                              ;   in Loop: Header=BB4_57 Depth=2
	s_bcnt1_i32_b64 s8, s[88:89]
	v_mov_b32_e32 v3, s8
	v_mov_b32_e32 v4, v2
	ds_add_u64 v0, v[3:4]
	s_trap 2
.LBB4_105:                              ;   in Loop: Header=BB4_57 Depth=2
	s_or_b64 exec, exec, s[78:79]
	s_trap 2
	ds_read_b64 v[3:4], v0
	s_waitcnt lgkmcnt(0)
	v_add_co_u32_e32 v36, vcc, v36, v59
	v_addc_co_u32_e32 v37, vcc, 0, v37, vcc
	v_cmp_lt_u64_e32 vcc, v[3:4], v[36:37]
	s_and_saveexec_b64 s[78:79], vcc
	s_cbranch_execz .LBB4_114
; %bb.106:                              ;   in Loop: Header=BB4_57 Depth=2
	s_mov_b32 s8, 0
	s_mov_b64 s[88:89], 0
                                        ; implicit-def: $sgpr90_sgpr91
                                        ; implicit-def: $sgpr92_sgpr93
	s_branch .LBB4_108
.LBB4_107:                              ;   in Loop: Header=BB4_108 Depth=3
	s_or_b64 exec, exec, s[30:31]
	s_and_b64 s[94:95], exec, vcc
	s_or_b64 s[88:89], s[94:95], s[88:89]
	s_andn2_b64 s[90:91], s[90:91], exec
	s_and_b64 s[94:95], s[92:93], exec
	s_or_b64 s[90:91], s[90:91], s[94:95]
	s_andn2_b64 exec, exec, s[88:89]
	s_cbranch_execz .LBB4_112
.LBB4_108:                              ;   Parent Loop BB4_47 Depth=1
                                        ;     Parent Loop BB4_57 Depth=2
                                        ; =>    This Inner Loop Header: Depth=3
	s_add_i32 s8, s8, 1
	s_cmpk_lg_i32 s8, 0x2710
	s_cselect_b64 s[94:95], -1, 0
	s_and_b64 vcc, exec, s[94:95]
	s_cbranch_vccz .LBB4_110
; %bb.109:                              ;   in Loop: Header=BB4_108 Depth=3
	s_mov_b64 vcc, -1
	s_or_b64 s[92:93], s[92:93], exec
	s_and_saveexec_b64 s[30:31], s[94:95]
	s_cbranch_execz .LBB4_107
	s_branch .LBB4_111
.LBB4_110:                              ;   in Loop: Header=BB4_108 Depth=3
	s_trap 2
	ds_read_b64 v[3:4], v0
	s_andn2_b64 s[94:95], s[94:95], exec
	s_mov_b32 s8, 0
	s_waitcnt lgkmcnt(0)
	flat_load_dword v3, v[3:4] glc
	s_waitcnt vmcnt(0) lgkmcnt(0)
	buffer_wbinvl1_vol
	v_cmp_eq_u32_e32 vcc, 0, v3
	s_and_b64 vcc, vcc, exec
	s_or_b64 s[94:95], s[94:95], vcc
	s_mov_b64 vcc, -1
	s_or_b64 s[92:93], s[92:93], exec
	s_and_saveexec_b64 s[30:31], s[94:95]
	s_cbranch_execz .LBB4_107
.LBB4_111:                              ;   in Loop: Header=BB4_108 Depth=3
	s_sleep 1
	s_trap 2
	ds_read_b64 v[3:4], v0
	s_waitcnt lgkmcnt(0)
	s_andn2_b64 s[92:93], s[92:93], exec
	v_cmp_ge_u64_e32 vcc, v[3:4], v[36:37]
	s_orn2_b64 vcc, vcc, exec
	s_branch .LBB4_107
.LBB4_112:                              ;   in Loop: Header=BB4_57 Depth=2
	s_or_b64 exec, exec, s[88:89]
	s_and_saveexec_b64 s[88:89], s[90:91]
	s_xor_b64 s[88:89], exec, s[88:89]
	s_cbranch_execz .LBB4_114
; %bb.113:                              ;   in Loop: Header=BB4_57 Depth=2
	v_mov_b32_e32 v3, 1
	ds_write_b32 v0, v3
	s_trap 2
.LBB4_114:                              ;   in Loop: Header=BB4_57 Depth=2
	s_or_b64 exec, exec, s[78:79]
	;;#ASMSTART
	s_wakeup
	;;#ASMEND
.LBB4_115:                              ;   in Loop: Header=BB4_57 Depth=2
	s_or_b64 exec, exec, s[76:77]
.LBB4_116:                              ;   in Loop: Header=BB4_57 Depth=2
	s_andn2_saveexec_b64 s[74:75], s[74:75]
	s_cbranch_execz .LBB4_118
; %bb.117:                              ;   in Loop: Header=BB4_57 Depth=2
	s_waitcnt vmcnt(0) lgkmcnt(0)
	buffer_wbinvl1_vol
	s_barrier
.LBB4_118:                              ;   in Loop: Header=BB4_57 Depth=2
	s_or_b64 exec, exec, s[74:75]
.LBB4_119:                              ;   in Loop: Header=BB4_57 Depth=2
	s_or_b64 exec, exec, s[26:27]
	s_trap 2
	s_waitcnt lgkmcnt(0)
	ds_read_b64 v[30:31], v0
	s_waitcnt lgkmcnt(0)
	v_cmp_eq_u64_e32 vcc, 0, v[30:31]
	s_cbranch_vccnz .LBB4_127
; %bb.120:                              ;   in Loop: Header=BB4_57 Depth=2
	s_trap 2
	ds_read_b64 v[24:25], v0
	s_waitcnt lgkmcnt(0)
	v_cmp_eq_u64_e32 vcc, 0, v[24:25]
	s_cbranch_vccnz .LBB4_127
; %bb.121:                              ;   in Loop: Header=BB4_57 Depth=2
	s_mov_b64 s[74:75], -1
	s_and_saveexec_b64 s[26:27], s[18:19]
	s_cbranch_execz .LBB4_123
; %bb.122:                              ;   in Loop: Header=BB4_57 Depth=2
	ds_read_b32 v3, v0 offset:720
	s_waitcnt lgkmcnt(0)
	v_and_b32_e32 v3, 15, v3
	v_cmp_eq_u32_e32 vcc, 0, v3
	s_orn2_b64 s[74:75], vcc, exec
.LBB4_123:                              ;   in Loop: Header=BB4_57 Depth=2
	s_or_b64 exec, exec, s[26:27]
	s_and_saveexec_b64 s[26:27], s[20:21]
	s_cbranch_execz .LBB4_125
; %bb.124:                              ;   in Loop: Header=BB4_57 Depth=2
	ds_read_b32 v3, v0 offset:784
	s_waitcnt lgkmcnt(0)
	v_and_b32_e32 v3, 15, v3
	v_cmp_eq_u32_e32 vcc, 0, v3
	s_and_b64 s[76:77], s[74:75], vcc
	s_andn2_b64 s[74:75], s[74:75], exec
	s_and_b64 s[76:77], s[76:77], exec
	s_or_b64 s[74:75], s[74:75], s[76:77]
.LBB4_125:                              ;   in Loop: Header=BB4_57 Depth=2
	s_or_b64 exec, exec, s[26:27]
	s_xor_b64 s[74:75], s[74:75], -1
	v_cmp_eq_u32_e64 s[26:27], 0, v0
	v_cndmask_b32_e64 v0, 0, 1, s[74:75]
	s_mov_b64 s[76:77], -1
	v_cmp_ne_u32_e32 vcc, 0, v0
	s_cbranch_vccz .LBB4_128
; %bb.126:                              ;   in Loop: Header=BB4_57 Depth=2
	s_mov_b64 s[76:77], 0
	s_mov_b64 s[74:75], -1
	s_branch .LBB4_129
.LBB4_127:                              ;   in Loop: Header=BB4_57 Depth=2
	s_mov_b64 s[26:27], 0
	s_and_saveexec_b64 s[74:75], s[10:11]
	s_cbranch_execnz .LBB4_527
	s_branch .LBB4_545
.LBB4_128:                              ;   in Loop: Header=BB4_57 Depth=2
	s_mov_b64 s[74:75], 0
.LBB4_129:                              ;   in Loop: Header=BB4_57 Depth=2
	v_cndmask_b32_e64 v35, 0, v60, s[26:27]
	v_lshlrev_b32_e32 v53, 1, v35
	s_andn2_b64 vcc, exec, s[76:77]
	v_mov_b32_e32 v10, 0
	s_cbranch_vccnz .LBB4_265
; %bb.130:                              ;   in Loop: Header=BB4_57 Depth=2
	v_ashrrev_i32_e32 v0, 31, v53
	v_lshrrev_b32_e32 v0, 21, v0
	v_add_u32_e32 v0, v53, v0
	v_ashrrev_i32_e32 v23, 11, v0
	buffer_load_dword v0, off, s[0:3], s33 offset:220 ; 4-byte Folded Reload
	s_mov_b64 s[76:77], 0
                                        ; implicit-def: $vgpr12_vgpr13
                                        ; implicit-def: $vgpr8_vgpr9
	s_waitcnt vmcnt(0)
	v_sub_u32_e32 v57, v23, v0
	buffer_load_dword v0, off, s[0:3], s33 offset:224 ; 4-byte Folded Reload
	s_waitcnt vmcnt(0)
	v_add_co_u32_e32 v50, vcc, v24, v0
	v_addc_co_u32_e32 v51, vcc, 0, v25, vcc
	v_cmp_lt_i32_e32 vcc, 0, v57
	s_and_saveexec_b64 s[26:27], vcc
	s_cbranch_execz .LBB4_267
; %bb.131:                              ;   in Loop: Header=BB4_57 Depth=2
	buffer_store_dword v23, off, s[0:3], s33 offset:256 ; 4-byte Folded Spill
	buffer_store_dword v35, off, s[0:3], s33 offset:252 ; 4-byte Folded Spill
	s_trap 2
	buffer_load_dword v3, off, s[0:3], s33 offset:224 ; 4-byte Folded Reload
	ds_read_b32 v0, v0
	s_mov_b64 s[88:89], 0
                                        ; implicit-def: $sgpr78_sgpr79
                                        ; implicit-def: $vgpr12_vgpr13
                                        ; implicit-def: $vgpr8_vgpr9
	s_waitcnt lgkmcnt(0)
	v_lshlrev_b32_e32 v61, 16, v0
	s_waitcnt vmcnt(0)
	v_add_co_u32_e32 v3, vcc, v30, v3
	v_addc_co_u32_e32 v4, vcc, 0, v31, vcc
	s_branch .LBB4_133
.LBB4_132:                              ;   in Loop: Header=BB4_133 Depth=3
	s_or_b64 exec, exec, s[90:91]
	v_lshrrev_b32_e32 v29, 16, v29
	v_and_or_b32 v46, v0, s44, v29
	v_lshrrev_b32_e32 v0, 16, v28
	v_and_or_b32 v45, v20, s44, v0
	;; [unrolled: 2-line block ×8, first 2 shown]
	global_store_dwordx4 v[50:51], v[45:48], off glc slc
	global_store_dwordx4 v[50:51], v[16:19], off offset:1024 glc slc
	buffer_load_dword v16, off, s[0:3], s33 offset:188 ; 4-byte Folded Reload
	s_nop 0
	buffer_load_dword v17, off, s[0:3], s33 offset:192 ; 4-byte Folded Reload
	v_mov_b32_e32 v47, v58
	s_waitcnt vmcnt(1)
	v_cndmask_b32_e64 v16, 0, v16, s[88:89]
	s_waitcnt vmcnt(0)
	v_cndmask_b32_e64 v0, 0, v17, s[88:89]
	v_add_co_u32_e32 v3, vcc, v3, v16
	v_addc_co_u32_e32 v4, vcc, v4, v0, vcc
	buffer_load_dword v0, off, s[0:3], s33 offset:148 ; 4-byte Folded Reload
	v_mov_b32_e32 v16, 0x800
	v_cndmask_b32_e64 v16, v16, v47, s[88:89]
	v_add_co_u32_e32 v50, vcc, v50, v16
	s_waitcnt vmcnt(0)
	v_cndmask_b32_e64 v0, 0, v0, s[88:89]
	v_addc_co_u32_e32 v51, vcc, v51, v0, vcc
	v_cndmask_b32_e64 v0, 0, v59, s[88:89]
	v_sub_u32_e32 v57, v57, v0
	v_cmp_gt_i32_e32 vcc, 1, v57
	s_or_b64 s[76:77], vcc, s[76:77]
	s_andn2_b64 s[78:79], s[78:79], exec
	s_and_b64 s[90:91], s[88:89], exec
	s_or_b64 s[78:79], s[78:79], s[90:91]
	s_andn2_b64 exec, exec, s[76:77]
	s_cbranch_execz .LBB4_266
.LBB4_133:                              ;   Parent Loop BB4_47 Depth=1
                                        ;     Parent Loop BB4_57 Depth=2
                                        ; =>    This Inner Loop Header: Depth=3
	global_load_dwordx4 v[20:23], v[3:4], off glc slc
	global_load_dwordx4 v[16:19], v[3:4], off offset:1024 glc slc
	s_and_saveexec_b64 s[90:91], s[88:89]
	s_cbranch_execz .LBB4_199
; %bb.134:                              ;   in Loop: Header=BB4_133 Depth=3
	v_lshlrev_b32_e32 v0, 16, v12
	v_mul_f32_e32 v0, v61, v0
	v_and_b32_e32 v27, 0x7f800000, v0
	v_cmp_ne_u32_e32 vcc, s46, v27
                                        ; implicit-def: $vgpr28
	s_and_saveexec_b64 s[88:89], vcc
	s_xor_b64 s[88:89], exec, s[88:89]
; %bb.135:                              ;   in Loop: Header=BB4_133 Depth=3
	v_bfe_u32 v27, v0, 16, 1
	v_add3_u32 v28, v0, v27, s47
                                        ; implicit-def: $vgpr0
; %bb.136:                              ;   in Loop: Header=BB4_133 Depth=3
	s_andn2_saveexec_b64 s[88:89], s[88:89]
; %bb.137:                              ;   in Loop: Header=BB4_133 Depth=3
	v_or_b32_e32 v27, 0x10000, v0
	v_cmp_eq_u32_sdwa vcc, v0, v2 src0_sel:WORD_0 src1_sel:DWORD
	v_cndmask_b32_e32 v28, v27, v0, vcc
; %bb.138:                              ;   in Loop: Header=BB4_133 Depth=3
	s_or_b64 exec, exec, s[88:89]
	v_and_b32_e32 v0, 0xffff0000, v12
	v_mul_f32_e32 v0, v61, v0
	v_and_b32_e32 v12, 0x7f800000, v0
	v_cmp_ne_u32_e32 vcc, s46, v12
                                        ; implicit-def: $vgpr12
	s_and_saveexec_b64 s[88:89], vcc
	s_xor_b64 s[88:89], exec, s[88:89]
; %bb.139:                              ;   in Loop: Header=BB4_133 Depth=3
	v_bfe_u32 v12, v0, 16, 1
	v_add3_u32 v12, v0, v12, s47
                                        ; implicit-def: $vgpr0
; %bb.140:                              ;   in Loop: Header=BB4_133 Depth=3
	s_andn2_saveexec_b64 s[88:89], s[88:89]
; %bb.141:                              ;   in Loop: Header=BB4_133 Depth=3
	v_or_b32_e32 v12, 0x10000, v0
	v_cmp_eq_u32_sdwa vcc, v0, v2 src0_sel:WORD_0 src1_sel:DWORD
	v_cndmask_b32_e32 v12, v12, v0, vcc
; %bb.142:                              ;   in Loop: Header=BB4_133 Depth=3
	s_or_b64 exec, exec, s[88:89]
	v_lshlrev_b32_e32 v0, 16, v13
	v_mul_f32_e32 v0, v61, v0
	v_and_b32_e32 v27, 0x7f800000, v0
	v_cmp_ne_u32_e32 vcc, s46, v27
                                        ; implicit-def: $vgpr29
	s_and_saveexec_b64 s[88:89], vcc
	s_xor_b64 s[88:89], exec, s[88:89]
; %bb.143:                              ;   in Loop: Header=BB4_133 Depth=3
	v_bfe_u32 v27, v0, 16, 1
	v_add3_u32 v29, v0, v27, s47
                                        ; implicit-def: $vgpr0
; %bb.144:                              ;   in Loop: Header=BB4_133 Depth=3
	s_andn2_saveexec_b64 s[88:89], s[88:89]
; %bb.145:                              ;   in Loop: Header=BB4_133 Depth=3
	v_or_b32_e32 v27, 0x10000, v0
	v_cmp_eq_u32_sdwa vcc, v0, v2 src0_sel:WORD_0 src1_sel:DWORD
	v_cndmask_b32_e32 v29, v27, v0, vcc
; %bb.146:                              ;   in Loop: Header=BB4_133 Depth=3
	s_or_b64 exec, exec, s[88:89]
	v_and_b32_e32 v0, 0xffff0000, v13
	v_mul_f32_e32 v13, v61, v0
	v_and_b32_e32 v0, 0x7f800000, v13
	v_cmp_ne_u32_e32 vcc, s46, v0
                                        ; implicit-def: $vgpr0
	s_and_saveexec_b64 s[88:89], vcc
	s_xor_b64 s[88:89], exec, s[88:89]
; %bb.147:                              ;   in Loop: Header=BB4_133 Depth=3
	v_bfe_u32 v0, v13, 16, 1
	v_add3_u32 v0, v13, v0, s47
                                        ; implicit-def: $vgpr13
; %bb.148:                              ;   in Loop: Header=BB4_133 Depth=3
	s_andn2_saveexec_b64 s[88:89], s[88:89]
; %bb.149:                              ;   in Loop: Header=BB4_133 Depth=3
	v_or_b32_e32 v0, 0x10000, v13
	v_cmp_eq_u32_sdwa vcc, v13, v2 src0_sel:WORD_0 src1_sel:DWORD
	v_cndmask_b32_e32 v0, v0, v13, vcc
; %bb.150:                              ;   in Loop: Header=BB4_133 Depth=3
	s_or_b64 exec, exec, s[88:89]
	v_lshlrev_b32_e32 v13, 16, v14
	v_mul_f32_e32 v13, v61, v13
	v_and_b32_e32 v27, 0x7f800000, v13
	v_cmp_ne_u32_e32 vcc, s46, v27
                                        ; implicit-def: $vgpr34
	s_and_saveexec_b64 s[88:89], vcc
	s_xor_b64 s[88:89], exec, s[88:89]
; %bb.151:                              ;   in Loop: Header=BB4_133 Depth=3
	v_bfe_u32 v27, v13, 16, 1
	v_add3_u32 v34, v13, v27, s47
                                        ; implicit-def: $vgpr13
; %bb.152:                              ;   in Loop: Header=BB4_133 Depth=3
	s_andn2_saveexec_b64 s[88:89], s[88:89]
; %bb.153:                              ;   in Loop: Header=BB4_133 Depth=3
	v_or_b32_e32 v27, 0x10000, v13
	v_cmp_eq_u32_sdwa vcc, v13, v2 src0_sel:WORD_0 src1_sel:DWORD
	v_cndmask_b32_e32 v34, v27, v13, vcc
; %bb.154:                              ;   in Loop: Header=BB4_133 Depth=3
	s_or_b64 exec, exec, s[88:89]
	v_and_b32_e32 v13, 0xffff0000, v14
	v_mul_f32_e32 v13, v61, v13
	v_and_b32_e32 v14, 0x7f800000, v13
	v_cmp_ne_u32_e32 vcc, s46, v14
                                        ; implicit-def: $vgpr14
	s_and_saveexec_b64 s[88:89], vcc
	s_xor_b64 s[88:89], exec, s[88:89]
; %bb.155:                              ;   in Loop: Header=BB4_133 Depth=3
	v_bfe_u32 v14, v13, 16, 1
	v_add3_u32 v14, v13, v14, s47
                                        ; implicit-def: $vgpr13
; %bb.156:                              ;   in Loop: Header=BB4_133 Depth=3
	s_andn2_saveexec_b64 s[88:89], s[88:89]
; %bb.157:                              ;   in Loop: Header=BB4_133 Depth=3
	v_or_b32_e32 v14, 0x10000, v13
	v_cmp_eq_u32_sdwa vcc, v13, v2 src0_sel:WORD_0 src1_sel:DWORD
	v_cndmask_b32_e32 v14, v14, v13, vcc
; %bb.158:                              ;   in Loop: Header=BB4_133 Depth=3
	s_or_b64 exec, exec, s[88:89]
	v_lshlrev_b32_e32 v13, 16, v15
	v_mul_f32_e32 v13, v61, v13
	v_and_b32_e32 v27, 0x7f800000, v13
	v_cmp_ne_u32_e32 vcc, s46, v27
                                        ; implicit-def: $vgpr35
	s_and_saveexec_b64 s[88:89], vcc
	s_xor_b64 s[88:89], exec, s[88:89]
; %bb.159:                              ;   in Loop: Header=BB4_133 Depth=3
	v_bfe_u32 v27, v13, 16, 1
	v_add3_u32 v35, v13, v27, s47
                                        ; implicit-def: $vgpr13
; %bb.160:                              ;   in Loop: Header=BB4_133 Depth=3
	s_andn2_saveexec_b64 s[88:89], s[88:89]
; %bb.161:                              ;   in Loop: Header=BB4_133 Depth=3
	v_or_b32_e32 v27, 0x10000, v13
	v_cmp_eq_u32_sdwa vcc, v13, v2 src0_sel:WORD_0 src1_sel:DWORD
	v_cndmask_b32_e32 v35, v27, v13, vcc
; %bb.162:                              ;   in Loop: Header=BB4_133 Depth=3
	s_or_b64 exec, exec, s[88:89]
	v_and_b32_e32 v13, 0xffff0000, v15
	v_mul_f32_e32 v13, v61, v13
	v_and_b32_e32 v15, 0x7f800000, v13
	v_cmp_ne_u32_e32 vcc, s46, v15
                                        ; implicit-def: $vgpr15
	s_and_saveexec_b64 s[88:89], vcc
	s_xor_b64 s[88:89], exec, s[88:89]
; %bb.163:                              ;   in Loop: Header=BB4_133 Depth=3
	v_bfe_u32 v15, v13, 16, 1
	v_add3_u32 v15, v13, v15, s47
                                        ; implicit-def: $vgpr13
; %bb.164:                              ;   in Loop: Header=BB4_133 Depth=3
	s_andn2_saveexec_b64 s[88:89], s[88:89]
; %bb.165:                              ;   in Loop: Header=BB4_133 Depth=3
	v_or_b32_e32 v15, 0x10000, v13
	v_cmp_eq_u32_sdwa vcc, v13, v2 src0_sel:WORD_0 src1_sel:DWORD
	v_cndmask_b32_e32 v15, v15, v13, vcc
; %bb.166:                              ;   in Loop: Header=BB4_133 Depth=3
	s_or_b64 exec, exec, s[88:89]
	v_lshlrev_b32_e32 v13, 16, v8
	v_mul_f32_e32 v13, v61, v13
	v_and_b32_e32 v27, 0x7f800000, v13
	v_cmp_ne_u32_e32 vcc, s46, v27
                                        ; implicit-def: $vgpr44
	s_and_saveexec_b64 s[88:89], vcc
	s_xor_b64 s[88:89], exec, s[88:89]
; %bb.167:                              ;   in Loop: Header=BB4_133 Depth=3
	v_bfe_u32 v27, v13, 16, 1
	v_add3_u32 v44, v13, v27, s47
                                        ; implicit-def: $vgpr13
; %bb.168:                              ;   in Loop: Header=BB4_133 Depth=3
	s_andn2_saveexec_b64 s[88:89], s[88:89]
; %bb.169:                              ;   in Loop: Header=BB4_133 Depth=3
	v_or_b32_e32 v27, 0x10000, v13
	v_cmp_eq_u32_sdwa vcc, v13, v2 src0_sel:WORD_0 src1_sel:DWORD
	v_cndmask_b32_e32 v44, v27, v13, vcc
; %bb.170:                              ;   in Loop: Header=BB4_133 Depth=3
	s_or_b64 exec, exec, s[88:89]
	v_and_b32_e32 v8, 0xffff0000, v8
	v_mul_f32_e32 v13, v61, v8
	v_and_b32_e32 v8, 0x7f800000, v13
	v_cmp_ne_u32_e32 vcc, s46, v8
                                        ; implicit-def: $vgpr8
	s_and_saveexec_b64 s[88:89], vcc
	s_xor_b64 s[88:89], exec, s[88:89]
; %bb.171:                              ;   in Loop: Header=BB4_133 Depth=3
	v_bfe_u32 v8, v13, 16, 1
	v_add3_u32 v8, v13, v8, s47
                                        ; implicit-def: $vgpr13
; %bb.172:                              ;   in Loop: Header=BB4_133 Depth=3
	s_andn2_saveexec_b64 s[88:89], s[88:89]
; %bb.173:                              ;   in Loop: Header=BB4_133 Depth=3
	v_or_b32_e32 v8, 0x10000, v13
	v_cmp_eq_u32_sdwa vcc, v13, v2 src0_sel:WORD_0 src1_sel:DWORD
	v_cndmask_b32_e32 v8, v8, v13, vcc
; %bb.174:                              ;   in Loop: Header=BB4_133 Depth=3
	s_or_b64 exec, exec, s[88:89]
	v_lshlrev_b32_e32 v13, 16, v9
	v_mul_f32_e32 v13, v61, v13
	v_and_b32_e32 v27, 0x7f800000, v13
	v_cmp_ne_u32_e32 vcc, s46, v27
                                        ; implicit-def: $vgpr27
	s_and_saveexec_b64 s[88:89], vcc
	s_xor_b64 s[88:89], exec, s[88:89]
; %bb.175:                              ;   in Loop: Header=BB4_133 Depth=3
	v_bfe_u32 v27, v13, 16, 1
	v_add3_u32 v27, v13, v27, s47
                                        ; implicit-def: $vgpr13
; %bb.176:                              ;   in Loop: Header=BB4_133 Depth=3
	s_andn2_saveexec_b64 s[88:89], s[88:89]
; %bb.177:                              ;   in Loop: Header=BB4_133 Depth=3
	v_or_b32_e32 v27, 0x10000, v13
	v_cmp_eq_u32_sdwa vcc, v13, v2 src0_sel:WORD_0 src1_sel:DWORD
	v_cndmask_b32_e32 v27, v27, v13, vcc
; %bb.178:                              ;   in Loop: Header=BB4_133 Depth=3
	s_or_b64 exec, exec, s[88:89]
	v_and_b32_e32 v9, 0xffff0000, v9
	v_mul_f32_e32 v13, v61, v9
	v_and_b32_e32 v9, 0x7f800000, v13
	v_cmp_ne_u32_e32 vcc, s46, v9
                                        ; implicit-def: $vgpr9
	s_and_saveexec_b64 s[88:89], vcc
	s_xor_b64 s[88:89], exec, s[88:89]
; %bb.179:                              ;   in Loop: Header=BB4_133 Depth=3
	v_bfe_u32 v9, v13, 16, 1
	v_add3_u32 v9, v13, v9, s47
                                        ; implicit-def: $vgpr13
; %bb.180:                              ;   in Loop: Header=BB4_133 Depth=3
	s_andn2_saveexec_b64 s[88:89], s[88:89]
; %bb.181:                              ;   in Loop: Header=BB4_133 Depth=3
	v_or_b32_e32 v9, 0x10000, v13
	v_cmp_eq_u32_sdwa vcc, v13, v2 src0_sel:WORD_0 src1_sel:DWORD
	v_cndmask_b32_e32 v9, v9, v13, vcc
; %bb.182:                              ;   in Loop: Header=BB4_133 Depth=3
	s_or_b64 exec, exec, s[88:89]
	v_lshlrev_b32_e32 v13, 16, v10
	v_mul_f32_e32 v13, v61, v13
	v_and_b32_e32 v48, 0x7f800000, v13
	v_cmp_ne_u32_e32 vcc, s46, v48
                                        ; implicit-def: $vgpr56
	s_and_saveexec_b64 s[88:89], vcc
	s_xor_b64 s[88:89], exec, s[88:89]
; %bb.183:                              ;   in Loop: Header=BB4_133 Depth=3
	v_bfe_u32 v48, v13, 16, 1
	v_add3_u32 v56, v13, v48, s47
                                        ; implicit-def: $vgpr13
; %bb.184:                              ;   in Loop: Header=BB4_133 Depth=3
	s_andn2_saveexec_b64 s[88:89], s[88:89]
; %bb.185:                              ;   in Loop: Header=BB4_133 Depth=3
	v_or_b32_e32 v48, 0x10000, v13
	v_cmp_eq_u32_sdwa vcc, v13, v2 src0_sel:WORD_0 src1_sel:DWORD
	v_cndmask_b32_e32 v56, v48, v13, vcc
; %bb.186:                              ;   in Loop: Header=BB4_133 Depth=3
	s_or_b64 exec, exec, s[88:89]
	v_and_b32_e32 v10, 0xffff0000, v10
	v_mul_f32_e32 v13, v61, v10
	v_and_b32_e32 v10, 0x7f800000, v13
	v_cmp_ne_u32_e32 vcc, s46, v10
                                        ; implicit-def: $vgpr10
	s_and_saveexec_b64 s[88:89], vcc
	s_xor_b64 s[88:89], exec, s[88:89]
; %bb.187:                              ;   in Loop: Header=BB4_133 Depth=3
	v_bfe_u32 v10, v13, 16, 1
	v_add3_u32 v10, v13, v10, s47
                                        ; implicit-def: $vgpr13
; %bb.188:                              ;   in Loop: Header=BB4_133 Depth=3
	s_andn2_saveexec_b64 s[88:89], s[88:89]
; %bb.189:                              ;   in Loop: Header=BB4_133 Depth=3
	v_or_b32_e32 v10, 0x10000, v13
	v_cmp_eq_u32_sdwa vcc, v13, v2 src0_sel:WORD_0 src1_sel:DWORD
	v_cndmask_b32_e32 v10, v10, v13, vcc
; %bb.190:                              ;   in Loop: Header=BB4_133 Depth=3
	s_or_b64 exec, exec, s[88:89]
	v_lshlrev_b32_e32 v13, 16, v11
	v_mul_f32_e32 v13, v61, v13
	v_and_b32_e32 v48, 0x7f800000, v13
	v_cmp_ne_u32_e32 vcc, s46, v48
                                        ; implicit-def: $vgpr43
	s_and_saveexec_b64 s[88:89], vcc
	s_xor_b64 s[88:89], exec, s[88:89]
; %bb.191:                              ;   in Loop: Header=BB4_133 Depth=3
	v_bfe_u32 v48, v13, 16, 1
	v_add3_u32 v43, v13, v48, s47
                                        ; implicit-def: $vgpr13
; %bb.192:                              ;   in Loop: Header=BB4_133 Depth=3
	s_andn2_saveexec_b64 s[88:89], s[88:89]
; %bb.193:                              ;   in Loop: Header=BB4_133 Depth=3
	v_or_b32_e32 v48, 0x10000, v13
	v_cmp_eq_u32_sdwa vcc, v13, v2 src0_sel:WORD_0 src1_sel:DWORD
	v_cndmask_b32_e32 v43, v48, v13, vcc
; %bb.194:                              ;   in Loop: Header=BB4_133 Depth=3
	s_or_b64 exec, exec, s[88:89]
	v_and_b32_e32 v11, 0xffff0000, v11
	v_mul_f32_e32 v13, v61, v11
	v_and_b32_e32 v11, 0x7f800000, v13
	v_cmp_ne_u32_e32 vcc, s46, v11
                                        ; implicit-def: $vgpr11
	s_and_saveexec_b64 s[88:89], vcc
	s_xor_b64 s[88:89], exec, s[88:89]
; %bb.195:                              ;   in Loop: Header=BB4_133 Depth=3
	v_bfe_u32 v11, v13, 16, 1
	v_add3_u32 v11, v13, v11, s47
                                        ; implicit-def: $vgpr13
; %bb.196:                              ;   in Loop: Header=BB4_133 Depth=3
	s_andn2_saveexec_b64 s[88:89], s[88:89]
; %bb.197:                              ;   in Loop: Header=BB4_133 Depth=3
	v_or_b32_e32 v11, 0x10000, v13
	v_cmp_eq_u32_sdwa vcc, v13, v2 src0_sel:WORD_0 src1_sel:DWORD
	v_cndmask_b32_e32 v11, v11, v13, vcc
; %bb.198:                              ;   in Loop: Header=BB4_133 Depth=3
	s_or_b64 exec, exec, s[88:89]
	v_lshrrev_b32_e32 v13, 16, v29
	v_and_or_b32 v13, v0, s44, v13
	v_lshrrev_b32_e32 v0, 16, v28
	v_and_or_b32 v12, v12, s44, v0
	v_lshrrev_b32_e32 v0, 16, v34
	v_and_or_b32 v14, v14, s44, v0
	v_lshrrev_b32_e32 v0, 16, v35
	v_and_or_b32 v15, v15, s44, v0
	v_lshrrev_b32_e32 v0, 16, v27
	v_and_or_b32 v9, v9, s44, v0
	v_lshrrev_b32_e32 v0, 16, v44
	v_and_or_b32 v8, v8, s44, v0
	v_lshrrev_b32_e32 v0, 16, v56
	v_and_or_b32 v10, v10, s44, v0
	v_lshrrev_b32_e32 v0, 16, v43
	v_and_or_b32 v11, v11, s44, v0
	global_store_dwordx4 v[50:51], v[12:15], off glc slc
	global_store_dwordx4 v[50:51], v[8:11], off offset:1024 glc slc
	buffer_load_dword v0, off, s[0:3], s33 offset:148 ; 4-byte Folded Reload
	v_add_co_u32_e32 v50, vcc, v50, v47
	s_waitcnt vmcnt(0)
	v_addc_co_u32_e32 v51, vcc, v51, v0, vcc
.LBB4_199:                              ;   in Loop: Header=BB4_133 Depth=3
	s_or_b64 exec, exec, s[90:91]
	buffer_load_dword v0, off, s[0:3], s33 offset:148 ; 4-byte Folded Reload
	v_add_co_u32_e32 v3, vcc, v3, v47
	v_sub_u32_e32 v57, v57, v59
	v_cmp_lt_i32_e64 s[88:89], 0, v57
	s_waitcnt vmcnt(0)
	v_addc_co_u32_e32 v4, vcc, v4, v0, vcc
	s_and_saveexec_b64 s[90:91], s[88:89]
	s_cbranch_execz .LBB4_201
; %bb.200:                              ;   in Loop: Header=BB4_133 Depth=3
	global_load_dwordx4 v[12:15], v[3:4], off glc slc
	global_load_dwordx4 v[8:11], v[3:4], off offset:1024 glc slc
	v_add_co_u32_e32 v3, vcc, 0x800, v3
	v_addc_co_u32_e32 v4, vcc, 0, v4, vcc
.LBB4_201:                              ;   in Loop: Header=BB4_133 Depth=3
	s_or_b64 exec, exec, s[90:91]
	v_lshlrev_b32_e32 v0, 16, v20
	v_mul_f32_e32 v0, v61, v0
	v_and_b32_e32 v27, 0x7f800000, v0
	v_cmp_ne_u32_e32 vcc, s46, v27
                                        ; implicit-def: $vgpr28
	s_and_saveexec_b64 s[90:91], vcc
	s_xor_b64 s[90:91], exec, s[90:91]
; %bb.202:                              ;   in Loop: Header=BB4_133 Depth=3
	v_bfe_u32 v27, v0, 16, 1
	v_add3_u32 v28, v0, v27, s47
                                        ; implicit-def: $vgpr0
; %bb.203:                              ;   in Loop: Header=BB4_133 Depth=3
	s_andn2_saveexec_b64 s[90:91], s[90:91]
; %bb.204:                              ;   in Loop: Header=BB4_133 Depth=3
	v_or_b32_e32 v27, 0x10000, v0
	v_cmp_eq_u32_sdwa vcc, v0, v2 src0_sel:WORD_0 src1_sel:DWORD
	v_cndmask_b32_e32 v28, v27, v0, vcc
; %bb.205:                              ;   in Loop: Header=BB4_133 Depth=3
	s_or_b64 exec, exec, s[90:91]
	v_and_b32_e32 v0, 0xffff0000, v20
	v_mul_f32_e32 v0, v61, v0
	v_and_b32_e32 v20, 0x7f800000, v0
	v_cmp_ne_u32_e32 vcc, s46, v20
                                        ; implicit-def: $vgpr20
	s_and_saveexec_b64 s[90:91], vcc
	s_xor_b64 s[90:91], exec, s[90:91]
; %bb.206:                              ;   in Loop: Header=BB4_133 Depth=3
	v_bfe_u32 v20, v0, 16, 1
	v_add3_u32 v20, v0, v20, s47
                                        ; implicit-def: $vgpr0
; %bb.207:                              ;   in Loop: Header=BB4_133 Depth=3
	s_andn2_saveexec_b64 s[90:91], s[90:91]
; %bb.208:                              ;   in Loop: Header=BB4_133 Depth=3
	v_or_b32_e32 v20, 0x10000, v0
	v_cmp_eq_u32_sdwa vcc, v0, v2 src0_sel:WORD_0 src1_sel:DWORD
	v_cndmask_b32_e32 v20, v20, v0, vcc
; %bb.209:                              ;   in Loop: Header=BB4_133 Depth=3
	s_or_b64 exec, exec, s[90:91]
	v_lshlrev_b32_e32 v0, 16, v21
	v_mul_f32_e32 v0, v61, v0
	v_and_b32_e32 v27, 0x7f800000, v0
	v_cmp_ne_u32_e32 vcc, s46, v27
                                        ; implicit-def: $vgpr29
	s_and_saveexec_b64 s[90:91], vcc
	s_xor_b64 s[90:91], exec, s[90:91]
; %bb.210:                              ;   in Loop: Header=BB4_133 Depth=3
	v_bfe_u32 v27, v0, 16, 1
	v_add3_u32 v29, v0, v27, s47
                                        ; implicit-def: $vgpr0
; %bb.211:                              ;   in Loop: Header=BB4_133 Depth=3
	s_andn2_saveexec_b64 s[90:91], s[90:91]
; %bb.212:                              ;   in Loop: Header=BB4_133 Depth=3
	v_or_b32_e32 v27, 0x10000, v0
	v_cmp_eq_u32_sdwa vcc, v0, v2 src0_sel:WORD_0 src1_sel:DWORD
	v_cndmask_b32_e32 v29, v27, v0, vcc
; %bb.213:                              ;   in Loop: Header=BB4_133 Depth=3
	s_or_b64 exec, exec, s[90:91]
	v_and_b32_e32 v0, 0xffff0000, v21
	v_mul_f32_e32 v21, v61, v0
	v_and_b32_e32 v0, 0x7f800000, v21
	v_cmp_ne_u32_e32 vcc, s46, v0
                                        ; implicit-def: $vgpr0
	s_and_saveexec_b64 s[90:91], vcc
	s_xor_b64 s[90:91], exec, s[90:91]
; %bb.214:                              ;   in Loop: Header=BB4_133 Depth=3
	v_bfe_u32 v0, v21, 16, 1
	v_add3_u32 v0, v21, v0, s47
                                        ; implicit-def: $vgpr21
; %bb.215:                              ;   in Loop: Header=BB4_133 Depth=3
	s_andn2_saveexec_b64 s[90:91], s[90:91]
; %bb.216:                              ;   in Loop: Header=BB4_133 Depth=3
	v_or_b32_e32 v0, 0x10000, v21
	v_cmp_eq_u32_sdwa vcc, v21, v2 src0_sel:WORD_0 src1_sel:DWORD
	v_cndmask_b32_e32 v0, v0, v21, vcc
; %bb.217:                              ;   in Loop: Header=BB4_133 Depth=3
	s_or_b64 exec, exec, s[90:91]
	v_lshlrev_b32_e32 v21, 16, v22
	v_mul_f32_e32 v27, v61, v21
	v_and_b32_e32 v21, 0x7f800000, v27
	v_cmp_ne_u32_e32 vcc, s46, v21
                                        ; implicit-def: $vgpr21
	s_and_saveexec_b64 s[90:91], vcc
	s_xor_b64 s[90:91], exec, s[90:91]
; %bb.218:                              ;   in Loop: Header=BB4_133 Depth=3
	v_bfe_u32 v21, v27, 16, 1
	v_add3_u32 v21, v27, v21, s47
                                        ; implicit-def: $vgpr27
; %bb.219:                              ;   in Loop: Header=BB4_133 Depth=3
	s_andn2_saveexec_b64 s[90:91], s[90:91]
; %bb.220:                              ;   in Loop: Header=BB4_133 Depth=3
	v_or_b32_e32 v21, 0x10000, v27
	v_cmp_eq_u32_sdwa vcc, v27, v2 src0_sel:WORD_0 src1_sel:DWORD
	v_cndmask_b32_e32 v21, v21, v27, vcc
; %bb.221:                              ;   in Loop: Header=BB4_133 Depth=3
	s_or_b64 exec, exec, s[90:91]
	v_and_b32_e32 v22, 0xffff0000, v22
	v_mul_f32_e32 v27, v61, v22
	v_and_b32_e32 v22, 0x7f800000, v27
	v_cmp_ne_u32_e32 vcc, s46, v22
                                        ; implicit-def: $vgpr22
	s_and_saveexec_b64 s[90:91], vcc
	s_xor_b64 s[90:91], exec, s[90:91]
; %bb.222:                              ;   in Loop: Header=BB4_133 Depth=3
	v_bfe_u32 v22, v27, 16, 1
	v_add3_u32 v22, v27, v22, s47
                                        ; implicit-def: $vgpr27
; %bb.223:                              ;   in Loop: Header=BB4_133 Depth=3
	s_andn2_saveexec_b64 s[90:91], s[90:91]
; %bb.224:                              ;   in Loop: Header=BB4_133 Depth=3
	v_or_b32_e32 v22, 0x10000, v27
	v_cmp_eq_u32_sdwa vcc, v27, v2 src0_sel:WORD_0 src1_sel:DWORD
	v_cndmask_b32_e32 v22, v22, v27, vcc
; %bb.225:                              ;   in Loop: Header=BB4_133 Depth=3
	s_or_b64 exec, exec, s[90:91]
	v_lshlrev_b32_e32 v27, 16, v23
	v_mul_f32_e32 v27, v61, v27
	v_and_b32_e32 v34, 0x7f800000, v27
	v_cmp_ne_u32_e32 vcc, s46, v34
                                        ; implicit-def: $vgpr34
	s_and_saveexec_b64 s[90:91], vcc
	s_xor_b64 s[90:91], exec, s[90:91]
; %bb.226:                              ;   in Loop: Header=BB4_133 Depth=3
	v_bfe_u32 v34, v27, 16, 1
	v_add3_u32 v34, v27, v34, s47
                                        ; implicit-def: $vgpr27
; %bb.227:                              ;   in Loop: Header=BB4_133 Depth=3
	s_andn2_saveexec_b64 s[90:91], s[90:91]
; %bb.228:                              ;   in Loop: Header=BB4_133 Depth=3
	v_or_b32_e32 v34, 0x10000, v27
	v_cmp_eq_u32_sdwa vcc, v27, v2 src0_sel:WORD_0 src1_sel:DWORD
	v_cndmask_b32_e32 v34, v34, v27, vcc
; %bb.229:                              ;   in Loop: Header=BB4_133 Depth=3
	s_or_b64 exec, exec, s[90:91]
	v_and_b32_e32 v23, 0xffff0000, v23
	v_mul_f32_e32 v27, v61, v23
	v_and_b32_e32 v23, 0x7f800000, v27
	v_cmp_ne_u32_e32 vcc, s46, v23
                                        ; implicit-def: $vgpr23
	s_and_saveexec_b64 s[90:91], vcc
	s_xor_b64 s[90:91], exec, s[90:91]
; %bb.230:                              ;   in Loop: Header=BB4_133 Depth=3
	v_bfe_u32 v23, v27, 16, 1
	v_add3_u32 v23, v27, v23, s47
                                        ; implicit-def: $vgpr27
; %bb.231:                              ;   in Loop: Header=BB4_133 Depth=3
	s_andn2_saveexec_b64 s[90:91], s[90:91]
; %bb.232:                              ;   in Loop: Header=BB4_133 Depth=3
	v_or_b32_e32 v23, 0x10000, v27
	v_cmp_eq_u32_sdwa vcc, v27, v2 src0_sel:WORD_0 src1_sel:DWORD
	v_cndmask_b32_e32 v23, v23, v27, vcc
; %bb.233:                              ;   in Loop: Header=BB4_133 Depth=3
	s_or_b64 exec, exec, s[90:91]
	v_lshlrev_b32_e32 v27, 16, v16
	v_mul_f32_e32 v27, v61, v27
	v_and_b32_e32 v35, 0x7f800000, v27
	v_cmp_ne_u32_e32 vcc, s46, v35
                                        ; implicit-def: $vgpr35
	s_and_saveexec_b64 s[90:91], vcc
	s_xor_b64 s[90:91], exec, s[90:91]
; %bb.234:                              ;   in Loop: Header=BB4_133 Depth=3
	v_bfe_u32 v35, v27, 16, 1
	v_add3_u32 v35, v27, v35, s47
                                        ; implicit-def: $vgpr27
; %bb.235:                              ;   in Loop: Header=BB4_133 Depth=3
	s_andn2_saveexec_b64 s[90:91], s[90:91]
; %bb.236:                              ;   in Loop: Header=BB4_133 Depth=3
	v_or_b32_e32 v35, 0x10000, v27
	v_cmp_eq_u32_sdwa vcc, v27, v2 src0_sel:WORD_0 src1_sel:DWORD
	v_cndmask_b32_e32 v35, v35, v27, vcc
; %bb.237:                              ;   in Loop: Header=BB4_133 Depth=3
	s_or_b64 exec, exec, s[90:91]
	v_and_b32_e32 v16, 0xffff0000, v16
	v_mul_f32_e32 v27, v61, v16
	v_and_b32_e32 v16, 0x7f800000, v27
	v_cmp_ne_u32_e32 vcc, s46, v16
                                        ; implicit-def: $vgpr16
	s_and_saveexec_b64 s[90:91], vcc
	s_xor_b64 s[90:91], exec, s[90:91]
; %bb.238:                              ;   in Loop: Header=BB4_133 Depth=3
	v_bfe_u32 v16, v27, 16, 1
	v_add3_u32 v16, v27, v16, s47
                                        ; implicit-def: $vgpr27
; %bb.239:                              ;   in Loop: Header=BB4_133 Depth=3
	s_andn2_saveexec_b64 s[90:91], s[90:91]
; %bb.240:                              ;   in Loop: Header=BB4_133 Depth=3
	v_or_b32_e32 v16, 0x10000, v27
	v_cmp_eq_u32_sdwa vcc, v27, v2 src0_sel:WORD_0 src1_sel:DWORD
	v_cndmask_b32_e32 v16, v16, v27, vcc
; %bb.241:                              ;   in Loop: Header=BB4_133 Depth=3
	s_or_b64 exec, exec, s[90:91]
	v_lshlrev_b32_e32 v27, 16, v17
	v_mul_f32_e32 v43, v61, v27
	v_and_b32_e32 v27, 0x7f800000, v43
	v_cmp_ne_u32_e32 vcc, s46, v27
                                        ; implicit-def: $vgpr27
	s_and_saveexec_b64 s[90:91], vcc
	s_xor_b64 s[90:91], exec, s[90:91]
; %bb.242:                              ;   in Loop: Header=BB4_133 Depth=3
	v_bfe_u32 v27, v43, 16, 1
	v_add3_u32 v27, v43, v27, s47
                                        ; implicit-def: $vgpr43
; %bb.243:                              ;   in Loop: Header=BB4_133 Depth=3
	s_andn2_saveexec_b64 s[90:91], s[90:91]
; %bb.244:                              ;   in Loop: Header=BB4_133 Depth=3
	v_or_b32_e32 v27, 0x10000, v43
	v_cmp_eq_u32_sdwa vcc, v43, v2 src0_sel:WORD_0 src1_sel:DWORD
	v_cndmask_b32_e32 v27, v27, v43, vcc
; %bb.245:                              ;   in Loop: Header=BB4_133 Depth=3
	s_or_b64 exec, exec, s[90:91]
	v_and_b32_e32 v17, 0xffff0000, v17
	v_mul_f32_e32 v43, v61, v17
	v_and_b32_e32 v17, 0x7f800000, v43
	v_cmp_ne_u32_e32 vcc, s46, v17
                                        ; implicit-def: $vgpr17
	s_and_saveexec_b64 s[90:91], vcc
	s_xor_b64 s[90:91], exec, s[90:91]
; %bb.246:                              ;   in Loop: Header=BB4_133 Depth=3
	v_bfe_u32 v17, v43, 16, 1
	v_add3_u32 v17, v43, v17, s47
                                        ; implicit-def: $vgpr43
; %bb.247:                              ;   in Loop: Header=BB4_133 Depth=3
	s_andn2_saveexec_b64 s[90:91], s[90:91]
; %bb.248:                              ;   in Loop: Header=BB4_133 Depth=3
	v_or_b32_e32 v17, 0x10000, v43
	v_cmp_eq_u32_sdwa vcc, v43, v2 src0_sel:WORD_0 src1_sel:DWORD
	v_cndmask_b32_e32 v17, v17, v43, vcc
; %bb.249:                              ;   in Loop: Header=BB4_133 Depth=3
	s_or_b64 exec, exec, s[90:91]
	v_lshlrev_b32_e32 v48, 16, v18
	v_mul_f32_e32 v43, v61, v48
	v_and_b32_e32 v48, 0x7f800000, v43
	v_cmp_ne_u32_e32 vcc, s46, v48
                                        ; implicit-def: $vgpr44
	s_and_saveexec_b64 s[90:91], vcc
	s_xor_b64 s[90:91], exec, s[90:91]
; %bb.250:                              ;   in Loop: Header=BB4_133 Depth=3
	v_bfe_u32 v48, v43, 16, 1
	v_add3_u32 v44, v43, v48, s47
                                        ; implicit-def: $vgpr43
; %bb.251:                              ;   in Loop: Header=BB4_133 Depth=3
	s_andn2_saveexec_b64 s[90:91], s[90:91]
; %bb.252:                              ;   in Loop: Header=BB4_133 Depth=3
	v_or_b32_e32 v48, 0x10000, v43
	v_cmp_eq_u32_sdwa vcc, v43, v2 src0_sel:WORD_0 src1_sel:DWORD
	v_cndmask_b32_e32 v44, v48, v43, vcc
; %bb.253:                              ;   in Loop: Header=BB4_133 Depth=3
	s_or_b64 exec, exec, s[90:91]
	v_and_b32_e32 v18, 0xffff0000, v18
	v_mul_f32_e32 v43, v61, v18
	v_and_b32_e32 v18, 0x7f800000, v43
	v_cmp_ne_u32_e32 vcc, s46, v18
                                        ; implicit-def: $vgpr18
	s_and_saveexec_b64 s[90:91], vcc
	s_xor_b64 s[90:91], exec, s[90:91]
; %bb.254:                              ;   in Loop: Header=BB4_133 Depth=3
	v_bfe_u32 v18, v43, 16, 1
	v_add3_u32 v18, v43, v18, s47
                                        ; implicit-def: $vgpr43
; %bb.255:                              ;   in Loop: Header=BB4_133 Depth=3
	s_andn2_saveexec_b64 s[90:91], s[90:91]
; %bb.256:                              ;   in Loop: Header=BB4_133 Depth=3
	v_or_b32_e32 v18, 0x10000, v43
	v_cmp_eq_u32_sdwa vcc, v43, v2 src0_sel:WORD_0 src1_sel:DWORD
	v_cndmask_b32_e32 v18, v18, v43, vcc
; %bb.257:                              ;   in Loop: Header=BB4_133 Depth=3
	s_or_b64 exec, exec, s[90:91]
	v_lshlrev_b32_e32 v48, 16, v19
	v_mul_f32_e32 v56, v61, v48
	v_and_b32_e32 v48, 0x7f800000, v56
	v_cmp_ne_u32_e32 vcc, s46, v48
                                        ; implicit-def: $vgpr43
	s_and_saveexec_b64 s[90:91], vcc
	s_xor_b64 s[90:91], exec, s[90:91]
; %bb.258:                              ;   in Loop: Header=BB4_133 Depth=3
	v_bfe_u32 v48, v56, 16, 1
	v_add3_u32 v43, v56, v48, s47
                                        ; implicit-def: $vgpr56
; %bb.259:                              ;   in Loop: Header=BB4_133 Depth=3
	s_andn2_saveexec_b64 s[90:91], s[90:91]
; %bb.260:                              ;   in Loop: Header=BB4_133 Depth=3
	v_or_b32_e32 v48, 0x10000, v56
	v_cmp_eq_u32_sdwa vcc, v56, v2 src0_sel:WORD_0 src1_sel:DWORD
	v_cndmask_b32_e32 v43, v48, v56, vcc
; %bb.261:                              ;   in Loop: Header=BB4_133 Depth=3
	s_or_b64 exec, exec, s[90:91]
	v_and_b32_e32 v19, 0xffff0000, v19
	v_mul_f32_e32 v56, v61, v19
	v_and_b32_e32 v19, 0x7f800000, v56
	v_cmp_ne_u32_e32 vcc, s46, v19
                                        ; implicit-def: $vgpr19
	s_and_saveexec_b64 s[90:91], vcc
	s_xor_b64 s[90:91], exec, s[90:91]
; %bb.262:                              ;   in Loop: Header=BB4_133 Depth=3
	v_bfe_u32 v19, v56, 16, 1
	v_add3_u32 v19, v56, v19, s47
                                        ; implicit-def: $vgpr56
; %bb.263:                              ;   in Loop: Header=BB4_133 Depth=3
	s_or_saveexec_b64 s[90:91], s[90:91]
	v_mov_b32_e32 v58, v47
	s_xor_b64 exec, exec, s[90:91]
	s_cbranch_execz .LBB4_132
; %bb.264:                              ;   in Loop: Header=BB4_133 Depth=3
	v_or_b32_e32 v19, 0x10000, v56
	v_cmp_eq_u32_sdwa vcc, v56, v2 src0_sel:WORD_0 src1_sel:DWORD
	v_cndmask_b32_e32 v19, v19, v56, vcc
	s_branch .LBB4_132
.LBB4_265:                              ;   in Loop: Header=BB4_57 Depth=2
	buffer_load_dword v0, off, s[0:3], s33 offset:216 ; 4-byte Folded Reload
	buffer_load_dword v11, off, s[0:3], s33 offset:200 ; 4-byte Folded Reload
	s_and_saveexec_b64 s[26:27], s[74:75]
	s_cbranch_execnz .LBB4_446
	s_branch .LBB4_526
.LBB4_266:                              ;   in Loop: Header=BB4_57 Depth=2
	s_or_b64 exec, exec, s[76:77]
	buffer_load_dword v35, off, s[0:3], s33 offset:252 ; 4-byte Folded Reload
	buffer_load_dword v23, off, s[0:3], s33 offset:256 ; 4-byte Folded Reload
	s_and_b64 s[76:77], s[78:79], exec
.LBB4_267:                              ;   in Loop: Header=BB4_57 Depth=2
	s_or_b64 exec, exec, s[26:27]
	s_and_saveexec_b64 s[26:27], s[76:77]
	s_cbranch_execz .LBB4_333
; %bb.268:                              ;   in Loop: Header=BB4_57 Depth=2
	s_trap 2
	ds_read_b32 v0, v0
	s_waitcnt lgkmcnt(0)
	v_lshlrev_b32_e32 v4, 16, v0
	v_lshlrev_b32_e32 v0, 16, v12
	v_mul_f32_e32 v0, v0, v4
	v_and_b32_e32 v3, 0x7f800000, v0
	v_cmp_ne_u32_e32 vcc, s46, v3
                                        ; implicit-def: $vgpr3
	s_and_saveexec_b64 s[76:77], vcc
	s_xor_b64 s[76:77], exec, s[76:77]
; %bb.269:                              ;   in Loop: Header=BB4_57 Depth=2
	v_bfe_u32 v3, v0, 16, 1
	v_add3_u32 v3, v0, v3, s47
                                        ; implicit-def: $vgpr0
; %bb.270:                              ;   in Loop: Header=BB4_57 Depth=2
	s_andn2_saveexec_b64 s[76:77], s[76:77]
; %bb.271:                              ;   in Loop: Header=BB4_57 Depth=2
	v_or_b32_e32 v3, 0x10000, v0
	v_cmp_eq_u32_sdwa vcc, v0, v2 src0_sel:WORD_0 src1_sel:DWORD
	v_cndmask_b32_e32 v3, v3, v0, vcc
; %bb.272:                              ;   in Loop: Header=BB4_57 Depth=2
	s_or_b64 exec, exec, s[76:77]
	v_and_b32_e32 v0, 0xffff0000, v12
	v_mul_f32_e32 v0, v0, v4
	v_and_b32_e32 v12, 0x7f800000, v0
	v_cmp_ne_u32_e32 vcc, s46, v12
                                        ; implicit-def: $vgpr12
	s_and_saveexec_b64 s[76:77], vcc
	s_xor_b64 s[76:77], exec, s[76:77]
; %bb.273:                              ;   in Loop: Header=BB4_57 Depth=2
	v_bfe_u32 v12, v0, 16, 1
	v_add3_u32 v12, v0, v12, s47
                                        ; implicit-def: $vgpr0
; %bb.274:                              ;   in Loop: Header=BB4_57 Depth=2
	s_andn2_saveexec_b64 s[76:77], s[76:77]
; %bb.275:                              ;   in Loop: Header=BB4_57 Depth=2
	v_or_b32_e32 v12, 0x10000, v0
	v_cmp_eq_u32_sdwa vcc, v0, v2 src0_sel:WORD_0 src1_sel:DWORD
	v_cndmask_b32_e32 v12, v12, v0, vcc
; %bb.276:                              ;   in Loop: Header=BB4_57 Depth=2
	s_or_b64 exec, exec, s[76:77]
	v_lshlrev_b32_e32 v0, 16, v13
	v_mul_f32_e32 v0, v0, v4
	v_and_b32_e32 v16, 0x7f800000, v0
	v_cmp_ne_u32_e32 vcc, s46, v16
                                        ; implicit-def: $vgpr16
	s_and_saveexec_b64 s[76:77], vcc
	s_xor_b64 s[76:77], exec, s[76:77]
; %bb.277:                              ;   in Loop: Header=BB4_57 Depth=2
	v_bfe_u32 v16, v0, 16, 1
	v_add3_u32 v16, v0, v16, s47
                                        ; implicit-def: $vgpr0
; %bb.278:                              ;   in Loop: Header=BB4_57 Depth=2
	s_andn2_saveexec_b64 s[76:77], s[76:77]
; %bb.279:                              ;   in Loop: Header=BB4_57 Depth=2
	v_or_b32_e32 v16, 0x10000, v0
	v_cmp_eq_u32_sdwa vcc, v0, v2 src0_sel:WORD_0 src1_sel:DWORD
	v_cndmask_b32_e32 v16, v16, v0, vcc
; %bb.280:                              ;   in Loop: Header=BB4_57 Depth=2
	s_or_b64 exec, exec, s[76:77]
	v_and_b32_e32 v0, 0xffff0000, v13
	v_mul_f32_e32 v13, v0, v4
	v_and_b32_e32 v0, 0x7f800000, v13
	v_cmp_ne_u32_e32 vcc, s46, v0
                                        ; implicit-def: $vgpr0
	s_and_saveexec_b64 s[76:77], vcc
	s_xor_b64 s[76:77], exec, s[76:77]
; %bb.281:                              ;   in Loop: Header=BB4_57 Depth=2
	v_bfe_u32 v0, v13, 16, 1
	v_add3_u32 v0, v13, v0, s47
                                        ; implicit-def: $vgpr13
; %bb.282:                              ;   in Loop: Header=BB4_57 Depth=2
	s_andn2_saveexec_b64 s[76:77], s[76:77]
; %bb.283:                              ;   in Loop: Header=BB4_57 Depth=2
	v_or_b32_e32 v0, 0x10000, v13
	v_cmp_eq_u32_sdwa vcc, v13, v2 src0_sel:WORD_0 src1_sel:DWORD
	v_cndmask_b32_e32 v0, v0, v13, vcc
; %bb.284:                              ;   in Loop: Header=BB4_57 Depth=2
	s_or_b64 exec, exec, s[76:77]
	v_lshlrev_b32_e32 v13, 16, v14
	v_mul_f32_e32 v17, v13, v4
	v_and_b32_e32 v13, 0x7f800000, v17
	v_cmp_ne_u32_e32 vcc, s46, v13
                                        ; implicit-def: $vgpr13
	s_and_saveexec_b64 s[76:77], vcc
	s_xor_b64 s[76:77], exec, s[76:77]
; %bb.285:                              ;   in Loop: Header=BB4_57 Depth=2
	v_bfe_u32 v13, v17, 16, 1
	v_add3_u32 v13, v17, v13, s47
                                        ; implicit-def: $vgpr17
; %bb.286:                              ;   in Loop: Header=BB4_57 Depth=2
	s_andn2_saveexec_b64 s[76:77], s[76:77]
; %bb.287:                              ;   in Loop: Header=BB4_57 Depth=2
	v_or_b32_e32 v13, 0x10000, v17
	v_cmp_eq_u32_sdwa vcc, v17, v2 src0_sel:WORD_0 src1_sel:DWORD
	v_cndmask_b32_e32 v13, v13, v17, vcc
; %bb.288:                              ;   in Loop: Header=BB4_57 Depth=2
	s_or_b64 exec, exec, s[76:77]
	v_and_b32_e32 v14, 0xffff0000, v14
	v_mul_f32_e32 v17, v14, v4
	v_and_b32_e32 v14, 0x7f800000, v17
	v_cmp_ne_u32_e32 vcc, s46, v14
                                        ; implicit-def: $vgpr14
	s_and_saveexec_b64 s[76:77], vcc
	s_xor_b64 s[76:77], exec, s[76:77]
; %bb.289:                              ;   in Loop: Header=BB4_57 Depth=2
	v_bfe_u32 v14, v17, 16, 1
	v_add3_u32 v14, v17, v14, s47
                                        ; implicit-def: $vgpr17
; %bb.290:                              ;   in Loop: Header=BB4_57 Depth=2
	s_andn2_saveexec_b64 s[76:77], s[76:77]
; %bb.291:                              ;   in Loop: Header=BB4_57 Depth=2
	v_or_b32_e32 v14, 0x10000, v17
	v_cmp_eq_u32_sdwa vcc, v17, v2 src0_sel:WORD_0 src1_sel:DWORD
	v_cndmask_b32_e32 v14, v14, v17, vcc
; %bb.292:                              ;   in Loop: Header=BB4_57 Depth=2
	s_or_b64 exec, exec, s[76:77]
	v_lshlrev_b32_e32 v17, 16, v15
	v_mul_f32_e32 v18, v17, v4
	v_and_b32_e32 v17, 0x7f800000, v18
	v_cmp_ne_u32_e32 vcc, s46, v17
                                        ; implicit-def: $vgpr17
	s_and_saveexec_b64 s[76:77], vcc
	s_xor_b64 s[76:77], exec, s[76:77]
; %bb.293:                              ;   in Loop: Header=BB4_57 Depth=2
	v_bfe_u32 v17, v18, 16, 1
	v_add3_u32 v17, v18, v17, s47
                                        ; implicit-def: $vgpr18
; %bb.294:                              ;   in Loop: Header=BB4_57 Depth=2
	s_andn2_saveexec_b64 s[76:77], s[76:77]
; %bb.295:                              ;   in Loop: Header=BB4_57 Depth=2
	v_or_b32_e32 v17, 0x10000, v18
	v_cmp_eq_u32_sdwa vcc, v18, v2 src0_sel:WORD_0 src1_sel:DWORD
	v_cndmask_b32_e32 v17, v17, v18, vcc
; %bb.296:                              ;   in Loop: Header=BB4_57 Depth=2
	s_or_b64 exec, exec, s[76:77]
	v_and_b32_e32 v15, 0xffff0000, v15
	v_mul_f32_e32 v18, v15, v4
	v_and_b32_e32 v15, 0x7f800000, v18
	v_cmp_ne_u32_e32 vcc, s46, v15
                                        ; implicit-def: $vgpr15
	s_and_saveexec_b64 s[76:77], vcc
	s_xor_b64 s[76:77], exec, s[76:77]
; %bb.297:                              ;   in Loop: Header=BB4_57 Depth=2
	v_bfe_u32 v15, v18, 16, 1
	v_add3_u32 v15, v18, v15, s47
                                        ; implicit-def: $vgpr18
; %bb.298:                              ;   in Loop: Header=BB4_57 Depth=2
	s_andn2_saveexec_b64 s[76:77], s[76:77]
; %bb.299:                              ;   in Loop: Header=BB4_57 Depth=2
	v_or_b32_e32 v15, 0x10000, v18
	v_cmp_eq_u32_sdwa vcc, v18, v2 src0_sel:WORD_0 src1_sel:DWORD
	v_cndmask_b32_e32 v15, v15, v18, vcc
; %bb.300:                              ;   in Loop: Header=BB4_57 Depth=2
	s_or_b64 exec, exec, s[76:77]
	v_lshlrev_b32_e32 v18, 16, v8
	v_mul_f32_e32 v19, v18, v4
	v_and_b32_e32 v18, 0x7f800000, v19
	v_cmp_ne_u32_e32 vcc, s46, v18
                                        ; implicit-def: $vgpr18
	s_and_saveexec_b64 s[76:77], vcc
	s_xor_b64 s[76:77], exec, s[76:77]
; %bb.301:                              ;   in Loop: Header=BB4_57 Depth=2
	v_bfe_u32 v18, v19, 16, 1
	v_add3_u32 v18, v19, v18, s47
                                        ; implicit-def: $vgpr19
; %bb.302:                              ;   in Loop: Header=BB4_57 Depth=2
	s_andn2_saveexec_b64 s[76:77], s[76:77]
; %bb.303:                              ;   in Loop: Header=BB4_57 Depth=2
	v_or_b32_e32 v18, 0x10000, v19
	v_cmp_eq_u32_sdwa vcc, v19, v2 src0_sel:WORD_0 src1_sel:DWORD
	v_cndmask_b32_e32 v18, v18, v19, vcc
; %bb.304:                              ;   in Loop: Header=BB4_57 Depth=2
	s_or_b64 exec, exec, s[76:77]
	v_and_b32_e32 v8, 0xffff0000, v8
	v_mul_f32_e32 v19, v8, v4
	v_and_b32_e32 v8, 0x7f800000, v19
	v_cmp_ne_u32_e32 vcc, s46, v8
                                        ; implicit-def: $vgpr8
	s_and_saveexec_b64 s[76:77], vcc
	s_xor_b64 s[76:77], exec, s[76:77]
; %bb.305:                              ;   in Loop: Header=BB4_57 Depth=2
	v_bfe_u32 v8, v19, 16, 1
	v_add3_u32 v8, v19, v8, s47
                                        ; implicit-def: $vgpr19
; %bb.306:                              ;   in Loop: Header=BB4_57 Depth=2
	s_andn2_saveexec_b64 s[76:77], s[76:77]
; %bb.307:                              ;   in Loop: Header=BB4_57 Depth=2
	v_or_b32_e32 v8, 0x10000, v19
	v_cmp_eq_u32_sdwa vcc, v19, v2 src0_sel:WORD_0 src1_sel:DWORD
	v_cndmask_b32_e32 v8, v8, v19, vcc
; %bb.308:                              ;   in Loop: Header=BB4_57 Depth=2
	s_or_b64 exec, exec, s[76:77]
	v_lshlrev_b32_e32 v19, 16, v9
	v_mul_f32_e32 v20, v19, v4
	v_and_b32_e32 v19, 0x7f800000, v20
	v_cmp_ne_u32_e32 vcc, s46, v19
                                        ; implicit-def: $vgpr19
	s_and_saveexec_b64 s[76:77], vcc
	s_xor_b64 s[76:77], exec, s[76:77]
; %bb.309:                              ;   in Loop: Header=BB4_57 Depth=2
	v_bfe_u32 v19, v20, 16, 1
	v_add3_u32 v19, v20, v19, s47
                                        ; implicit-def: $vgpr20
; %bb.310:                              ;   in Loop: Header=BB4_57 Depth=2
	s_andn2_saveexec_b64 s[76:77], s[76:77]
; %bb.311:                              ;   in Loop: Header=BB4_57 Depth=2
	v_or_b32_e32 v19, 0x10000, v20
	v_cmp_eq_u32_sdwa vcc, v20, v2 src0_sel:WORD_0 src1_sel:DWORD
	v_cndmask_b32_e32 v19, v19, v20, vcc
; %bb.312:                              ;   in Loop: Header=BB4_57 Depth=2
	s_or_b64 exec, exec, s[76:77]
	v_and_b32_e32 v9, 0xffff0000, v9
	v_mul_f32_e32 v20, v9, v4
	v_and_b32_e32 v9, 0x7f800000, v20
	v_cmp_ne_u32_e32 vcc, s46, v9
                                        ; implicit-def: $vgpr9
	s_and_saveexec_b64 s[76:77], vcc
	s_xor_b64 s[76:77], exec, s[76:77]
; %bb.313:                              ;   in Loop: Header=BB4_57 Depth=2
	v_bfe_u32 v9, v20, 16, 1
	v_add3_u32 v9, v20, v9, s47
                                        ; implicit-def: $vgpr20
; %bb.314:                              ;   in Loop: Header=BB4_57 Depth=2
	s_andn2_saveexec_b64 s[76:77], s[76:77]
; %bb.315:                              ;   in Loop: Header=BB4_57 Depth=2
	v_or_b32_e32 v9, 0x10000, v20
	v_cmp_eq_u32_sdwa vcc, v20, v2 src0_sel:WORD_0 src1_sel:DWORD
	v_cndmask_b32_e32 v9, v9, v20, vcc
; %bb.316:                              ;   in Loop: Header=BB4_57 Depth=2
	s_or_b64 exec, exec, s[76:77]
	v_lshlrev_b32_e32 v20, 16, v10
	v_mul_f32_e32 v21, v20, v4
	v_and_b32_e32 v20, 0x7f800000, v21
	v_cmp_ne_u32_e32 vcc, s46, v20
                                        ; implicit-def: $vgpr20
	s_and_saveexec_b64 s[76:77], vcc
	s_xor_b64 s[76:77], exec, s[76:77]
; %bb.317:                              ;   in Loop: Header=BB4_57 Depth=2
	v_bfe_u32 v20, v21, 16, 1
	v_add3_u32 v20, v21, v20, s47
                                        ; implicit-def: $vgpr21
; %bb.318:                              ;   in Loop: Header=BB4_57 Depth=2
	s_andn2_saveexec_b64 s[76:77], s[76:77]
; %bb.319:                              ;   in Loop: Header=BB4_57 Depth=2
	v_or_b32_e32 v20, 0x10000, v21
	v_cmp_eq_u32_sdwa vcc, v21, v2 src0_sel:WORD_0 src1_sel:DWORD
	v_cndmask_b32_e32 v20, v20, v21, vcc
; %bb.320:                              ;   in Loop: Header=BB4_57 Depth=2
	s_or_b64 exec, exec, s[76:77]
	v_and_b32_e32 v10, 0xffff0000, v10
	v_mul_f32_e32 v21, v10, v4
	v_and_b32_e32 v10, 0x7f800000, v21
	v_cmp_ne_u32_e32 vcc, s46, v10
                                        ; implicit-def: $vgpr10
	s_and_saveexec_b64 s[76:77], vcc
	s_xor_b64 s[76:77], exec, s[76:77]
; %bb.321:                              ;   in Loop: Header=BB4_57 Depth=2
	v_bfe_u32 v10, v21, 16, 1
	v_add3_u32 v10, v21, v10, s47
                                        ; implicit-def: $vgpr21
; %bb.322:                              ;   in Loop: Header=BB4_57 Depth=2
	s_andn2_saveexec_b64 s[76:77], s[76:77]
; %bb.323:                              ;   in Loop: Header=BB4_57 Depth=2
	v_or_b32_e32 v10, 0x10000, v21
	v_cmp_eq_u32_sdwa vcc, v21, v2 src0_sel:WORD_0 src1_sel:DWORD
	v_cndmask_b32_e32 v10, v10, v21, vcc
; %bb.324:                              ;   in Loop: Header=BB4_57 Depth=2
	s_or_b64 exec, exec, s[76:77]
	v_lshlrev_b32_e32 v21, 16, v11
	v_mul_f32_e32 v22, v21, v4
	v_and_b32_e32 v21, 0x7f800000, v22
	v_cmp_ne_u32_e32 vcc, s46, v21
                                        ; implicit-def: $vgpr21
	s_and_saveexec_b64 s[76:77], vcc
	s_xor_b64 s[76:77], exec, s[76:77]
; %bb.325:                              ;   in Loop: Header=BB4_57 Depth=2
	v_bfe_u32 v21, v22, 16, 1
	v_add3_u32 v21, v22, v21, s47
                                        ; implicit-def: $vgpr22
; %bb.326:                              ;   in Loop: Header=BB4_57 Depth=2
	s_andn2_saveexec_b64 s[76:77], s[76:77]
; %bb.327:                              ;   in Loop: Header=BB4_57 Depth=2
	v_or_b32_e32 v21, 0x10000, v22
	v_cmp_eq_u32_sdwa vcc, v22, v2 src0_sel:WORD_0 src1_sel:DWORD
	v_cndmask_b32_e32 v21, v21, v22, vcc
; %bb.328:                              ;   in Loop: Header=BB4_57 Depth=2
	s_or_b64 exec, exec, s[76:77]
	v_and_b32_e32 v11, 0xffff0000, v11
	v_mul_f32_e32 v11, v11, v4
	v_and_b32_e32 v4, 0x7f800000, v11
	v_cmp_ne_u32_e32 vcc, s46, v4
                                        ; implicit-def: $vgpr4
	s_and_saveexec_b64 s[76:77], vcc
	s_xor_b64 s[76:77], exec, s[76:77]
; %bb.329:                              ;   in Loop: Header=BB4_57 Depth=2
	v_bfe_u32 v4, v11, 16, 1
	v_add3_u32 v4, v11, v4, s47
                                        ; implicit-def: $vgpr11
; %bb.330:                              ;   in Loop: Header=BB4_57 Depth=2
	s_andn2_saveexec_b64 s[76:77], s[76:77]
; %bb.331:                              ;   in Loop: Header=BB4_57 Depth=2
	v_or_b32_e32 v4, 0x10000, v11
	v_cmp_eq_u32_sdwa vcc, v11, v2 src0_sel:WORD_0 src1_sel:DWORD
	v_cndmask_b32_e32 v4, v4, v11, vcc
; %bb.332:                              ;   in Loop: Header=BB4_57 Depth=2
	s_or_b64 exec, exec, s[76:77]
	v_lshrrev_b32_e32 v11, 16, v16
	v_and_or_b32 v44, v0, s44, v11
	v_lshrrev_b32_e32 v0, 16, v3
	v_and_or_b32 v43, v12, s44, v0
	;; [unrolled: 2-line block ×8, first 2 shown]
	global_store_dwordx4 v[50:51], v[43:46], off glc slc
	global_store_dwordx4 v[50:51], v[8:11], off offset:1024 glc slc
.LBB4_333:                              ;   in Loop: Header=BB4_57 Depth=2
	s_or_b64 exec, exec, s[26:27]
	s_waitcnt vmcnt(0)
	v_lshlrev_b32_e32 v3, 11, v23
	v_cmp_ne_u32_e32 vcc, v53, v3
                                        ; implicit-def: $vgpr10
                                        ; implicit-def: $vgpr0
                                        ; implicit-def: $vgpr11
	s_and_saveexec_b64 s[76:77], vcc
	s_cbranch_execz .LBB4_445
; %bb.334:                              ;   in Loop: Header=BB4_57 Depth=2
	buffer_load_dword v4, off, s[0:3], s33 offset:200 ; 4-byte Folded Reload
	v_lshlrev_b32_e32 v0, 6, v57
	v_sub_u32_e32 v8, v53, v3
	s_mov_b64 s[88:89], 0
	s_waitcnt vmcnt(0)
	v_sub_u32_e32 v0, v4, v0
	v_ashrrev_i32_e32 v4, 31, v0
	v_lshrrev_b32_e32 v4, 26, v4
	v_add_u32_e32 v4, v0, v4
	v_ashrrev_i32_e32 v9, 6, v4
	v_and_b32_e32 v4, 0xffffffc0, v4
	v_sub_u32_e32 v4, v0, v4
	v_lshlrev_b32_e32 v0, 4, v4
	v_lshl_add_u32 v10, v9, 10, v0
	v_add_u32_e32 v0, v10, v3
	v_sub_u32_e32 v23, v8, v10
	v_ashrrev_i32_e32 v10, 31, v8
	v_lshrrev_b32_e32 v10, 22, v10
	v_add_u32_e32 v10, v8, v10
	v_and_b32_e32 v20, 0xfffffc00, v10
	v_sub_u32_e32 v22, v8, v20
	v_ashrrev_i32_e32 v11, 10, v10
	v_cmp_lt_i32_e64 s[26:27], 15, v22
	v_addc_co_u32_e64 v8, vcc, 0, v11, s[26:27]
	v_ashrrev_i32_e32 v10, 31, v0
	v_add_co_u32_e32 v16, vcc, v0, v24
	v_addc_co_u32_e32 v17, vcc, v10, v25, vcc
	v_sub_u32_e32 v21, v8, v9
	v_cmp_lt_i32_e32 vcc, 15, v23
                                        ; implicit-def: $vgpr8_vgpr9
	s_and_saveexec_b64 s[78:79], vcc
	s_cbranch_execz .LBB4_408
; %bb.335:                              ;   in Loop: Header=BB4_57 Depth=2
	s_trap 2
	ds_read_b32 v8, v0
	v_add_co_u32_e32 v18, vcc, v0, v30
	v_addc_co_u32_e32 v19, vcc, v10, v31, vcc
	s_waitcnt lgkmcnt(0)
	v_lshlrev_b32_e32 v50, 16, v8
	s_mov_b64 s[92:93], 0
                                        ; implicit-def: $sgpr90_sgpr91
                                        ; implicit-def: $vgpr8_vgpr9
	s_branch .LBB4_337
.LBB4_336:                              ;   in Loop: Header=BB4_337 Depth=3
	s_or_b64 exec, exec, s[94:95]
	v_cmp_gt_i32_e32 vcc, 16, v23
	s_or_b64 s[88:89], vcc, s[88:89]
	s_andn2_b64 s[90:91], s[90:91], exec
	s_and_b64 s[94:95], s[92:93], exec
	s_or_b64 s[90:91], s[90:91], s[94:95]
	s_andn2_b64 exec, exec, s[88:89]
	s_cbranch_execz .LBB4_407
.LBB4_337:                              ;   Parent Loop BB4_47 Depth=1
                                        ;     Parent Loop BB4_57 Depth=2
                                        ; =>    This Inner Loop Header: Depth=3
	global_load_dwordx4 v[12:15], v[18:19], off glc slc
	s_and_saveexec_b64 s[94:95], s[92:93]
	s_cbranch_execz .LBB4_371
; %bb.338:                              ;   in Loop: Header=BB4_337 Depth=3
	s_waitcnt vmcnt(2)
	v_lshlrev_b32_e32 v0, 16, v8
	v_mul_f32_e32 v27, v50, v0
	v_and_b32_e32 v0, 0x7f800000, v27
	v_cmp_ne_u32_e32 vcc, s46, v0
                                        ; implicit-def: $vgpr0
	s_and_saveexec_b64 s[92:93], vcc
	s_xor_b64 s[92:93], exec, s[92:93]
; %bb.339:                              ;   in Loop: Header=BB4_337 Depth=3
	v_bfe_u32 v0, v27, 16, 1
	v_add3_u32 v0, v27, v0, s47
                                        ; implicit-def: $vgpr27
; %bb.340:                              ;   in Loop: Header=BB4_337 Depth=3
	s_andn2_saveexec_b64 s[92:93], s[92:93]
; %bb.341:                              ;   in Loop: Header=BB4_337 Depth=3
	v_or_b32_e32 v0, 0x10000, v27
	v_cmp_eq_u32_sdwa vcc, v27, v2 src0_sel:WORD_0 src1_sel:DWORD
	v_cndmask_b32_e32 v0, v0, v27, vcc
; %bb.342:                              ;   in Loop: Header=BB4_337 Depth=3
	s_or_b64 exec, exec, s[92:93]
	v_and_b32_e32 v8, 0xffff0000, v8
	v_mul_f32_e32 v27, v50, v8
	v_and_b32_e32 v8, 0x7f800000, v27
	v_cmp_ne_u32_e32 vcc, s46, v8
                                        ; implicit-def: $vgpr8
	s_and_saveexec_b64 s[92:93], vcc
	s_xor_b64 s[92:93], exec, s[92:93]
; %bb.343:                              ;   in Loop: Header=BB4_337 Depth=3
	v_bfe_u32 v8, v27, 16, 1
	v_add3_u32 v8, v27, v8, s47
                                        ; implicit-def: $vgpr27
; %bb.344:                              ;   in Loop: Header=BB4_337 Depth=3
	s_andn2_saveexec_b64 s[92:93], s[92:93]
; %bb.345:                              ;   in Loop: Header=BB4_337 Depth=3
	v_or_b32_e32 v8, 0x10000, v27
	v_cmp_eq_u32_sdwa vcc, v27, v2 src0_sel:WORD_0 src1_sel:DWORD
	v_cndmask_b32_e32 v8, v8, v27, vcc
; %bb.346:                              ;   in Loop: Header=BB4_337 Depth=3
	s_or_b64 exec, exec, s[92:93]
	v_lshlrev_b32_e32 v27, 16, v9
	v_mul_f32_e32 v28, v50, v27
	v_and_b32_e32 v27, 0x7f800000, v28
	v_cmp_ne_u32_e32 vcc, s46, v27
                                        ; implicit-def: $vgpr27
	s_and_saveexec_b64 s[92:93], vcc
	s_xor_b64 s[92:93], exec, s[92:93]
; %bb.347:                              ;   in Loop: Header=BB4_337 Depth=3
	v_bfe_u32 v27, v28, 16, 1
	v_add3_u32 v27, v28, v27, s47
                                        ; implicit-def: $vgpr28
; %bb.348:                              ;   in Loop: Header=BB4_337 Depth=3
	s_andn2_saveexec_b64 s[92:93], s[92:93]
; %bb.349:                              ;   in Loop: Header=BB4_337 Depth=3
	v_or_b32_e32 v27, 0x10000, v28
	v_cmp_eq_u32_sdwa vcc, v28, v2 src0_sel:WORD_0 src1_sel:DWORD
	v_cndmask_b32_e32 v27, v27, v28, vcc
; %bb.350:                              ;   in Loop: Header=BB4_337 Depth=3
	s_or_b64 exec, exec, s[92:93]
	v_and_b32_e32 v9, 0xffff0000, v9
	v_mul_f32_e32 v28, v50, v9
	v_and_b32_e32 v9, 0x7f800000, v28
	v_cmp_ne_u32_e32 vcc, s46, v9
                                        ; implicit-def: $vgpr9
	s_and_saveexec_b64 s[92:93], vcc
	s_xor_b64 s[92:93], exec, s[92:93]
; %bb.351:                              ;   in Loop: Header=BB4_337 Depth=3
	v_bfe_u32 v9, v28, 16, 1
	v_add3_u32 v9, v28, v9, s47
                                        ; implicit-def: $vgpr28
; %bb.352:                              ;   in Loop: Header=BB4_337 Depth=3
	s_andn2_saveexec_b64 s[92:93], s[92:93]
; %bb.353:                              ;   in Loop: Header=BB4_337 Depth=3
	v_or_b32_e32 v9, 0x10000, v28
	v_cmp_eq_u32_sdwa vcc, v28, v2 src0_sel:WORD_0 src1_sel:DWORD
	v_cndmask_b32_e32 v9, v9, v28, vcc
; %bb.354:                              ;   in Loop: Header=BB4_337 Depth=3
	s_or_b64 exec, exec, s[92:93]
	v_lshlrev_b32_e32 v28, 16, v10
	v_mul_f32_e32 v29, v50, v28
	v_and_b32_e32 v28, 0x7f800000, v29
	v_cmp_ne_u32_e32 vcc, s46, v28
                                        ; implicit-def: $vgpr28
	s_and_saveexec_b64 s[92:93], vcc
	s_xor_b64 s[92:93], exec, s[92:93]
; %bb.355:                              ;   in Loop: Header=BB4_337 Depth=3
	v_bfe_u32 v28, v29, 16, 1
	v_add3_u32 v28, v29, v28, s47
                                        ; implicit-def: $vgpr29
; %bb.356:                              ;   in Loop: Header=BB4_337 Depth=3
	s_andn2_saveexec_b64 s[92:93], s[92:93]
; %bb.357:                              ;   in Loop: Header=BB4_337 Depth=3
	v_or_b32_e32 v28, 0x10000, v29
	v_cmp_eq_u32_sdwa vcc, v29, v2 src0_sel:WORD_0 src1_sel:DWORD
	v_cndmask_b32_e32 v28, v28, v29, vcc
; %bb.358:                              ;   in Loop: Header=BB4_337 Depth=3
	s_or_b64 exec, exec, s[92:93]
	v_and_b32_e32 v10, 0xffff0000, v10
	v_mul_f32_e32 v29, v50, v10
	v_and_b32_e32 v10, 0x7f800000, v29
	v_cmp_ne_u32_e32 vcc, s46, v10
                                        ; implicit-def: $vgpr10
	s_and_saveexec_b64 s[92:93], vcc
	s_xor_b64 s[92:93], exec, s[92:93]
; %bb.359:                              ;   in Loop: Header=BB4_337 Depth=3
	v_bfe_u32 v10, v29, 16, 1
	v_add3_u32 v10, v29, v10, s47
                                        ; implicit-def: $vgpr29
; %bb.360:                              ;   in Loop: Header=BB4_337 Depth=3
	s_andn2_saveexec_b64 s[92:93], s[92:93]
; %bb.361:                              ;   in Loop: Header=BB4_337 Depth=3
	v_or_b32_e32 v10, 0x10000, v29
	v_cmp_eq_u32_sdwa vcc, v29, v2 src0_sel:WORD_0 src1_sel:DWORD
	v_cndmask_b32_e32 v10, v10, v29, vcc
; %bb.362:                              ;   in Loop: Header=BB4_337 Depth=3
	s_or_b64 exec, exec, s[92:93]
	v_lshlrev_b32_e32 v29, 16, v11
	v_mul_f32_e32 v34, v50, v29
	v_and_b32_e32 v29, 0x7f800000, v34
	v_cmp_ne_u32_e32 vcc, s46, v29
                                        ; implicit-def: $vgpr29
	s_and_saveexec_b64 s[92:93], vcc
	s_xor_b64 s[92:93], exec, s[92:93]
; %bb.363:                              ;   in Loop: Header=BB4_337 Depth=3
	v_bfe_u32 v29, v34, 16, 1
	v_add3_u32 v29, v34, v29, s47
                                        ; implicit-def: $vgpr34
; %bb.364:                              ;   in Loop: Header=BB4_337 Depth=3
	s_andn2_saveexec_b64 s[92:93], s[92:93]
; %bb.365:                              ;   in Loop: Header=BB4_337 Depth=3
	v_or_b32_e32 v29, 0x10000, v34
	v_cmp_eq_u32_sdwa vcc, v34, v2 src0_sel:WORD_0 src1_sel:DWORD
	v_cndmask_b32_e32 v29, v29, v34, vcc
; %bb.366:                              ;   in Loop: Header=BB4_337 Depth=3
	s_or_b64 exec, exec, s[92:93]
	v_and_b32_e32 v11, 0xffff0000, v11
	v_mul_f32_e32 v34, v50, v11
	v_and_b32_e32 v11, 0x7f800000, v34
	v_cmp_ne_u32_e32 vcc, s46, v11
                                        ; implicit-def: $vgpr11
	s_and_saveexec_b64 s[92:93], vcc
	s_xor_b64 s[92:93], exec, s[92:93]
; %bb.367:                              ;   in Loop: Header=BB4_337 Depth=3
	v_bfe_u32 v11, v34, 16, 1
	v_add3_u32 v11, v34, v11, s47
                                        ; implicit-def: $vgpr34
; %bb.368:                              ;   in Loop: Header=BB4_337 Depth=3
	s_andn2_saveexec_b64 s[92:93], s[92:93]
; %bb.369:                              ;   in Loop: Header=BB4_337 Depth=3
	v_or_b32_e32 v11, 0x10000, v34
	v_cmp_eq_u32_sdwa vcc, v34, v2 src0_sel:WORD_0 src1_sel:DWORD
	v_cndmask_b32_e32 v11, v11, v34, vcc
; %bb.370:                              ;   in Loop: Header=BB4_337 Depth=3
	s_or_b64 exec, exec, s[92:93]
	v_lshrrev_b32_e32 v0, 16, v0
	v_and_or_b32 v8, v8, s44, v0
	v_lshrrev_b32_e32 v0, 16, v28
	v_and_or_b32 v10, v10, s44, v0
	;; [unrolled: 2-line block ×3, first 2 shown]
	buffer_load_dword v0, off, s[0:3], s33 offset:132 ; 4-byte Folded Reload
	v_lshrrev_b32_e32 v27, 16, v27
	v_and_or_b32 v9, v9, s44, v27
	global_store_dwordx4 v[16:17], v[8:11], off glc slc
	s_waitcnt vmcnt(1)
	v_add_co_u32_e32 v16, vcc, v16, v0
	buffer_load_dword v0, off, s[0:3], s33 offset:136 ; 4-byte Folded Reload
	s_waitcnt vmcnt(0)
	v_addc_co_u32_e32 v17, vcc, v17, v0, vcc
.LBB4_371:                              ;   in Loop: Header=BB4_337 Depth=3
	s_or_b64 exec, exec, s[94:95]
	buffer_load_dword v0, off, s[0:3], s33 offset:132 ; 4-byte Folded Reload
	s_waitcnt vmcnt(0)
	v_add_co_u32_e32 v18, vcc, v18, v0
	buffer_load_dword v0, off, s[0:3], s33 offset:136 ; 4-byte Folded Reload
	s_waitcnt vmcnt(0)
	v_addc_co_u32_e32 v19, vcc, v19, v0, vcc
	v_lshlrev_b32_e32 v0, 10, v59
	v_sub_u32_e32 v23, v23, v0
	v_cmp_lt_i32_e64 s[92:93], 15, v23
	s_and_saveexec_b64 s[94:95], s[92:93]
	s_cbranch_execz .LBB4_373
; %bb.372:                              ;   in Loop: Header=BB4_337 Depth=3
	global_load_dwordx4 v[8:11], v[18:19], off glc slc
	v_add_co_u32_e32 v18, vcc, 0x400, v18
	v_addc_co_u32_e32 v19, vcc, 0, v19, vcc
.LBB4_373:                              ;   in Loop: Header=BB4_337 Depth=3
	s_or_b64 exec, exec, s[94:95]
	v_lshlrev_b32_e32 v0, 16, v12
	v_mul_f32_e32 v27, v50, v0
	v_and_b32_e32 v0, 0x7f800000, v27
	v_cmp_ne_u32_e32 vcc, s46, v0
                                        ; implicit-def: $vgpr0
	s_and_saveexec_b64 s[94:95], vcc
	s_xor_b64 s[94:95], exec, s[94:95]
; %bb.374:                              ;   in Loop: Header=BB4_337 Depth=3
	v_bfe_u32 v0, v27, 16, 1
	v_add3_u32 v0, v27, v0, s47
                                        ; implicit-def: $vgpr27
; %bb.375:                              ;   in Loop: Header=BB4_337 Depth=3
	s_andn2_saveexec_b64 s[94:95], s[94:95]
; %bb.376:                              ;   in Loop: Header=BB4_337 Depth=3
	v_or_b32_e32 v0, 0x10000, v27
	v_cmp_eq_u32_sdwa vcc, v27, v2 src0_sel:WORD_0 src1_sel:DWORD
	v_cndmask_b32_e32 v0, v0, v27, vcc
; %bb.377:                              ;   in Loop: Header=BB4_337 Depth=3
	s_or_b64 exec, exec, s[94:95]
	v_and_b32_e32 v12, 0xffff0000, v12
	v_mul_f32_e32 v27, v50, v12
	v_and_b32_e32 v12, 0x7f800000, v27
	v_cmp_ne_u32_e32 vcc, s46, v12
                                        ; implicit-def: $vgpr12
	s_and_saveexec_b64 s[94:95], vcc
	s_xor_b64 s[94:95], exec, s[94:95]
; %bb.378:                              ;   in Loop: Header=BB4_337 Depth=3
	v_bfe_u32 v12, v27, 16, 1
	v_add3_u32 v12, v27, v12, s47
                                        ; implicit-def: $vgpr27
; %bb.379:                              ;   in Loop: Header=BB4_337 Depth=3
	s_andn2_saveexec_b64 s[94:95], s[94:95]
; %bb.380:                              ;   in Loop: Header=BB4_337 Depth=3
	v_or_b32_e32 v12, 0x10000, v27
	v_cmp_eq_u32_sdwa vcc, v27, v2 src0_sel:WORD_0 src1_sel:DWORD
	v_cndmask_b32_e32 v12, v12, v27, vcc
; %bb.381:                              ;   in Loop: Header=BB4_337 Depth=3
	s_or_b64 exec, exec, s[94:95]
	v_lshlrev_b32_e32 v27, 16, v13
	v_mul_f32_e32 v28, v50, v27
	v_and_b32_e32 v27, 0x7f800000, v28
	v_cmp_ne_u32_e32 vcc, s46, v27
                                        ; implicit-def: $vgpr27
	s_and_saveexec_b64 s[94:95], vcc
	s_xor_b64 s[94:95], exec, s[94:95]
; %bb.382:                              ;   in Loop: Header=BB4_337 Depth=3
	v_bfe_u32 v27, v28, 16, 1
	v_add3_u32 v27, v28, v27, s47
                                        ; implicit-def: $vgpr28
; %bb.383:                              ;   in Loop: Header=BB4_337 Depth=3
	s_andn2_saveexec_b64 s[94:95], s[94:95]
; %bb.384:                              ;   in Loop: Header=BB4_337 Depth=3
	v_or_b32_e32 v27, 0x10000, v28
	v_cmp_eq_u32_sdwa vcc, v28, v2 src0_sel:WORD_0 src1_sel:DWORD
	v_cndmask_b32_e32 v27, v27, v28, vcc
; %bb.385:                              ;   in Loop: Header=BB4_337 Depth=3
	s_or_b64 exec, exec, s[94:95]
	v_and_b32_e32 v13, 0xffff0000, v13
	v_mul_f32_e32 v28, v50, v13
	v_and_b32_e32 v13, 0x7f800000, v28
	v_cmp_ne_u32_e32 vcc, s46, v13
                                        ; implicit-def: $vgpr13
	s_and_saveexec_b64 s[94:95], vcc
	s_xor_b64 s[94:95], exec, s[94:95]
; %bb.386:                              ;   in Loop: Header=BB4_337 Depth=3
	v_bfe_u32 v13, v28, 16, 1
	v_add3_u32 v13, v28, v13, s47
                                        ; implicit-def: $vgpr28
; %bb.387:                              ;   in Loop: Header=BB4_337 Depth=3
	s_andn2_saveexec_b64 s[94:95], s[94:95]
; %bb.388:                              ;   in Loop: Header=BB4_337 Depth=3
	v_or_b32_e32 v13, 0x10000, v28
	v_cmp_eq_u32_sdwa vcc, v28, v2 src0_sel:WORD_0 src1_sel:DWORD
	v_cndmask_b32_e32 v13, v13, v28, vcc
; %bb.389:                              ;   in Loop: Header=BB4_337 Depth=3
	s_or_b64 exec, exec, s[94:95]
	v_lshlrev_b32_e32 v28, 16, v14
	v_mul_f32_e32 v29, v50, v28
	v_and_b32_e32 v28, 0x7f800000, v29
	v_cmp_ne_u32_e32 vcc, s46, v28
                                        ; implicit-def: $vgpr28
	s_and_saveexec_b64 s[94:95], vcc
	s_xor_b64 s[94:95], exec, s[94:95]
; %bb.390:                              ;   in Loop: Header=BB4_337 Depth=3
	v_bfe_u32 v28, v29, 16, 1
	v_add3_u32 v28, v29, v28, s47
                                        ; implicit-def: $vgpr29
; %bb.391:                              ;   in Loop: Header=BB4_337 Depth=3
	s_andn2_saveexec_b64 s[94:95], s[94:95]
; %bb.392:                              ;   in Loop: Header=BB4_337 Depth=3
	v_or_b32_e32 v28, 0x10000, v29
	v_cmp_eq_u32_sdwa vcc, v29, v2 src0_sel:WORD_0 src1_sel:DWORD
	v_cndmask_b32_e32 v28, v28, v29, vcc
; %bb.393:                              ;   in Loop: Header=BB4_337 Depth=3
	s_or_b64 exec, exec, s[94:95]
	v_and_b32_e32 v14, 0xffff0000, v14
	v_mul_f32_e32 v29, v50, v14
	v_and_b32_e32 v14, 0x7f800000, v29
	v_cmp_ne_u32_e32 vcc, s46, v14
                                        ; implicit-def: $vgpr14
	s_and_saveexec_b64 s[94:95], vcc
	s_xor_b64 s[94:95], exec, s[94:95]
; %bb.394:                              ;   in Loop: Header=BB4_337 Depth=3
	v_bfe_u32 v14, v29, 16, 1
	v_add3_u32 v14, v29, v14, s47
                                        ; implicit-def: $vgpr29
; %bb.395:                              ;   in Loop: Header=BB4_337 Depth=3
	s_andn2_saveexec_b64 s[94:95], s[94:95]
; %bb.396:                              ;   in Loop: Header=BB4_337 Depth=3
	v_or_b32_e32 v14, 0x10000, v29
	v_cmp_eq_u32_sdwa vcc, v29, v2 src0_sel:WORD_0 src1_sel:DWORD
	v_cndmask_b32_e32 v14, v14, v29, vcc
; %bb.397:                              ;   in Loop: Header=BB4_337 Depth=3
	s_or_b64 exec, exec, s[94:95]
	v_lshlrev_b32_e32 v29, 16, v15
	v_mul_f32_e32 v34, v50, v29
	v_and_b32_e32 v29, 0x7f800000, v34
	v_cmp_ne_u32_e32 vcc, s46, v29
                                        ; implicit-def: $vgpr29
	s_and_saveexec_b64 s[94:95], vcc
	s_xor_b64 s[94:95], exec, s[94:95]
; %bb.398:                              ;   in Loop: Header=BB4_337 Depth=3
	v_bfe_u32 v29, v34, 16, 1
	v_add3_u32 v29, v34, v29, s47
                                        ; implicit-def: $vgpr34
; %bb.399:                              ;   in Loop: Header=BB4_337 Depth=3
	s_andn2_saveexec_b64 s[94:95], s[94:95]
; %bb.400:                              ;   in Loop: Header=BB4_337 Depth=3
	v_or_b32_e32 v29, 0x10000, v34
	v_cmp_eq_u32_sdwa vcc, v34, v2 src0_sel:WORD_0 src1_sel:DWORD
	v_cndmask_b32_e32 v29, v29, v34, vcc
; %bb.401:                              ;   in Loop: Header=BB4_337 Depth=3
	s_or_b64 exec, exec, s[94:95]
	v_and_b32_e32 v15, 0xffff0000, v15
	v_mul_f32_e32 v34, v50, v15
	v_and_b32_e32 v15, 0x7f800000, v34
	v_cmp_ne_u32_e32 vcc, s46, v15
                                        ; implicit-def: $vgpr15
	s_and_saveexec_b64 s[94:95], vcc
	s_xor_b64 s[94:95], exec, s[94:95]
; %bb.402:                              ;   in Loop: Header=BB4_337 Depth=3
	v_bfe_u32 v15, v34, 16, 1
	v_add3_u32 v15, v34, v15, s47
                                        ; implicit-def: $vgpr34
; %bb.403:                              ;   in Loop: Header=BB4_337 Depth=3
	s_andn2_saveexec_b64 s[94:95], s[94:95]
; %bb.404:                              ;   in Loop: Header=BB4_337 Depth=3
	v_or_b32_e32 v15, 0x10000, v34
	v_cmp_eq_u32_sdwa vcc, v34, v2 src0_sel:WORD_0 src1_sel:DWORD
	v_cndmask_b32_e32 v15, v15, v34, vcc
; %bb.405:                              ;   in Loop: Header=BB4_337 Depth=3
	s_or_b64 exec, exec, s[94:95]
	v_lshrrev_b32_e32 v0, 16, v0
	v_and_or_b32 v12, v12, s44, v0
	v_lshrrev_b32_e32 v0, 16, v28
	v_lshrrev_b32_e32 v27, 16, v27
	v_and_or_b32 v14, v14, s44, v0
	v_lshrrev_b32_e32 v0, 16, v29
	v_and_or_b32 v13, v13, s44, v27
	v_and_or_b32 v15, v15, s44, v0
	global_store_dwordx4 v[16:17], v[12:15], off glc slc
	v_add_co_u32_e32 v16, vcc, 0x400, v16
	v_sub_u32_e32 v21, v21, v59
	v_addc_co_u32_e32 v17, vcc, 0, v17, vcc
	s_and_saveexec_b64 s[94:95], s[92:93]
	s_cbranch_execz .LBB4_336
; %bb.406:                              ;   in Loop: Header=BB4_337 Depth=3
	v_lshlrev_b32_e32 v0, 10, v59
	v_sub_u32_e32 v23, v23, v0
	buffer_load_dword v0, off, s[0:3], s33 offset:128 ; 4-byte Folded Reload
	v_sub_u32_e32 v21, v21, v59
	s_waitcnt vmcnt(0)
	v_add_co_u32_e32 v18, vcc, v18, v0
	v_addc_co_u32_e32 v19, vcc, v19, v49, vcc
	v_add_co_u32_e32 v16, vcc, v16, v0
	v_addc_co_u32_e32 v17, vcc, v17, v49, vcc
	s_branch .LBB4_336
.LBB4_407:                              ;   in Loop: Header=BB4_57 Depth=2
	s_or_b64 exec, exec, s[88:89]
	s_and_b64 s[88:89], s[90:91], exec
.LBB4_408:                              ;   in Loop: Header=BB4_57 Depth=2
	s_or_b64 exec, exec, s[78:79]
	s_and_saveexec_b64 s[78:79], s[88:89]
	s_cbranch_execz .LBB4_442
; %bb.409:                              ;   in Loop: Header=BB4_57 Depth=2
	s_trap 2
	ds_read_b32 v0, v0
	s_waitcnt lgkmcnt(0)
	v_lshlrev_b32_e32 v12, 16, v0
	s_waitcnt vmcnt(1)
	v_lshlrev_b32_e32 v0, 16, v8
	v_mul_f32_e32 v13, v0, v12
	v_and_b32_e32 v0, 0x7f800000, v13
	v_cmp_ne_u32_e32 vcc, s46, v0
                                        ; implicit-def: $vgpr0
	s_and_saveexec_b64 s[88:89], vcc
	s_xor_b64 s[88:89], exec, s[88:89]
; %bb.410:                              ;   in Loop: Header=BB4_57 Depth=2
	v_bfe_u32 v0, v13, 16, 1
	v_add3_u32 v0, v13, v0, s47
                                        ; implicit-def: $vgpr13
; %bb.411:                              ;   in Loop: Header=BB4_57 Depth=2
	s_andn2_saveexec_b64 s[88:89], s[88:89]
; %bb.412:                              ;   in Loop: Header=BB4_57 Depth=2
	v_or_b32_e32 v0, 0x10000, v13
	v_cmp_eq_u32_sdwa vcc, v13, v2 src0_sel:WORD_0 src1_sel:DWORD
	v_cndmask_b32_e32 v0, v0, v13, vcc
; %bb.413:                              ;   in Loop: Header=BB4_57 Depth=2
	s_or_b64 exec, exec, s[88:89]
	v_and_b32_e32 v8, 0xffff0000, v8
	v_mul_f32_e32 v13, v8, v12
	v_and_b32_e32 v8, 0x7f800000, v13
	v_cmp_ne_u32_e32 vcc, s46, v8
                                        ; implicit-def: $vgpr8
	s_and_saveexec_b64 s[88:89], vcc
	s_xor_b64 s[88:89], exec, s[88:89]
; %bb.414:                              ;   in Loop: Header=BB4_57 Depth=2
	v_bfe_u32 v8, v13, 16, 1
	v_add3_u32 v8, v13, v8, s47
                                        ; implicit-def: $vgpr13
; %bb.415:                              ;   in Loop: Header=BB4_57 Depth=2
	s_andn2_saveexec_b64 s[88:89], s[88:89]
; %bb.416:                              ;   in Loop: Header=BB4_57 Depth=2
	v_or_b32_e32 v8, 0x10000, v13
	v_cmp_eq_u32_sdwa vcc, v13, v2 src0_sel:WORD_0 src1_sel:DWORD
	v_cndmask_b32_e32 v8, v8, v13, vcc
; %bb.417:                              ;   in Loop: Header=BB4_57 Depth=2
	s_or_b64 exec, exec, s[88:89]
	v_lshlrev_b32_e32 v13, 16, v9
	v_mul_f32_e32 v14, v13, v12
	v_and_b32_e32 v13, 0x7f800000, v14
	v_cmp_ne_u32_e32 vcc, s46, v13
                                        ; implicit-def: $vgpr13
	s_and_saveexec_b64 s[88:89], vcc
	s_xor_b64 s[88:89], exec, s[88:89]
; %bb.418:                              ;   in Loop: Header=BB4_57 Depth=2
	v_bfe_u32 v13, v14, 16, 1
	v_add3_u32 v13, v14, v13, s47
                                        ; implicit-def: $vgpr14
; %bb.419:                              ;   in Loop: Header=BB4_57 Depth=2
	s_andn2_saveexec_b64 s[88:89], s[88:89]
; %bb.420:                              ;   in Loop: Header=BB4_57 Depth=2
	v_or_b32_e32 v13, 0x10000, v14
	v_cmp_eq_u32_sdwa vcc, v14, v2 src0_sel:WORD_0 src1_sel:DWORD
	v_cndmask_b32_e32 v13, v13, v14, vcc
; %bb.421:                              ;   in Loop: Header=BB4_57 Depth=2
	s_or_b64 exec, exec, s[88:89]
	v_and_b32_e32 v9, 0xffff0000, v9
	v_mul_f32_e32 v14, v9, v12
	v_and_b32_e32 v9, 0x7f800000, v14
	v_cmp_ne_u32_e32 vcc, s46, v9
                                        ; implicit-def: $vgpr9
	s_and_saveexec_b64 s[88:89], vcc
	s_xor_b64 s[88:89], exec, s[88:89]
; %bb.422:                              ;   in Loop: Header=BB4_57 Depth=2
	v_bfe_u32 v9, v14, 16, 1
	v_add3_u32 v9, v14, v9, s47
                                        ; implicit-def: $vgpr14
; %bb.423:                              ;   in Loop: Header=BB4_57 Depth=2
	s_andn2_saveexec_b64 s[88:89], s[88:89]
; %bb.424:                              ;   in Loop: Header=BB4_57 Depth=2
	v_or_b32_e32 v9, 0x10000, v14
	v_cmp_eq_u32_sdwa vcc, v14, v2 src0_sel:WORD_0 src1_sel:DWORD
	v_cndmask_b32_e32 v9, v9, v14, vcc
; %bb.425:                              ;   in Loop: Header=BB4_57 Depth=2
	s_or_b64 exec, exec, s[88:89]
	v_lshlrev_b32_e32 v14, 16, v10
	v_mul_f32_e32 v15, v14, v12
	v_and_b32_e32 v14, 0x7f800000, v15
	v_cmp_ne_u32_e32 vcc, s46, v14
                                        ; implicit-def: $vgpr14
	s_and_saveexec_b64 s[88:89], vcc
	s_xor_b64 s[88:89], exec, s[88:89]
; %bb.426:                              ;   in Loop: Header=BB4_57 Depth=2
	v_bfe_u32 v14, v15, 16, 1
	v_add3_u32 v14, v15, v14, s47
                                        ; implicit-def: $vgpr15
; %bb.427:                              ;   in Loop: Header=BB4_57 Depth=2
	s_andn2_saveexec_b64 s[88:89], s[88:89]
; %bb.428:                              ;   in Loop: Header=BB4_57 Depth=2
	v_or_b32_e32 v14, 0x10000, v15
	v_cmp_eq_u32_sdwa vcc, v15, v2 src0_sel:WORD_0 src1_sel:DWORD
	v_cndmask_b32_e32 v14, v14, v15, vcc
; %bb.429:                              ;   in Loop: Header=BB4_57 Depth=2
	s_or_b64 exec, exec, s[88:89]
	v_and_b32_e32 v10, 0xffff0000, v10
	v_mul_f32_e32 v15, v10, v12
	v_and_b32_e32 v10, 0x7f800000, v15
	v_cmp_ne_u32_e32 vcc, s46, v10
                                        ; implicit-def: $vgpr10
	s_and_saveexec_b64 s[88:89], vcc
	s_xor_b64 s[88:89], exec, s[88:89]
; %bb.430:                              ;   in Loop: Header=BB4_57 Depth=2
	v_bfe_u32 v10, v15, 16, 1
	v_add3_u32 v10, v15, v10, s47
                                        ; implicit-def: $vgpr15
; %bb.431:                              ;   in Loop: Header=BB4_57 Depth=2
	s_andn2_saveexec_b64 s[88:89], s[88:89]
; %bb.432:                              ;   in Loop: Header=BB4_57 Depth=2
	v_or_b32_e32 v10, 0x10000, v15
	v_cmp_eq_u32_sdwa vcc, v15, v2 src0_sel:WORD_0 src1_sel:DWORD
	v_cndmask_b32_e32 v10, v10, v15, vcc
; %bb.433:                              ;   in Loop: Header=BB4_57 Depth=2
	s_or_b64 exec, exec, s[88:89]
	v_lshlrev_b32_e32 v15, 16, v11
	v_mul_f32_e32 v18, v15, v12
	v_and_b32_e32 v15, 0x7f800000, v18
	v_cmp_ne_u32_e32 vcc, s46, v15
                                        ; implicit-def: $vgpr15
	s_and_saveexec_b64 s[88:89], vcc
	s_xor_b64 s[88:89], exec, s[88:89]
; %bb.434:                              ;   in Loop: Header=BB4_57 Depth=2
	v_bfe_u32 v15, v18, 16, 1
	v_add3_u32 v15, v18, v15, s47
                                        ; implicit-def: $vgpr18
; %bb.435:                              ;   in Loop: Header=BB4_57 Depth=2
	s_andn2_saveexec_b64 s[88:89], s[88:89]
; %bb.436:                              ;   in Loop: Header=BB4_57 Depth=2
	v_or_b32_e32 v15, 0x10000, v18
	v_cmp_eq_u32_sdwa vcc, v18, v2 src0_sel:WORD_0 src1_sel:DWORD
	v_cndmask_b32_e32 v15, v15, v18, vcc
; %bb.437:                              ;   in Loop: Header=BB4_57 Depth=2
	s_or_b64 exec, exec, s[88:89]
	v_and_b32_e32 v11, 0xffff0000, v11
	v_mul_f32_e32 v12, v11, v12
	v_and_b32_e32 v11, 0x7f800000, v12
	v_cmp_ne_u32_e32 vcc, s46, v11
                                        ; implicit-def: $vgpr11
	s_and_saveexec_b64 s[88:89], vcc
	s_xor_b64 s[88:89], exec, s[88:89]
; %bb.438:                              ;   in Loop: Header=BB4_57 Depth=2
	v_bfe_u32 v11, v12, 16, 1
	v_add3_u32 v11, v12, v11, s47
                                        ; implicit-def: $vgpr12
; %bb.439:                              ;   in Loop: Header=BB4_57 Depth=2
	s_andn2_saveexec_b64 s[88:89], s[88:89]
; %bb.440:                              ;   in Loop: Header=BB4_57 Depth=2
	v_or_b32_e32 v11, 0x10000, v12
	v_cmp_eq_u32_sdwa vcc, v12, v2 src0_sel:WORD_0 src1_sel:DWORD
	v_cndmask_b32_e32 v11, v11, v12, vcc
; %bb.441:                              ;   in Loop: Header=BB4_57 Depth=2
	s_or_b64 exec, exec, s[88:89]
	v_lshrrev_b32_e32 v0, 16, v0
	v_and_or_b32 v8, v8, s44, v0
	v_lshrrev_b32_e32 v0, 16, v14
	v_lshrrev_b32_e32 v12, 16, v13
	v_and_or_b32 v10, v10, s44, v0
	v_lshrrev_b32_e32 v0, 16, v15
	v_and_or_b32 v9, v9, s44, v12
	v_and_or_b32 v11, v11, s44, v0
	global_store_dwordx4 v[16:17], v[8:11], off glc slc
.LBB4_442:                              ;   in Loop: Header=BB4_57 Depth=2
	s_or_b64 exec, exec, s[78:79]
	s_waitcnt vmcnt(1)
	v_and_b32_e32 v8, 14, v53
	v_cndmask_b32_e64 v53, v22, v8, s[26:27]
	v_cmp_ne_u32_e32 vcc, 0, v53
	s_mov_b64 s[88:89], s[74:75]
                                        ; implicit-def: $vgpr10
                                        ; implicit-def: $vgpr0
                                        ; implicit-def: $vgpr11
	s_and_saveexec_b64 s[78:79], vcc
	s_cbranch_execz .LBB4_444
; %bb.443:                              ;   in Loop: Header=BB4_57 Depth=2
	v_sub_u32_e32 v0, v22, v8
	v_cndmask_b32_e64 v0, 0, v0, s[26:27]
	v_cmp_lt_i32_e32 vcc, 0, v21
	v_add3_u32 v10, v20, v3, v0
	v_cndmask_b32_e32 v0, 0, v59, vcc
	v_sub_u32_e32 v0, v0, v21
	v_lshl_add_u32 v0, v0, 6, v4
	v_ashrrev_i32_e32 v3, 31, v0
	v_lshrrev_b32_e32 v3, 26, v3
	v_add_u32_e32 v3, v0, v3
	v_and_b32_e32 v3, 0xffffffc0, v3
	v_sub_u32_e32 v11, v0, v3
	s_or_b64 s[88:89], s[74:75], exec
.LBB4_444:                              ;   in Loop: Header=BB4_57 Depth=2
	s_or_b64 exec, exec, s[78:79]
	s_andn2_b64 s[26:27], s[74:75], exec
	s_and_b64 s[74:75], s[88:89], exec
	s_or_b64 s[74:75], s[26:27], s[74:75]
.LBB4_445:                              ;   in Loop: Header=BB4_57 Depth=2
	s_or_b64 exec, exec, s[76:77]
	buffer_load_dword v28, off, s[0:3], s33 offset:244 ; 4-byte Folded Reload
	buffer_load_dword v29, off, s[0:3], s33 offset:248 ; 4-byte Folded Reload
	s_and_saveexec_b64 s[26:27], s[74:75]
	s_cbranch_execz .LBB4_526
.LBB4_446:                              ;   in Loop: Header=BB4_57 Depth=2
	s_waitcnt vmcnt(0)
	v_ashrrev_i32_e32 v3, 31, v0
	v_lshrrev_b32_e32 v3, 26, v3
	v_add_u32_e32 v0, v0, v3
	v_ashrrev_i32_e32 v0, 6, v0
	v_lshlrev_b32_e32 v3, 9, v0
	s_waitcnt vmcnt(0)
	v_lshlrev_b32_e32 v4, 1, v11
	v_add3_u32 v14, v10, v4, v3
	v_ashrrev_i32_e32 v3, 31, v53
	v_lshrrev_b32_e32 v3, 23, v3
	v_add_u32_e32 v3, v53, v3
	v_ashrrev_i32_e32 v12, 9, v3
	v_ashrrev_i32_e32 v15, 31, v14
	v_add_co_u32_e32 v3, vcc, v24, v14
	v_sub_u32_e32 v0, v12, v0
	v_addc_co_u32_e32 v4, vcc, v25, v15, vcc
	v_cmp_lt_i32_e32 vcc, 0, v0
	v_mov_b32_e32 v9, 0
	s_mov_b64 s[76:77], 0
	v_mov_b32_e32 v16, 0
	v_mov_b32_e32 v13, 0
	;; [unrolled: 1-line block ×3, first 2 shown]
	s_and_saveexec_b64 s[74:75], vcc
	s_cbranch_execz .LBB4_486
; %bb.447:                              ;   in Loop: Header=BB4_57 Depth=2
	s_trap 2
	ds_read_b32 v13, v0
	v_add_co_u32_e32 v8, vcc, v14, v30
	v_addc_co_u32_e32 v9, vcc, v15, v31, vcc
	s_waitcnt lgkmcnt(0)
	v_lshlrev_b32_e32 v13, 16, v13
	s_mov_b64 s[88:89], 0
	s_mov_b64 s[78:79], 0
                                        ; implicit-def: $sgpr76_sgpr77
                                        ; implicit-def: $vgpr19
                                        ; implicit-def: $vgpr17
                                        ; implicit-def: $vgpr15
                                        ; implicit-def: $vgpr14
	s_branch .LBB4_449
.LBB4_448:                              ;   in Loop: Header=BB4_449 Depth=3
	s_or_b64 exec, exec, s[90:91]
	flat_store_short_d16_hi v[3:4], v21 glc slc
	flat_store_short_d16_hi v[3:4], v20 offset:128 glc slc
	flat_store_short_d16_hi v[3:4], v18 offset:256 glc slc
	;; [unrolled: 1-line block ×3, first 2 shown]
	v_cndmask_b32_e64 v18, 0, v54, s[88:89]
	v_cndmask_b32_e64 v16, 0, v55, s[88:89]
	v_add_co_u32_e32 v8, vcc, v8, v18
	v_mov_b32_e32 v18, 0x200
	v_addc_co_u32_e32 v9, vcc, v9, v16, vcc
	v_cndmask_b32_e64 v18, v18, v1, s[88:89]
	v_cndmask_b32_e64 v16, 0, v42, s[88:89]
	v_add_co_u32_e32 v3, vcc, v3, v18
	v_addc_co_u32_e32 v4, vcc, v4, v16, vcc
	v_cndmask_b32_e64 v16, 0, v59, s[88:89]
	v_sub_u32_e32 v0, v0, v16
	v_cmp_gt_i32_e32 vcc, 1, v0
	s_or_b64 s[78:79], vcc, s[78:79]
	s_andn2_b64 s[76:77], s[76:77], exec
	s_and_b64 s[90:91], s[88:89], exec
	s_or_b64 s[76:77], s[76:77], s[90:91]
	s_andn2_b64 exec, exec, s[78:79]
	s_cbranch_execz .LBB4_485
.LBB4_449:                              ;   Parent Loop BB4_47 Depth=1
                                        ;     Parent Loop BB4_57 Depth=2
                                        ; =>    This Inner Loop Header: Depth=3
	flat_load_ushort v21, v[8:9] glc slc
	flat_load_ushort v20, v[8:9] offset:128 glc slc
	flat_load_ushort v18, v[8:9] offset:256 glc slc
	;; [unrolled: 1-line block ×3, first 2 shown]
	s_and_saveexec_b64 s[90:91], s[88:89]
	s_cbranch_execz .LBB4_467
; %bb.450:                              ;   in Loop: Header=BB4_449 Depth=3
	v_lshlrev_b32_e32 v19, 16, v19
	v_mul_f32_e32 v22, v13, v19
	v_and_b32_e32 v19, 0x7f800000, v22
	v_cmp_ne_u32_e32 vcc, s46, v19
                                        ; implicit-def: $vgpr19
	s_and_saveexec_b64 s[88:89], vcc
	s_xor_b64 s[88:89], exec, s[88:89]
; %bb.451:                              ;   in Loop: Header=BB4_449 Depth=3
	v_bfe_u32 v19, v22, 16, 1
	v_add3_u32 v19, v22, v19, s47
                                        ; implicit-def: $vgpr22
; %bb.452:                              ;   in Loop: Header=BB4_449 Depth=3
	s_andn2_saveexec_b64 s[88:89], s[88:89]
; %bb.453:                              ;   in Loop: Header=BB4_449 Depth=3
	v_or_b32_e32 v19, 0x10000, v22
	v_cmp_eq_u32_sdwa vcc, v22, v2 src0_sel:WORD_0 src1_sel:DWORD
	v_cndmask_b32_e32 v19, v19, v22, vcc
; %bb.454:                              ;   in Loop: Header=BB4_449 Depth=3
	s_or_b64 exec, exec, s[88:89]
	v_lshlrev_b32_e32 v17, 16, v17
	v_mul_f32_e32 v22, v13, v17
	v_and_b32_e32 v17, 0x7f800000, v22
	v_cmp_ne_u32_e32 vcc, s46, v17
                                        ; implicit-def: $vgpr17
	s_and_saveexec_b64 s[88:89], vcc
	s_xor_b64 s[88:89], exec, s[88:89]
; %bb.455:                              ;   in Loop: Header=BB4_449 Depth=3
	v_bfe_u32 v17, v22, 16, 1
	v_add3_u32 v17, v22, v17, s47
                                        ; implicit-def: $vgpr22
; %bb.456:                              ;   in Loop: Header=BB4_449 Depth=3
	s_andn2_saveexec_b64 s[88:89], s[88:89]
; %bb.457:                              ;   in Loop: Header=BB4_449 Depth=3
	v_or_b32_e32 v17, 0x10000, v22
	v_cmp_eq_u32_sdwa vcc, v22, v2 src0_sel:WORD_0 src1_sel:DWORD
	v_cndmask_b32_e32 v17, v17, v22, vcc
; %bb.458:                              ;   in Loop: Header=BB4_449 Depth=3
	s_or_b64 exec, exec, s[88:89]
	v_lshlrev_b32_e32 v15, 16, v15
	v_mul_f32_e32 v22, v13, v15
	v_and_b32_e32 v15, 0x7f800000, v22
	v_cmp_ne_u32_e32 vcc, s46, v15
                                        ; implicit-def: $vgpr15
	s_and_saveexec_b64 s[88:89], vcc
	s_xor_b64 s[88:89], exec, s[88:89]
; %bb.459:                              ;   in Loop: Header=BB4_449 Depth=3
	v_bfe_u32 v15, v22, 16, 1
	v_add3_u32 v15, v22, v15, s47
                                        ; implicit-def: $vgpr22
; %bb.460:                              ;   in Loop: Header=BB4_449 Depth=3
	s_andn2_saveexec_b64 s[88:89], s[88:89]
; %bb.461:                              ;   in Loop: Header=BB4_449 Depth=3
	v_or_b32_e32 v15, 0x10000, v22
	v_cmp_eq_u32_sdwa vcc, v22, v2 src0_sel:WORD_0 src1_sel:DWORD
	v_cndmask_b32_e32 v15, v15, v22, vcc
; %bb.462:                              ;   in Loop: Header=BB4_449 Depth=3
	s_or_b64 exec, exec, s[88:89]
	v_lshlrev_b32_e32 v14, 16, v14
	v_mul_f32_e32 v22, v13, v14
	v_and_b32_e32 v14, 0x7f800000, v22
	v_cmp_ne_u32_e32 vcc, s46, v14
                                        ; implicit-def: $vgpr14
	s_and_saveexec_b64 s[88:89], vcc
	s_xor_b64 s[88:89], exec, s[88:89]
; %bb.463:                              ;   in Loop: Header=BB4_449 Depth=3
	v_bfe_u32 v14, v22, 16, 1
	v_add3_u32 v14, v22, v14, s47
                                        ; implicit-def: $vgpr22
; %bb.464:                              ;   in Loop: Header=BB4_449 Depth=3
	s_andn2_saveexec_b64 s[88:89], s[88:89]
; %bb.465:                              ;   in Loop: Header=BB4_449 Depth=3
	v_or_b32_e32 v14, 0x10000, v22
	v_cmp_eq_u32_sdwa vcc, v22, v2 src0_sel:WORD_0 src1_sel:DWORD
	v_cndmask_b32_e32 v14, v14, v22, vcc
; %bb.466:                              ;   in Loop: Header=BB4_449 Depth=3
	s_or_b64 exec, exec, s[88:89]
	v_lshrrev_b32_e32 v19, 16, v19
	v_lshrrev_b32_e32 v15, 16, v15
	;; [unrolled: 1-line block ×4, first 2 shown]
	flat_store_short v[3:4], v19 glc slc
	flat_store_short v[3:4], v17 offset:128 glc slc
	flat_store_short v[3:4], v15 offset:256 glc slc
	;; [unrolled: 1-line block ×3, first 2 shown]
	v_add_co_u32_e32 v3, vcc, v3, v1
	v_addc_co_u32_e32 v4, vcc, v4, v42, vcc
.LBB4_467:                              ;   in Loop: Header=BB4_449 Depth=3
	s_or_b64 exec, exec, s[90:91]
	v_add_co_u32_e32 v8, vcc, v8, v1
	v_sub_u32_e32 v0, v0, v59
	v_addc_co_u32_e32 v9, vcc, v9, v42, vcc
	v_cmp_lt_i32_e64 s[88:89], 0, v0
	s_and_saveexec_b64 s[90:91], s[88:89]
	s_cbranch_execz .LBB4_469
; %bb.468:                              ;   in Loop: Header=BB4_449 Depth=3
	flat_load_ushort v19, v[8:9] glc slc
	flat_load_ushort v17, v[8:9] offset:128 glc slc
	flat_load_ushort v15, v[8:9] offset:256 glc slc
	flat_load_ushort v14, v[8:9] offset:384 glc slc
	v_add_co_u32_e32 v8, vcc, 0x200, v8
	v_addc_co_u32_e32 v9, vcc, 0, v9, vcc
.LBB4_469:                              ;   in Loop: Header=BB4_449 Depth=3
	s_or_b64 exec, exec, s[90:91]
	s_waitcnt vmcnt(0) lgkmcnt(0)
	v_lshlrev_b32_e32 v21, 16, v21
	v_mul_f32_e32 v22, v13, v21
	v_and_b32_e32 v21, 0x7f800000, v22
	v_cmp_ne_u32_e32 vcc, s46, v21
                                        ; implicit-def: $vgpr21
	s_and_saveexec_b64 s[90:91], vcc
	s_xor_b64 s[90:91], exec, s[90:91]
; %bb.470:                              ;   in Loop: Header=BB4_449 Depth=3
	v_bfe_u32 v21, v22, 16, 1
	v_add3_u32 v21, v22, v21, s47
                                        ; implicit-def: $vgpr22
; %bb.471:                              ;   in Loop: Header=BB4_449 Depth=3
	s_andn2_saveexec_b64 s[90:91], s[90:91]
; %bb.472:                              ;   in Loop: Header=BB4_449 Depth=3
	v_or_b32_e32 v21, 0x10000, v22
	v_cmp_eq_u32_sdwa vcc, v22, v2 src0_sel:WORD_0 src1_sel:DWORD
	v_cndmask_b32_e32 v21, v21, v22, vcc
; %bb.473:                              ;   in Loop: Header=BB4_449 Depth=3
	s_or_b64 exec, exec, s[90:91]
	v_lshlrev_b32_e32 v20, 16, v20
	v_mul_f32_e32 v22, v13, v20
	v_and_b32_e32 v20, 0x7f800000, v22
	v_cmp_ne_u32_e32 vcc, s46, v20
                                        ; implicit-def: $vgpr20
	s_and_saveexec_b64 s[90:91], vcc
	s_xor_b64 s[90:91], exec, s[90:91]
; %bb.474:                              ;   in Loop: Header=BB4_449 Depth=3
	v_bfe_u32 v20, v22, 16, 1
	v_add3_u32 v20, v22, v20, s47
                                        ; implicit-def: $vgpr22
; %bb.475:                              ;   in Loop: Header=BB4_449 Depth=3
	s_andn2_saveexec_b64 s[90:91], s[90:91]
; %bb.476:                              ;   in Loop: Header=BB4_449 Depth=3
	v_or_b32_e32 v20, 0x10000, v22
	v_cmp_eq_u32_sdwa vcc, v22, v2 src0_sel:WORD_0 src1_sel:DWORD
	v_cndmask_b32_e32 v20, v20, v22, vcc
; %bb.477:                              ;   in Loop: Header=BB4_449 Depth=3
	s_or_b64 exec, exec, s[90:91]
	v_lshlrev_b32_e32 v18, 16, v18
	v_mul_f32_e32 v22, v13, v18
	v_and_b32_e32 v18, 0x7f800000, v22
	v_cmp_ne_u32_e32 vcc, s46, v18
                                        ; implicit-def: $vgpr18
	s_and_saveexec_b64 s[90:91], vcc
	s_xor_b64 s[90:91], exec, s[90:91]
; %bb.478:                              ;   in Loop: Header=BB4_449 Depth=3
	v_bfe_u32 v18, v22, 16, 1
	v_add3_u32 v18, v22, v18, s47
                                        ; implicit-def: $vgpr22
; %bb.479:                              ;   in Loop: Header=BB4_449 Depth=3
	s_andn2_saveexec_b64 s[90:91], s[90:91]
; %bb.480:                              ;   in Loop: Header=BB4_449 Depth=3
	v_or_b32_e32 v18, 0x10000, v22
	v_cmp_eq_u32_sdwa vcc, v22, v2 src0_sel:WORD_0 src1_sel:DWORD
	v_cndmask_b32_e32 v18, v18, v22, vcc
; %bb.481:                              ;   in Loop: Header=BB4_449 Depth=3
	s_or_b64 exec, exec, s[90:91]
	v_lshlrev_b32_e32 v16, 16, v16
	v_mul_f32_e32 v22, v13, v16
	v_and_b32_e32 v16, 0x7f800000, v22
	v_cmp_ne_u32_e32 vcc, s46, v16
                                        ; implicit-def: $vgpr16
	s_and_saveexec_b64 s[90:91], vcc
	s_xor_b64 s[90:91], exec, s[90:91]
; %bb.482:                              ;   in Loop: Header=BB4_449 Depth=3
	v_bfe_u32 v16, v22, 16, 1
	v_add3_u32 v16, v22, v16, s47
                                        ; implicit-def: $vgpr22
; %bb.483:                              ;   in Loop: Header=BB4_449 Depth=3
	s_andn2_saveexec_b64 s[90:91], s[90:91]
	s_cbranch_execz .LBB4_448
; %bb.484:                              ;   in Loop: Header=BB4_449 Depth=3
	v_or_b32_e32 v16, 0x10000, v22
	v_cmp_eq_u32_sdwa vcc, v22, v2 src0_sel:WORD_0 src1_sel:DWORD
	v_cndmask_b32_e32 v16, v16, v22, vcc
	s_branch .LBB4_448
.LBB4_485:                              ;   in Loop: Header=BB4_57 Depth=2
	s_or_b64 exec, exec, s[78:79]
	v_lshlrev_b32_e32 v9, 16, v19
	v_lshlrev_b32_e32 v16, 16, v17
	;; [unrolled: 1-line block ×4, first 2 shown]
	s_and_b64 s[76:77], s[76:77], exec
.LBB4_486:                              ;   in Loop: Header=BB4_57 Depth=2
	s_or_b64 exec, exec, s[74:75]
	s_and_saveexec_b64 s[74:75], s[76:77]
	s_cbranch_execz .LBB4_504
; %bb.487:                              ;   in Loop: Header=BB4_57 Depth=2
	s_trap 2
	ds_read_b32 v14, v0
	s_waitcnt lgkmcnt(0)
	v_lshlrev_b32_e32 v14, 16, v14
	v_mul_f32_e32 v15, v9, v14
	v_and_b32_e32 v9, 0x7f800000, v15
	v_cmp_ne_u32_e32 vcc, s46, v9
                                        ; implicit-def: $vgpr9
	s_and_saveexec_b64 s[76:77], vcc
	s_xor_b64 s[76:77], exec, s[76:77]
; %bb.488:                              ;   in Loop: Header=BB4_57 Depth=2
	v_bfe_u32 v9, v15, 16, 1
	v_add3_u32 v9, v15, v9, s47
                                        ; implicit-def: $vgpr15
; %bb.489:                              ;   in Loop: Header=BB4_57 Depth=2
	s_andn2_saveexec_b64 s[76:77], s[76:77]
; %bb.490:                              ;   in Loop: Header=BB4_57 Depth=2
	v_or_b32_e32 v9, 0x10000, v15
	v_cmp_eq_u32_sdwa vcc, v15, v2 src0_sel:WORD_0 src1_sel:DWORD
	v_cndmask_b32_e32 v9, v9, v15, vcc
; %bb.491:                              ;   in Loop: Header=BB4_57 Depth=2
	s_or_b64 exec, exec, s[76:77]
	v_mul_f32_e32 v16, v16, v14
	v_and_b32_e32 v15, 0x7f800000, v16
	v_cmp_ne_u32_e32 vcc, s46, v15
                                        ; implicit-def: $vgpr15
	s_and_saveexec_b64 s[76:77], vcc
	s_xor_b64 s[76:77], exec, s[76:77]
; %bb.492:                              ;   in Loop: Header=BB4_57 Depth=2
	v_bfe_u32 v15, v16, 16, 1
	v_add3_u32 v15, v16, v15, s47
                                        ; implicit-def: $vgpr16
; %bb.493:                              ;   in Loop: Header=BB4_57 Depth=2
	s_andn2_saveexec_b64 s[76:77], s[76:77]
; %bb.494:                              ;   in Loop: Header=BB4_57 Depth=2
	v_or_b32_e32 v15, 0x10000, v16
	v_cmp_eq_u32_sdwa vcc, v16, v2 src0_sel:WORD_0 src1_sel:DWORD
	v_cndmask_b32_e32 v15, v15, v16, vcc
; %bb.495:                              ;   in Loop: Header=BB4_57 Depth=2
	s_or_b64 exec, exec, s[76:77]
	v_mul_f32_e32 v16, v13, v14
	v_and_b32_e32 v13, 0x7f800000, v16
	v_cmp_ne_u32_e32 vcc, s46, v13
                                        ; implicit-def: $vgpr13
	s_and_saveexec_b64 s[76:77], vcc
	s_xor_b64 s[76:77], exec, s[76:77]
; %bb.496:                              ;   in Loop: Header=BB4_57 Depth=2
	v_bfe_u32 v13, v16, 16, 1
	v_add3_u32 v13, v16, v13, s47
                                        ; implicit-def: $vgpr16
; %bb.497:                              ;   in Loop: Header=BB4_57 Depth=2
	s_andn2_saveexec_b64 s[76:77], s[76:77]
; %bb.498:                              ;   in Loop: Header=BB4_57 Depth=2
	v_or_b32_e32 v13, 0x10000, v16
	v_cmp_eq_u32_sdwa vcc, v16, v2 src0_sel:WORD_0 src1_sel:DWORD
	v_cndmask_b32_e32 v13, v13, v16, vcc
; %bb.499:                              ;   in Loop: Header=BB4_57 Depth=2
	s_or_b64 exec, exec, s[76:77]
	v_mul_f32_e32 v14, v8, v14
	v_and_b32_e32 v8, 0x7f800000, v14
	v_cmp_ne_u32_e32 vcc, s46, v8
                                        ; implicit-def: $vgpr8
	s_and_saveexec_b64 s[76:77], vcc
	s_xor_b64 s[76:77], exec, s[76:77]
; %bb.500:                              ;   in Loop: Header=BB4_57 Depth=2
	v_bfe_u32 v8, v14, 16, 1
	v_add3_u32 v8, v14, v8, s47
                                        ; implicit-def: $vgpr14
; %bb.501:                              ;   in Loop: Header=BB4_57 Depth=2
	s_andn2_saveexec_b64 s[76:77], s[76:77]
; %bb.502:                              ;   in Loop: Header=BB4_57 Depth=2
	v_or_b32_e32 v8, 0x10000, v14
	v_cmp_eq_u32_sdwa vcc, v14, v2 src0_sel:WORD_0 src1_sel:DWORD
	v_cndmask_b32_e32 v8, v8, v14, vcc
; %bb.503:                              ;   in Loop: Header=BB4_57 Depth=2
	s_or_b64 exec, exec, s[76:77]
	flat_store_short_d16_hi v[3:4], v9 glc slc
	flat_store_short_d16_hi v[3:4], v15 offset:128 glc slc
	flat_store_short_d16_hi v[3:4], v13 offset:256 glc slc
	;; [unrolled: 1-line block ×3, first 2 shown]
.LBB4_504:                              ;   in Loop: Header=BB4_57 Depth=2
	s_or_b64 exec, exec, s[74:75]
	v_lshlrev_b32_e32 v3, 9, v12
	v_cmp_ne_u32_e32 vcc, v53, v3
	s_and_b64 exec, exec, vcc
	s_cbranch_execz .LBB4_526
; %bb.505:                              ;   in Loop: Header=BB4_57 Depth=2
	v_lshlrev_b32_e32 v0, 6, v0
	v_sub_u32_e32 v0, v11, v0
	v_ashrrev_i32_e32 v4, 31, v0
	v_lshrrev_b32_e32 v4, 26, v4
	v_add_u32_e32 v4, v0, v4
	v_and_b32_e32 v8, 0x7fffffc0, v4
	v_sub_u32_e32 v0, v0, v8
	v_lshlrev_b32_e32 v4, 1, v4
	v_and_b32_e32 v4, 0xffffff80, v4
	v_lshlrev_b32_e32 v0, 1, v0
	v_add3_u32 v0, v4, v0, v3
	v_sub_u32_e32 v11, v53, v0
	v_cmp_lt_i32_e32 vcc, 1, v11
	s_and_b64 exec, exec, vcc
	s_cbranch_execz .LBB4_526
; %bb.506:                              ;   in Loop: Header=BB4_57 Depth=2
	v_add_u32_e32 v0, v0, v10
	v_ashrrev_i32_e32 v9, 31, v0
	v_add_co_u32_e32 v3, vcc, v24, v0
	v_addc_co_u32_e32 v4, vcc, v25, v9, vcc
	v_add_co_u32_e32 v8, vcc, v0, v30
	s_trap 2
	ds_read_b32 v0, v0
	v_addc_co_u32_e32 v9, vcc, v9, v31, vcc
	s_mov_b64 s[78:79], 0
	s_mov_b64 s[74:75], 0
	s_waitcnt lgkmcnt(0)
	v_lshlrev_b32_e32 v0, 16, v0
                                        ; implicit-def: $sgpr76_sgpr77
                                        ; implicit-def: $vgpr10
	s_branch .LBB4_508
.LBB4_507:                              ;   in Loop: Header=BB4_508 Depth=3
	s_or_b64 exec, exec, s[88:89]
	flat_store_short_d16_hi v[3:4], v13 glc slc
	v_cndmask_b32_e64 v13, 0, v40, s[78:79]
	v_cndmask_b32_e64 v12, 0, v41, s[78:79]
	v_add_co_u32_e32 v8, vcc, v8, v13
	v_addc_co_u32_e32 v9, vcc, v9, v12, vcc
	buffer_load_dword v12, off, s[0:3], s33 offset:144 ; 4-byte Folded Reload
	buffer_load_dword v13, off, s[0:3], s33 offset:140 ; 4-byte Folded Reload
	v_mov_b32_e32 v14, 0x80
	s_waitcnt vmcnt(0)
	v_cndmask_b32_e64 v12, 0, v12, s[78:79]
	v_cndmask_b32_e64 v13, v14, v13, s[78:79]
	v_add_co_u32_e32 v3, vcc, v3, v13
	v_addc_co_u32_e32 v4, vcc, v4, v12, vcc
	v_lshlrev_b32_e32 v12, 7, v59
	v_cndmask_b32_e64 v12, 0, v12, s[78:79]
	v_sub_u32_e32 v11, v11, v12
	v_cmp_gt_i32_e32 vcc, 2, v11
	s_or_b64 s[74:75], vcc, s[74:75]
	s_andn2_b64 s[76:77], s[76:77], exec
	s_and_b64 s[88:89], s[78:79], exec
	s_or_b64 s[76:77], s[76:77], s[88:89]
	s_andn2_b64 exec, exec, s[74:75]
	s_cbranch_execz .LBB4_520
.LBB4_508:                              ;   Parent Loop BB4_47 Depth=1
                                        ;     Parent Loop BB4_57 Depth=2
                                        ; =>    This Inner Loop Header: Depth=3
	flat_load_ushort v12, v[8:9] glc slc
	s_and_saveexec_b64 s[88:89], s[78:79]
	s_cbranch_execz .LBB4_514
; %bb.509:                              ;   in Loop: Header=BB4_508 Depth=3
	v_lshlrev_b32_e32 v10, 16, v10
	v_mul_f32_e32 v10, v0, v10
	v_and_b32_e32 v13, 0x7f800000, v10
	v_cmp_ne_u32_e32 vcc, s46, v13
                                        ; implicit-def: $vgpr13
	s_and_saveexec_b64 s[78:79], vcc
	s_xor_b64 s[78:79], exec, s[78:79]
; %bb.510:                              ;   in Loop: Header=BB4_508 Depth=3
	v_bfe_u32 v13, v10, 16, 1
	v_add3_u32 v13, v10, v13, s47
                                        ; implicit-def: $vgpr10
; %bb.511:                              ;   in Loop: Header=BB4_508 Depth=3
	s_andn2_saveexec_b64 s[78:79], s[78:79]
; %bb.512:                              ;   in Loop: Header=BB4_508 Depth=3
	v_or_b32_e32 v13, 0x10000, v10
	v_cmp_eq_u32_sdwa vcc, v10, v2 src0_sel:WORD_0 src1_sel:DWORD
	v_cndmask_b32_e32 v13, v13, v10, vcc
; %bb.513:                              ;   in Loop: Header=BB4_508 Depth=3
	s_or_b64 exec, exec, s[78:79]
	v_lshrrev_b32_e32 v10, 16, v13
	buffer_load_dword v13, off, s[0:3], s33 offset:140 ; 4-byte Folded Reload
	s_nop 0
	flat_store_short v[3:4], v10 glc slc
	s_waitcnt vmcnt(0)
	v_add_co_u32_e32 v3, vcc, v3, v13
	buffer_load_dword v13, off, s[0:3], s33 offset:144 ; 4-byte Folded Reload
	s_waitcnt vmcnt(0)
	v_addc_co_u32_e32 v4, vcc, v4, v13, vcc
.LBB4_514:                              ;   in Loop: Header=BB4_508 Depth=3
	s_or_b64 exec, exec, s[88:89]
	buffer_load_dword v13, off, s[0:3], s33 offset:140 ; 4-byte Folded Reload
	s_waitcnt vmcnt(0)
	v_add_co_u32_e32 v8, vcc, v8, v13
	buffer_load_dword v13, off, s[0:3], s33 offset:144 ; 4-byte Folded Reload
	s_waitcnt vmcnt(0)
	v_addc_co_u32_e32 v9, vcc, v9, v13, vcc
	v_lshlrev_b32_e32 v13, 7, v59
	v_sub_u32_e32 v11, v11, v13
	v_cmp_lt_i32_e64 s[78:79], 1, v11
	s_and_saveexec_b64 s[88:89], s[78:79]
	s_cbranch_execz .LBB4_516
; %bb.515:                              ;   in Loop: Header=BB4_508 Depth=3
	flat_load_ushort v10, v[8:9] glc slc
	v_add_co_u32_e32 v8, vcc, 0x80, v8
	v_addc_co_u32_e32 v9, vcc, 0, v9, vcc
.LBB4_516:                              ;   in Loop: Header=BB4_508 Depth=3
	s_or_b64 exec, exec, s[88:89]
	s_waitcnt lgkmcnt(0)
	v_lshlrev_b32_e32 v12, 16, v12
	v_mul_f32_e32 v12, v0, v12
	v_and_b32_e32 v13, 0x7f800000, v12
	v_cmp_ne_u32_e32 vcc, s46, v13
                                        ; implicit-def: $vgpr13
	s_and_saveexec_b64 s[88:89], vcc
	s_xor_b64 s[88:89], exec, s[88:89]
; %bb.517:                              ;   in Loop: Header=BB4_508 Depth=3
	v_bfe_u32 v13, v12, 16, 1
	v_add3_u32 v13, v12, v13, s47
                                        ; implicit-def: $vgpr12
; %bb.518:                              ;   in Loop: Header=BB4_508 Depth=3
	s_andn2_saveexec_b64 s[88:89], s[88:89]
	s_cbranch_execz .LBB4_507
; %bb.519:                              ;   in Loop: Header=BB4_508 Depth=3
	v_or_b32_e32 v13, 0x10000, v12
	v_cmp_eq_u32_sdwa vcc, v12, v2 src0_sel:WORD_0 src1_sel:DWORD
	v_cndmask_b32_e32 v13, v13, v12, vcc
	s_branch .LBB4_507
.LBB4_520:                              ;   in Loop: Header=BB4_57 Depth=2
	s_or_b64 exec, exec, s[74:75]
	s_and_b64 exec, exec, s[76:77]
	s_cbranch_execz .LBB4_526
; %bb.521:                              ;   in Loop: Header=BB4_57 Depth=2
	v_lshlrev_b32_e32 v8, 16, v10
	v_mul_f32_e32 v0, v0, v8
	v_and_b32_e32 v8, 0x7f800000, v0
	v_cmp_ne_u32_e32 vcc, s46, v8
                                        ; implicit-def: $vgpr8
	s_and_saveexec_b64 s[74:75], vcc
	s_xor_b64 s[74:75], exec, s[74:75]
; %bb.522:                              ;   in Loop: Header=BB4_57 Depth=2
	v_bfe_u32 v8, v0, 16, 1
	v_add3_u32 v8, v0, v8, s47
                                        ; implicit-def: $vgpr0
; %bb.523:                              ;   in Loop: Header=BB4_57 Depth=2
	s_andn2_saveexec_b64 s[74:75], s[74:75]
; %bb.524:                              ;   in Loop: Header=BB4_57 Depth=2
	v_or_b32_e32 v8, 0x10000, v0
	v_cmp_eq_u32_sdwa vcc, v0, v2 src0_sel:WORD_0 src1_sel:DWORD
	v_cndmask_b32_e32 v8, v8, v0, vcc
; %bb.525:                              ;   in Loop: Header=BB4_57 Depth=2
	s_or_b64 exec, exec, s[74:75]
	flat_store_short_d16_hi v[3:4], v8 glc slc
.LBB4_526:                              ;   in Loop: Header=BB4_57 Depth=2
	s_or_b64 exec, exec, s[26:27]
	v_cmp_lt_i32_e64 s[26:27], 0, v35
	s_and_saveexec_b64 s[74:75], s[10:11]
	s_cbranch_execz .LBB4_545
.LBB4_527:                              ;   in Loop: Header=BB4_57 Depth=2
	s_and_saveexec_b64 s[76:77], s[56:57]
	s_xor_b64 s[76:77], exec, s[76:77]
	s_cbranch_execz .LBB4_542
; %bb.528:                              ;   in Loop: Header=BB4_57 Depth=2
	s_and_saveexec_b64 s[78:79], s[16:17]
	s_cbranch_execz .LBB4_541
; %bb.529:                              ;   in Loop: Header=BB4_57 Depth=2
	s_mov_b64 s[90:91], exec
	s_waitcnt vmcnt(0)
	v_mbcnt_lo_u32_b32 v0, s90, 0
	v_mbcnt_hi_u32_b32 v0, s91, v0
	v_cmp_eq_u32_e32 vcc, 0, v0
	s_waitcnt lgkmcnt(0)
	buffer_wbinvl1_vol
	s_and_saveexec_b64 s[88:89], vcc
	s_cbranch_execz .LBB4_531
; %bb.530:                              ;   in Loop: Header=BB4_57 Depth=2
	s_bcnt1_i32_b64 s8, s[90:91]
	v_mov_b32_e32 v3, s8
	v_mov_b32_e32 v4, v2
	ds_add_u64 v0, v[3:4]
	s_trap 2
.LBB4_531:                              ;   in Loop: Header=BB4_57 Depth=2
	s_or_b64 exec, exec, s[88:89]
	s_trap 2
	ds_read_b64 v[3:4], v0
	s_waitcnt lgkmcnt(0)
	v_add_co_u32_e32 v36, vcc, v36, v59
	v_addc_co_u32_e32 v37, vcc, 0, v37, vcc
	v_cmp_lt_u64_e32 vcc, v[3:4], v[36:37]
	s_and_saveexec_b64 s[88:89], vcc
	s_cbranch_execz .LBB4_540
; %bb.532:                              ;   in Loop: Header=BB4_57 Depth=2
	s_mov_b32 s8, 0
	s_mov_b64 s[90:91], 0
                                        ; implicit-def: $sgpr92_sgpr93
                                        ; implicit-def: $sgpr94_sgpr95
	s_branch .LBB4_534
.LBB4_533:                              ;   in Loop: Header=BB4_534 Depth=3
	s_or_b64 exec, exec, s[34:35]
	s_and_b64 vcc, exec, vcc
	s_or_b64 s[90:91], vcc, s[90:91]
	s_andn2_b64 s[92:93], s[92:93], exec
	s_and_b64 vcc, s[94:95], exec
	s_or_b64 s[92:93], s[92:93], vcc
	s_andn2_b64 exec, exec, s[90:91]
	s_cbranch_execz .LBB4_538
.LBB4_534:                              ;   Parent Loop BB4_47 Depth=1
                                        ;     Parent Loop BB4_57 Depth=2
                                        ; =>    This Inner Loop Header: Depth=3
	s_add_i32 s8, s8, 1
	s_cmpk_lg_i32 s8, 0x2710
	s_cselect_b64 s[30:31], -1, 0
	s_and_b64 vcc, exec, s[30:31]
	s_cbranch_vccz .LBB4_536
; %bb.535:                              ;   in Loop: Header=BB4_534 Depth=3
	s_mov_b64 vcc, -1
	s_or_b64 s[94:95], s[94:95], exec
	s_and_saveexec_b64 s[34:35], s[30:31]
	s_cbranch_execz .LBB4_533
	s_branch .LBB4_537
.LBB4_536:                              ;   in Loop: Header=BB4_534 Depth=3
	s_trap 2
	ds_read_b64 v[3:4], v0
	s_andn2_b64 s[30:31], s[30:31], exec
	s_mov_b32 s8, 0
	s_waitcnt lgkmcnt(0)
	flat_load_dword v0, v[3:4] glc
	s_waitcnt vmcnt(0) lgkmcnt(0)
	buffer_wbinvl1_vol
	v_cmp_eq_u32_e32 vcc, 0, v0
	s_and_b64 vcc, vcc, exec
	s_or_b64 s[30:31], s[30:31], vcc
	s_mov_b64 vcc, -1
	s_or_b64 s[94:95], s[94:95], exec
	s_and_saveexec_b64 s[34:35], s[30:31]
	s_cbranch_execz .LBB4_533
.LBB4_537:                              ;   in Loop: Header=BB4_534 Depth=3
	s_sleep 1
	s_trap 2
	ds_read_b64 v[3:4], v0
	s_waitcnt lgkmcnt(0)
	s_andn2_b64 s[94:95], s[94:95], exec
	v_cmp_ge_u64_e32 vcc, v[3:4], v[36:37]
	s_orn2_b64 vcc, vcc, exec
	s_branch .LBB4_533
.LBB4_538:                              ;   in Loop: Header=BB4_57 Depth=2
	s_or_b64 exec, exec, s[90:91]
	s_and_saveexec_b64 s[90:91], s[92:93]
	s_xor_b64 s[90:91], exec, s[90:91]
	s_cbranch_execz .LBB4_540
; %bb.539:                              ;   in Loop: Header=BB4_57 Depth=2
	v_mov_b32_e32 v0, 1
	ds_write_b32 v0, v0
	s_trap 2
.LBB4_540:                              ;   in Loop: Header=BB4_57 Depth=2
	s_or_b64 exec, exec, s[88:89]
	;;#ASMSTART
	s_wakeup
	;;#ASMEND
.LBB4_541:                              ;   in Loop: Header=BB4_57 Depth=2
	s_or_b64 exec, exec, s[78:79]
.LBB4_542:                              ;   in Loop: Header=BB4_57 Depth=2
	s_andn2_saveexec_b64 s[76:77], s[76:77]
	s_cbranch_execz .LBB4_544
; %bb.543:                              ;   in Loop: Header=BB4_57 Depth=2
	s_waitcnt vmcnt(0) lgkmcnt(0)
	buffer_wbinvl1_vol
	s_barrier
.LBB4_544:                              ;   in Loop: Header=BB4_57 Depth=2
	s_or_b64 exec, exec, s[76:77]
.LBB4_545:                              ;   in Loop: Header=BB4_57 Depth=2
	s_or_b64 exec, exec, s[74:75]
	s_waitcnt vmcnt(0)
	v_and_b32_e32 v0, 16, v5
	s_and_saveexec_b64 s[74:75], s[24:25]
	s_xor_b64 s[74:75], exec, s[74:75]
	s_cbranch_execz .LBB4_550
; %bb.546:                              ;   in Loop: Header=BB4_57 Depth=2
	v_and_b32_e32 v3, 16, v5
	v_cmp_ne_u32_e32 vcc, 0, v3
	v_and_b32_e32 v0, 16, v5
	s_and_b64 s[76:77], vcc, s[26:27]
	s_and_saveexec_b64 s[26:27], s[76:77]
	s_cbranch_execz .LBB4_548
; %bb.547:                              ;   in Loop: Header=BB4_57 Depth=2
	v_mov_b32_e32 v0, 1
	s_waitcnt lgkmcnt(0)
	buffer_wbinvl1_vol
.LBB4_548:                              ;   in Loop: Header=BB4_57 Depth=2
	s_or_b64 exec, exec, s[26:27]
	s_andn2_saveexec_b64 s[26:27], s[74:75]
	s_cbranch_execnz .LBB4_551
.LBB4_549:                              ;   in Loop: Header=BB4_57 Depth=2
	s_or_b64 exec, exec, s[26:27]
	v_cmp_ne_u32_e32 vcc, 0, v0
	s_and_saveexec_b64 s[26:27], vcc
	s_cbranch_execz .LBB4_56
	s_branch .LBB4_569
.LBB4_550:                              ;   in Loop: Header=BB4_57 Depth=2
	s_andn2_saveexec_b64 s[26:27], s[74:75]
	s_cbranch_execz .LBB4_549
.LBB4_551:                              ;   in Loop: Header=BB4_57 Depth=2
	s_and_saveexec_b64 s[74:75], s[56:57]
	s_xor_b64 s[74:75], exec, s[74:75]
	s_cbranch_execz .LBB4_566
; %bb.552:                              ;   in Loop: Header=BB4_57 Depth=2
	s_and_saveexec_b64 s[76:77], s[16:17]
	s_cbranch_execz .LBB4_565
; %bb.553:                              ;   in Loop: Header=BB4_57 Depth=2
	s_mov_b64 s[88:89], exec
	v_mbcnt_lo_u32_b32 v3, s88, 0
	v_mbcnt_hi_u32_b32 v3, s89, v3
	v_cmp_eq_u32_e32 vcc, 0, v3
	;;#ASMSTART
	s_waitcnt lgkmcnt(0) vmcnt(0)
	;;#ASMEND
	s_and_saveexec_b64 s[78:79], vcc
	s_cbranch_execz .LBB4_555
; %bb.554:                              ;   in Loop: Header=BB4_57 Depth=2
	s_bcnt1_i32_b64 s8, s[88:89]
	v_mov_b32_e32 v3, s8
	v_mov_b32_e32 v4, v2
	s_waitcnt lgkmcnt(0)
	ds_add_u64 v0, v[3:4]
	s_trap 2
.LBB4_555:                              ;   in Loop: Header=BB4_57 Depth=2
	s_or_b64 exec, exec, s[78:79]
	s_trap 2
	ds_read_b64 v[3:4], v0
	s_waitcnt lgkmcnt(0)
	v_add_co_u32_e32 v36, vcc, v36, v59
	v_addc_co_u32_e32 v37, vcc, 0, v37, vcc
	v_cmp_lt_u64_e32 vcc, v[3:4], v[36:37]
	s_and_saveexec_b64 s[78:79], vcc
	s_cbranch_execz .LBB4_564
; %bb.556:                              ;   in Loop: Header=BB4_57 Depth=2
	s_mov_b32 s8, 0
	s_mov_b64 s[88:89], 0
                                        ; implicit-def: $sgpr90_sgpr91
                                        ; implicit-def: $sgpr92_sgpr93
	s_branch .LBB4_558
.LBB4_557:                              ;   in Loop: Header=BB4_558 Depth=3
	s_or_b64 exec, exec, s[30:31]
	s_and_b64 s[94:95], exec, vcc
	s_or_b64 s[88:89], s[94:95], s[88:89]
	s_andn2_b64 s[90:91], s[90:91], exec
	s_and_b64 s[94:95], s[92:93], exec
	s_or_b64 s[90:91], s[90:91], s[94:95]
	s_andn2_b64 exec, exec, s[88:89]
	s_cbranch_execz .LBB4_562
.LBB4_558:                              ;   Parent Loop BB4_47 Depth=1
                                        ;     Parent Loop BB4_57 Depth=2
                                        ; =>    This Inner Loop Header: Depth=3
	s_add_i32 s8, s8, 1
	s_cmpk_lg_i32 s8, 0x2710
	s_cselect_b64 s[94:95], -1, 0
	s_and_b64 vcc, exec, s[94:95]
	s_cbranch_vccz .LBB4_560
; %bb.559:                              ;   in Loop: Header=BB4_558 Depth=3
	s_mov_b64 vcc, -1
	s_or_b64 s[92:93], s[92:93], exec
	s_and_saveexec_b64 s[30:31], s[94:95]
	s_cbranch_execz .LBB4_557
	s_branch .LBB4_561
.LBB4_560:                              ;   in Loop: Header=BB4_558 Depth=3
	s_trap 2
	ds_read_b64 v[3:4], v0
	s_andn2_b64 s[94:95], s[94:95], exec
	s_mov_b32 s8, 0
	s_waitcnt lgkmcnt(0)
	flat_load_dword v3, v[3:4] glc
	s_waitcnt vmcnt(0) lgkmcnt(0)
	buffer_wbinvl1_vol
	v_cmp_eq_u32_e32 vcc, 0, v3
	s_and_b64 vcc, vcc, exec
	s_or_b64 s[94:95], s[94:95], vcc
	s_mov_b64 vcc, -1
	s_or_b64 s[92:93], s[92:93], exec
	s_and_saveexec_b64 s[30:31], s[94:95]
	s_cbranch_execz .LBB4_557
.LBB4_561:                              ;   in Loop: Header=BB4_558 Depth=3
	s_sleep 1
	s_trap 2
	ds_read_b64 v[3:4], v0
	s_waitcnt lgkmcnt(0)
	s_andn2_b64 s[92:93], s[92:93], exec
	v_cmp_ge_u64_e32 vcc, v[3:4], v[36:37]
	s_orn2_b64 vcc, vcc, exec
	s_branch .LBB4_557
.LBB4_562:                              ;   in Loop: Header=BB4_57 Depth=2
	s_or_b64 exec, exec, s[88:89]
	s_and_saveexec_b64 s[88:89], s[90:91]
	s_xor_b64 s[88:89], exec, s[88:89]
	s_cbranch_execz .LBB4_564
; %bb.563:                              ;   in Loop: Header=BB4_57 Depth=2
	v_mov_b32_e32 v3, 1
	ds_write_b32 v0, v3
	s_trap 2
.LBB4_564:                              ;   in Loop: Header=BB4_57 Depth=2
	s_or_b64 exec, exec, s[78:79]
	;;#ASMSTART
	s_wakeup
	;;#ASMEND
.LBB4_565:                              ;   in Loop: Header=BB4_57 Depth=2
	s_or_b64 exec, exec, s[76:77]
.LBB4_566:                              ;   in Loop: Header=BB4_57 Depth=2
	s_andn2_saveexec_b64 s[74:75], s[74:75]
	s_cbranch_execz .LBB4_568
; %bb.567:                              ;   in Loop: Header=BB4_57 Depth=2
	;;#ASMSTART
	s_waitcnt lgkmcnt(0) vmcnt(0)
	;;#ASMEND
	s_waitcnt lgkmcnt(0)
	s_barrier
.LBB4_568:                              ;   in Loop: Header=BB4_57 Depth=2
	s_or_b64 exec, exec, s[74:75]
	s_or_b64 exec, exec, s[26:27]
	v_cmp_ne_u32_e32 vcc, 0, v0
	s_and_saveexec_b64 s[26:27], vcc
	s_cbranch_execz .LBB4_56
.LBB4_569:                              ;   in Loop: Header=BB4_57 Depth=2
	s_and_saveexec_b64 s[74:75], s[14:15]
	s_cbranch_execz .LBB4_55
; %bb.570:                              ;   in Loop: Header=BB4_57 Depth=2
	buffer_load_dword v3, off, s[0:3], s33 offset:176 ; 4-byte Folded Reload
	buffer_load_dword v4, off, s[0:3], s33 offset:180 ; 4-byte Folded Reload
	v_mov_b32_e32 v0, 1
	s_waitcnt vmcnt(0)
	flat_store_dword v[3:4], v0
	s_branch .LBB4_55
.LBB4_571:                              ;   in Loop: Header=BB4_47 Depth=1
	s_or_b64 exec, exec, s[40:41]
.LBB4_572:                              ;   in Loop: Header=BB4_47 Depth=1
	s_or_b64 exec, exec, s[28:29]
	v_cmp_gt_i32_e32 vcc, 2, v0
	s_and_saveexec_b64 s[28:29], vcc
	s_cbranch_execz .LBB4_644
; %bb.573:                              ;   in Loop: Header=BB4_47 Depth=1
	v_cmp_eq_u32_e64 s[42:43], 0, v0
	s_mov_b64 s[40:41], 0
	s_branch .LBB4_576
.LBB4_574:                              ;   in Loop: Header=BB4_576 Depth=2
	s_or_b64 exec, exec, s[42:43]
	v_add_co_u32_e32 v6, vcc, 2, v6
	v_addc_co_u32_e32 v7, vcc, 0, v7, vcc
	flat_store_dwordx2 v[32:33], v[6:7]
.LBB4_575:                              ;   in Loop: Header=BB4_576 Depth=2
	s_or_b64 exec, exec, s[26:27]
	v_add_u32_e32 v26, v60, v26
	s_mov_b64 s[42:43], 0
	s_andn2_b64 exec, exec, s[40:41]
	s_cbranch_execz .LBB4_643
.LBB4_576:                              ;   Parent Loop BB4_47 Depth=1
                                        ; =>  This Loop Header: Depth=2
                                        ;       Child Loop BB4_582 Depth 3
                                        ;       Child Loop BB4_606 Depth 3
                                        ;       Child Loop BB4_630 Depth 3
	v_sub_u32_e32 v0, v52, v26
	v_min_i32_e32 v60, v60, v0
	v_and_b32_e32 v0, 8, v5
	v_cmp_ne_u32_e32 vcc, 0, v0
	s_and_saveexec_b64 s[74:75], vcc
	s_cbranch_execz .LBB4_598
; %bb.577:                              ;   in Loop: Header=BB4_576 Depth=2
	s_waitcnt lgkmcnt(0)
	v_add_co_u32_e32 v8, vcc, 8, v38
	v_addc_co_u32_e32 v9, vcc, 0, v39, vcc
	v_add_co_u32_e32 v3, vcc, 2, v6
	v_addc_co_u32_e32 v4, vcc, 0, v7, vcc
	v_cmp_lt_u64_e32 vcc, v[8:9], v[3:4]
	s_and_saveexec_b64 s[76:77], vcc
	s_cbranch_execz .LBB4_589
; %bb.578:                              ;   in Loop: Header=BB4_576 Depth=2
	v_and_b32_e32 v0, 64, v5
	s_mov_b32 s9, 0
	v_cmp_eq_u32_e32 vcc, 0, v0
	s_mov_b64 s[78:79], 0
                                        ; implicit-def: $sgpr88_sgpr89
                                        ; implicit-def: $sgpr90_sgpr91
                                        ; implicit-def: $sgpr92_sgpr93
	s_branch .LBB4_582
.LBB4_579:                              ;   in Loop: Header=BB4_582 Depth=3
	s_waitcnt vmcnt(0) lgkmcnt(0)
	v_add_co_u32_e64 v7, s[26:27], 8, v38
	v_addc_co_u32_e64 v8, s[26:27], 0, v39, s[26:27]
	v_cmp_ge_u64_e64 s[26:27], v[7:8], v[3:4]
	s_or_b64 s[34:35], s[34:35], exec
	s_orn2_b64 s[30:31], s[26:27], exec
.LBB4_580:                              ;   in Loop: Header=BB4_582 Depth=3
	s_or_b64 exec, exec, s[38:39]
	s_andn2_b64 s[26:27], s[92:93], exec
	s_and_b64 s[92:93], s[34:35], exec
	s_or_b64 s[92:93], s[26:27], s[92:93]
	s_andn2_b64 s[26:27], s[90:91], exec
	s_and_b64 s[90:91], s[30:31], exec
	s_or_b64 s[90:91], s[26:27], s[90:91]
.LBB4_581:                              ;   in Loop: Header=BB4_582 Depth=3
	s_or_b64 exec, exec, s[94:95]
	s_and_b64 s[26:27], exec, s[90:91]
	s_or_b64 s[78:79], s[26:27], s[78:79]
	s_andn2_b64 s[26:27], s[88:89], exec
	s_and_b64 s[88:89], s[92:93], exec
	s_or_b64 s[88:89], s[26:27], s[88:89]
	s_andn2_b64 exec, exec, s[78:79]
	s_cbranch_execz .LBB4_586
.LBB4_582:                              ;   Parent Loop BB4_47 Depth=1
                                        ;     Parent Loop BB4_576 Depth=2
                                        ; =>    This Inner Loop Header: Depth=3
	s_sleep 1
	s_waitcnt vmcnt(0) lgkmcnt(0)
	flat_load_dwordx2 v[38:39], v[32:33] glc
	s_or_b64 s[92:93], s[92:93], exec
	s_or_b64 s[90:91], s[90:91], exec
                                        ; implicit-def: $vgpr0
	s_and_saveexec_b64 s[94:95], vcc
	s_cbranch_execz .LBB4_581
; %bb.583:                              ;   in Loop: Header=BB4_582 Depth=3
	s_cmpk_lt_i32 s9, 0x270f
	s_cselect_b64 s[36:37], -1, 0
	s_cmpk_gt_i32 s9, 0x270e
	s_mov_b64 s[30:31], -1
	s_cbranch_scc0 .LBB4_585
; %bb.584:                              ;   in Loop: Header=BB4_582 Depth=3
	s_trap 2
	ds_read_b64 v[7:8], v0
	s_andn2_b64 s[36:37], s[36:37], exec
	s_mov_b32 s9, 0
	s_mov_b64 s[34:35], 0
	s_waitcnt vmcnt(0) lgkmcnt(0)
	flat_load_dword v0, v[7:8] glc
	s_waitcnt vmcnt(0) lgkmcnt(0)
	buffer_wbinvl1_vol
	v_cmp_eq_u32_e64 s[26:27], 0, v0
	s_and_b64 s[26:27], s[26:27], exec
	s_or_b64 s[36:37], s[36:37], s[26:27]
	s_and_saveexec_b64 s[38:39], s[36:37]
	s_cbranch_execz .LBB4_580
	s_branch .LBB4_579
.LBB4_585:                              ;   in Loop: Header=BB4_582 Depth=3
	s_add_i32 s9, s9, 1
	s_mov_b64 s[34:35], -1
                                        ; implicit-def: $vgpr0
	s_and_saveexec_b64 s[38:39], s[36:37]
	s_cbranch_execz .LBB4_580
	s_branch .LBB4_579
.LBB4_586:                              ;   in Loop: Header=BB4_576 Depth=2
	s_or_b64 exec, exec, s[78:79]
	s_xor_b64 s[8:9], s[88:89], -1
	s_and_saveexec_b64 s[26:27], s[8:9]
	s_xor_b64 s[26:27], exec, s[26:27]
	s_cbranch_execz .LBB4_588
; %bb.587:                              ;   in Loop: Header=BB4_576 Depth=2
	v_or_b32_e32 v5, 64, v5
	s_waitcnt lgkmcnt(0)
	ds_write_b32 v0, v0
	s_trap 2
.LBB4_588:                              ;   in Loop: Header=BB4_576 Depth=2
	s_or_b64 exec, exec, s[26:27]
.LBB4_589:                              ;   in Loop: Header=BB4_576 Depth=2
	s_or_b64 exec, exec, s[76:77]
	v_and_b32_e32 v0, 0x100, v5
	v_cmp_ne_u32_e32 vcc, 0, v0
	v_and_b32_e32 v0, 7, v6
	s_mov_b64 s[26:27], -1
	;;#ASMSTART
	s_wakeup
	;;#ASMEND
                                        ; implicit-def: $vgpr10_vgpr11
	s_and_saveexec_b64 s[76:77], vcc
	s_cbranch_execz .LBB4_593
; %bb.590:                              ;   in Loop: Header=BB4_576 Depth=2
	buffer_load_dword v6, off, s[0:3], s33 offset:160 ; 4-byte Folded Reload
	buffer_load_dword v7, off, s[0:3], s33 offset:164 ; 4-byte Folded Reload
	;; [unrolled: 1-line block ×4, first 2 shown]
	v_ashrrev_i32_e32 v61, 31, v60
                                        ; implicit-def: $vgpr10_vgpr11
	s_waitcnt vmcnt(0)
	v_mad_u64_u32 v[8:9], s[8:9], v0, 24, v[6:7]
	v_lshlrev_b64 v[6:7], 1, v[60:61]
	flat_store_dwordx2 v[8:9], v[6:7] offset:8
	flat_load_dword v6, v[8:9]
	s_waitcnt vmcnt(0) lgkmcnt(0)
	v_cmp_ne_u32_e32 vcc, 1, v6
	v_cmp_eq_u32_e64 s[26:27], 1, v6
	s_and_saveexec_b64 s[78:79], s[26:27]
	s_cbranch_execz .LBB4_592
; %bb.591:                              ;   in Loop: Header=BB4_576 Depth=2
	flat_load_dword v6, v[8:9] offset:4 glc
	s_waitcnt vmcnt(0) lgkmcnt(0)
	v_ashrrev_i32_e32 v7, 31, v6
	v_lshrrev_b64 v[10:11], 1, v[6:7]
.LBB4_592:                              ;   in Loop: Header=BB4_576 Depth=2
	s_or_b64 exec, exec, s[78:79]
	s_orn2_b64 s[26:27], vcc, exec
.LBB4_593:                              ;   in Loop: Header=BB4_576 Depth=2
	s_or_b64 exec, exec, s[76:77]
	s_and_saveexec_b64 s[76:77], s[26:27]
	s_cbranch_execz .LBB4_595
; %bb.594:                              ;   in Loop: Header=BB4_576 Depth=2
	buffer_load_dword v6, off, s[0:3], s33 offset:184 ; 4-byte Folded Reload
	s_waitcnt vmcnt(0)
	v_mad_i64_i32 v[10:11], s[8:9], v0, v6, 0
.LBB4_595:                              ;   in Loop: Header=BB4_576 Depth=2
	s_or_b64 exec, exec, s[76:77]
	buffer_load_dword v8, off, s[0:3], s33 offset:152 ; 4-byte Folded Reload
	buffer_load_dword v9, off, s[0:3], s33 offset:156 ; 4-byte Folded Reload
	v_lshlrev_b64 v[6:7], 1, v[10:11]
	s_waitcnt vmcnt(0)
	v_add_co_u32_e32 v6, vcc, v8, v6
	v_addc_co_u32_e32 v7, vcc, v9, v7, vcc
	ds_write_b64 v0, v[6:7] offset:784
	v_and_b32_e32 v0, 0x2000, v5
	v_cmp_ne_u32_e32 vcc, 0, v0
	s_and_saveexec_b64 s[26:27], vcc
	s_cbranch_execz .LBB4_597
; %bb.596:                              ;   in Loop: Header=BB4_576 Depth=2
	ds_read_b64 v[6:7], v0 offset:872
	s_waitcnt lgkmcnt(0)
	v_add_co_u32_e32 v6, vcc, 1, v6
	v_addc_co_u32_e32 v7, vcc, 0, v7, vcc
	ds_write_b64 v0, v[6:7] offset:872
.LBB4_597:                              ;   in Loop: Header=BB4_576 Depth=2
	s_or_b64 exec, exec, s[26:27]
	v_mov_b32_e32 v7, v4
	v_mov_b32_e32 v6, v3
.LBB4_598:                              ;   in Loop: Header=BB4_576 Depth=2
	s_or_b64 exec, exec, s[74:75]
	s_xor_b64 s[8:9], s[42:43], -1
	s_and_b64 s[8:9], exec, s[8:9]
	s_or_b64 s[40:41], s[8:9], s[40:41]
	s_and_saveexec_b64 s[26:27], s[10:11]
	s_cbranch_execz .LBB4_617
; %bb.599:                              ;   in Loop: Header=BB4_576 Depth=2
	s_and_saveexec_b64 s[8:9], s[56:57]
	s_xor_b64 s[42:43], exec, s[8:9]
	s_cbranch_execz .LBB4_614
; %bb.600:                              ;   in Loop: Header=BB4_576 Depth=2
	s_and_saveexec_b64 s[74:75], s[16:17]
	s_cbranch_execz .LBB4_613
; %bb.601:                              ;   in Loop: Header=BB4_576 Depth=2
	s_mov_b64 s[78:79], exec
	v_mbcnt_lo_u32_b32 v0, s78, 0
	v_mbcnt_hi_u32_b32 v0, s79, v0
	v_cmp_eq_u32_e32 vcc, 0, v0
	s_waitcnt vmcnt(0) lgkmcnt(0)
	buffer_wbinvl1_vol
	s_and_saveexec_b64 s[76:77], vcc
	s_cbranch_execz .LBB4_603
; %bb.602:                              ;   in Loop: Header=BB4_576 Depth=2
	s_bcnt1_i32_b64 s8, s[78:79]
	v_mov_b32_e32 v3, s8
	v_mov_b32_e32 v4, v2
	ds_add_u64 v0, v[3:4]
	s_trap 2
.LBB4_603:                              ;   in Loop: Header=BB4_576 Depth=2
	s_or_b64 exec, exec, s[76:77]
	s_trap 2
	ds_read_b64 v[3:4], v0
	s_waitcnt lgkmcnt(0)
	v_add_co_u32_e32 v36, vcc, v36, v59
	v_addc_co_u32_e32 v37, vcc, 0, v37, vcc
	v_cmp_lt_u64_e32 vcc, v[3:4], v[36:37]
	s_and_saveexec_b64 s[76:77], vcc
	s_cbranch_execz .LBB4_612
; %bb.604:                              ;   in Loop: Header=BB4_576 Depth=2
	s_mov_b32 s8, 0
	s_mov_b64 s[78:79], 0
                                        ; implicit-def: $sgpr88_sgpr89
                                        ; implicit-def: $sgpr90_sgpr91
	s_branch .LBB4_606
.LBB4_605:                              ;   in Loop: Header=BB4_606 Depth=3
	s_or_b64 exec, exec, s[94:95]
	s_and_b64 s[92:93], exec, vcc
	s_or_b64 s[78:79], s[92:93], s[78:79]
	s_andn2_b64 s[88:89], s[88:89], exec
	s_and_b64 s[92:93], s[90:91], exec
	s_or_b64 s[88:89], s[88:89], s[92:93]
	s_andn2_b64 exec, exec, s[78:79]
	s_cbranch_execz .LBB4_610
.LBB4_606:                              ;   Parent Loop BB4_47 Depth=1
                                        ;     Parent Loop BB4_576 Depth=2
                                        ; =>    This Inner Loop Header: Depth=3
	s_add_i32 s8, s8, 1
	s_cmpk_lg_i32 s8, 0x2710
	s_cselect_b64 s[92:93], -1, 0
	s_and_b64 vcc, exec, s[92:93]
	s_cbranch_vccz .LBB4_608
; %bb.607:                              ;   in Loop: Header=BB4_606 Depth=3
	s_mov_b64 vcc, -1
	s_or_b64 s[90:91], s[90:91], exec
	s_and_saveexec_b64 s[94:95], s[92:93]
	s_cbranch_execz .LBB4_605
	s_branch .LBB4_609
.LBB4_608:                              ;   in Loop: Header=BB4_606 Depth=3
	s_trap 2
	ds_read_b64 v[3:4], v0
	s_andn2_b64 s[92:93], s[92:93], exec
	s_mov_b32 s8, 0
	s_waitcnt lgkmcnt(0)
	flat_load_dword v0, v[3:4] glc
	s_waitcnt vmcnt(0) lgkmcnt(0)
	buffer_wbinvl1_vol
	v_cmp_eq_u32_e32 vcc, 0, v0
	s_and_b64 s[94:95], vcc, exec
	s_or_b64 s[92:93], s[92:93], s[94:95]
	s_mov_b64 vcc, -1
	s_or_b64 s[90:91], s[90:91], exec
	s_and_saveexec_b64 s[94:95], s[92:93]
	s_cbranch_execz .LBB4_605
.LBB4_609:                              ;   in Loop: Header=BB4_606 Depth=3
	s_sleep 1
	s_trap 2
	ds_read_b64 v[3:4], v0
	s_waitcnt lgkmcnt(0)
	s_andn2_b64 s[90:91], s[90:91], exec
	v_cmp_ge_u64_e32 vcc, v[3:4], v[36:37]
	s_orn2_b64 vcc, vcc, exec
	s_branch .LBB4_605
.LBB4_610:                              ;   in Loop: Header=BB4_576 Depth=2
	s_or_b64 exec, exec, s[78:79]
	s_and_saveexec_b64 s[8:9], s[88:89]
	s_xor_b64 s[8:9], exec, s[8:9]
	s_cbranch_execz .LBB4_612
; %bb.611:                              ;   in Loop: Header=BB4_576 Depth=2
	v_mov_b32_e32 v0, 1
	ds_write_b32 v0, v0
	s_trap 2
.LBB4_612:                              ;   in Loop: Header=BB4_576 Depth=2
	s_or_b64 exec, exec, s[76:77]
	;;#ASMSTART
	s_wakeup
	;;#ASMEND
.LBB4_613:                              ;   in Loop: Header=BB4_576 Depth=2
	s_or_b64 exec, exec, s[74:75]
.LBB4_614:                              ;   in Loop: Header=BB4_576 Depth=2
	s_andn2_saveexec_b64 s[42:43], s[42:43]
	s_cbranch_execz .LBB4_616
; %bb.615:                              ;   in Loop: Header=BB4_576 Depth=2
	s_waitcnt vmcnt(0) lgkmcnt(0)
	buffer_wbinvl1_vol
	s_barrier
.LBB4_616:                              ;   in Loop: Header=BB4_576 Depth=2
	s_or_b64 exec, exec, s[42:43]
.LBB4_617:                              ;   in Loop: Header=BB4_576 Depth=2
	s_or_b64 exec, exec, s[26:27]
	v_and_b32_e32 v0, 16, v5
	s_and_saveexec_b64 s[8:9], s[24:25]
	s_xor_b64 s[26:27], exec, s[8:9]
	s_cbranch_execz .LBB4_622
; %bb.618:                              ;   in Loop: Header=BB4_576 Depth=2
	s_trap 2
	ds_read_b32 v0, v0
	v_cmp_lt_i32_e32 vcc, 0, v60
	v_and_b32_e32 v3, 16, v5
	s_waitcnt lgkmcnt(0)
	v_readfirstlane_b32 s8, v0
	s_cmp_eq_u32 s8, 0
	s_cselect_b64 s[8:9], -1, 0
	s_and_b64 s[8:9], vcc, s[8:9]
	v_cmp_ne_u32_e32 vcc, 0, v3
	v_and_b32_e32 v0, 16, v5
	s_and_b64 s[8:9], vcc, s[8:9]
	s_and_saveexec_b64 s[42:43], s[8:9]
	s_cbranch_execz .LBB4_620
; %bb.619:                              ;   in Loop: Header=BB4_576 Depth=2
	v_mov_b32_e32 v0, 1
	s_waitcnt vmcnt(0)
	buffer_wbinvl1_vol
.LBB4_620:                              ;   in Loop: Header=BB4_576 Depth=2
	s_or_b64 exec, exec, s[42:43]
	s_andn2_saveexec_b64 s[26:27], s[26:27]
	s_cbranch_execnz .LBB4_623
.LBB4_621:                              ;   in Loop: Header=BB4_576 Depth=2
	s_or_b64 exec, exec, s[26:27]
	v_cmp_ne_u32_e32 vcc, 0, v0
	s_and_saveexec_b64 s[26:27], vcc
	s_cbranch_execz .LBB4_575
	s_branch .LBB4_641
.LBB4_622:                              ;   in Loop: Header=BB4_576 Depth=2
	s_andn2_saveexec_b64 s[26:27], s[26:27]
	s_cbranch_execz .LBB4_621
.LBB4_623:                              ;   in Loop: Header=BB4_576 Depth=2
	s_and_saveexec_b64 s[8:9], s[56:57]
	s_xor_b64 s[42:43], exec, s[8:9]
	s_cbranch_execz .LBB4_638
; %bb.624:                              ;   in Loop: Header=BB4_576 Depth=2
	s_and_saveexec_b64 s[74:75], s[16:17]
	s_cbranch_execz .LBB4_637
; %bb.625:                              ;   in Loop: Header=BB4_576 Depth=2
	s_mov_b64 s[78:79], exec
	v_mbcnt_lo_u32_b32 v3, s78, 0
	v_mbcnt_hi_u32_b32 v3, s79, v3
	v_cmp_eq_u32_e32 vcc, 0, v3
	;;#ASMSTART
	s_waitcnt lgkmcnt(0) vmcnt(0)
	;;#ASMEND
	s_and_saveexec_b64 s[76:77], vcc
	s_cbranch_execz .LBB4_627
; %bb.626:                              ;   in Loop: Header=BB4_576 Depth=2
	s_bcnt1_i32_b64 s8, s[78:79]
	v_mov_b32_e32 v3, s8
	v_mov_b32_e32 v4, v2
	s_waitcnt lgkmcnt(0)
	ds_add_u64 v0, v[3:4]
	s_trap 2
.LBB4_627:                              ;   in Loop: Header=BB4_576 Depth=2
	s_or_b64 exec, exec, s[76:77]
	s_trap 2
	ds_read_b64 v[3:4], v0
	s_waitcnt lgkmcnt(0)
	v_add_co_u32_e32 v36, vcc, v36, v59
	v_addc_co_u32_e32 v37, vcc, 0, v37, vcc
	v_cmp_lt_u64_e32 vcc, v[3:4], v[36:37]
	s_and_saveexec_b64 s[76:77], vcc
	s_cbranch_execz .LBB4_636
; %bb.628:                              ;   in Loop: Header=BB4_576 Depth=2
	s_mov_b32 s8, 0
	s_mov_b64 s[78:79], 0
                                        ; implicit-def: $sgpr88_sgpr89
                                        ; implicit-def: $sgpr90_sgpr91
	s_branch .LBB4_630
.LBB4_629:                              ;   in Loop: Header=BB4_630 Depth=3
	s_or_b64 exec, exec, s[94:95]
	s_and_b64 s[92:93], exec, vcc
	s_or_b64 s[78:79], s[92:93], s[78:79]
	s_andn2_b64 s[88:89], s[88:89], exec
	s_and_b64 s[92:93], s[90:91], exec
	s_or_b64 s[88:89], s[88:89], s[92:93]
	s_andn2_b64 exec, exec, s[78:79]
	s_cbranch_execz .LBB4_634
.LBB4_630:                              ;   Parent Loop BB4_47 Depth=1
                                        ;     Parent Loop BB4_576 Depth=2
                                        ; =>    This Inner Loop Header: Depth=3
	s_add_i32 s8, s8, 1
	s_cmpk_lg_i32 s8, 0x2710
	s_cselect_b64 s[92:93], -1, 0
	s_and_b64 vcc, exec, s[92:93]
	s_cbranch_vccz .LBB4_632
; %bb.631:                              ;   in Loop: Header=BB4_630 Depth=3
	s_mov_b64 vcc, -1
	s_or_b64 s[90:91], s[90:91], exec
	s_and_saveexec_b64 s[94:95], s[92:93]
	s_cbranch_execz .LBB4_629
	s_branch .LBB4_633
.LBB4_632:                              ;   in Loop: Header=BB4_630 Depth=3
	s_trap 2
	ds_read_b64 v[3:4], v0
	s_andn2_b64 s[92:93], s[92:93], exec
	s_mov_b32 s8, 0
	s_waitcnt vmcnt(0) lgkmcnt(0)
	flat_load_dword v3, v[3:4] glc
	s_waitcnt vmcnt(0) lgkmcnt(0)
	buffer_wbinvl1_vol
	v_cmp_eq_u32_e32 vcc, 0, v3
	s_and_b64 s[94:95], vcc, exec
	s_or_b64 s[92:93], s[92:93], s[94:95]
	s_mov_b64 vcc, -1
	s_or_b64 s[90:91], s[90:91], exec
	s_and_saveexec_b64 s[94:95], s[92:93]
	s_cbranch_execz .LBB4_629
.LBB4_633:                              ;   in Loop: Header=BB4_630 Depth=3
	s_sleep 1
	s_trap 2
	ds_read_b64 v[3:4], v0
	s_waitcnt lgkmcnt(0)
	s_andn2_b64 s[90:91], s[90:91], exec
	v_cmp_ge_u64_e32 vcc, v[3:4], v[36:37]
	s_orn2_b64 vcc, vcc, exec
	s_branch .LBB4_629
.LBB4_634:                              ;   in Loop: Header=BB4_576 Depth=2
	s_or_b64 exec, exec, s[78:79]
	s_and_saveexec_b64 s[8:9], s[88:89]
	s_xor_b64 s[8:9], exec, s[8:9]
	s_cbranch_execz .LBB4_636
; %bb.635:                              ;   in Loop: Header=BB4_576 Depth=2
	v_mov_b32_e32 v3, 1
	ds_write_b32 v0, v3
	s_trap 2
.LBB4_636:                              ;   in Loop: Header=BB4_576 Depth=2
	s_or_b64 exec, exec, s[76:77]
	;;#ASMSTART
	s_wakeup
	;;#ASMEND
.LBB4_637:                              ;   in Loop: Header=BB4_576 Depth=2
	s_or_b64 exec, exec, s[74:75]
.LBB4_638:                              ;   in Loop: Header=BB4_576 Depth=2
	s_andn2_saveexec_b64 s[42:43], s[42:43]
	s_cbranch_execz .LBB4_640
; %bb.639:                              ;   in Loop: Header=BB4_576 Depth=2
	;;#ASMSTART
	s_waitcnt lgkmcnt(0) vmcnt(0)
	;;#ASMEND
	s_waitcnt vmcnt(0) lgkmcnt(0)
	s_barrier
.LBB4_640:                              ;   in Loop: Header=BB4_576 Depth=2
	s_or_b64 exec, exec, s[42:43]
	s_or_b64 exec, exec, s[26:27]
	v_cmp_ne_u32_e32 vcc, 0, v0
	s_and_saveexec_b64 s[26:27], vcc
	s_cbranch_execz .LBB4_575
.LBB4_641:                              ;   in Loop: Header=BB4_576 Depth=2
	s_and_saveexec_b64 s[42:43], s[14:15]
	s_cbranch_execz .LBB4_574
; %bb.642:                              ;   in Loop: Header=BB4_576 Depth=2
	buffer_load_dword v3, off, s[0:3], s33 offset:176 ; 4-byte Folded Reload
	buffer_load_dword v4, off, s[0:3], s33 offset:180 ; 4-byte Folded Reload
	v_mov_b32_e32 v0, 1
	s_waitcnt vmcnt(0)
	flat_store_dword v[3:4], v0
	s_branch .LBB4_574
.LBB4_643:                              ;   in Loop: Header=BB4_47 Depth=1
	s_or_b64 exec, exec, s[40:41]
.LBB4_644:                              ;   in Loop: Header=BB4_47 Depth=1
	s_or_b64 exec, exec, s[28:29]
	v_cndmask_b32_e64 v0, 0, 1, s[60:61]
	v_cmp_ne_u32_e64 s[26:27], 1, v0
	s_andn2_b64 vcc, exec, s[60:61]
	s_cbranch_vccnz .LBB4_1413
; %bb.645:                              ;   in Loop: Header=BB4_47 Depth=1
	s_mov_b32 s9, 2
	s_branch .LBB4_648
.LBB4_646:                              ;   in Loop: Header=BB4_648 Depth=2
	s_or_b64 exec, exec, s[42:43]
.LBB4_647:                              ;   in Loop: Header=BB4_648 Depth=2
	s_or_b64 exec, exec, s[40:41]
	s_add_i32 s9, s9, 1
	s_cmp_eq_u32 s9, s50
	s_cbranch_scc1 .LBB4_1413
.LBB4_648:                              ;   Parent Loop BB4_47 Depth=1
                                        ; =>  This Loop Header: Depth=2
                                        ;       Child Loop BB4_651 Depth 3
                                        ;         Child Loop BB4_659 Depth 4
                                        ;         Child Loop BB4_687 Depth 4
	;; [unrolled: 1-line block ×4, first 2 shown]
                                        ;           Child Loop BB4_736 Depth 5
                                        ;           Child Loop BB4_805 Depth 5
                                        ;         Child Loop BB4_944 Depth 4
                                        ;           Child Loop BB4_945 Depth 5
                                        ;           Child Loop BB4_1014 Depth 5
                                        ;         Child Loop BB4_1155 Depth 4
                                        ;         Child Loop BB4_1262 Depth 4
                                        ;           Child Loop BB4_1263 Depth 5
                                        ;           Child Loop BB4_1276 Depth 5
                                        ;         Child Loop BB4_1303 Depth 4
                                        ;         Child Loop BB4_1322 Depth 4
                                        ;       Child Loop BB4_1341 Depth 3
                                        ;         Child Loop BB4_1347 Depth 4
                                        ;         Child Loop BB4_1375 Depth 4
	;; [unrolled: 1-line block ×3, first 2 shown]
	buffer_load_dword v10, off, s[0:3], s33 offset:236 ; 4-byte Folded Reload
	buffer_load_dword v11, off, s[0:3], s33 offset:240 ; 4-byte Folded Reload
	s_sub_i32 s8, s55, s9
	s_cmp_ge_i32 s8, s50
	s_cselect_b32 s28, s50, 0
	s_sub_i32 s8, s8, s28
	s_ashr_i32 s40, s8, 31
	s_waitcnt vmcnt(0)
	v_mad_u64_u32 v[3:4], s[28:29], v10, s8, 0
	v_mul_lo_u32 v0, v11, s8
	v_mul_lo_u32 v8, v10, s40
	v_add3_u32 v4, v4, v8, v0
	buffer_load_dword v8, off, s[0:3], s33 offset:228 ; 4-byte Folded Reload
	buffer_load_dword v9, off, s[0:3], s33 offset:232 ; 4-byte Folded Reload
	s_waitcnt vmcnt(0)
	v_sub_co_u32_e32 v8, vcc, v8, v3
	v_subb_co_u32_e32 v9, vcc, v9, v4, vcc
	v_cmp_lt_i64_e32 vcc, v[10:11], v[8:9]
	v_cndmask_b32_e32 v0, v8, v10, vcc
	v_max_i32_e32 v22, 0, v0
	v_add_u32_e32 v8, 31, v22
	v_lshrrev_b32_e32 v8, 1, v8
	v_and_b32_e32 v8, 0x3ffffff0, v8
	v_cmp_lt_i32_e32 vcc, 0, v0
	v_max_i32_e32 v8, s66, v8
	s_and_b64 s[28:29], s[72:73], vcc
	v_mov_b32_e32 v0, 0
	v_mov_b32_e32 v10, 0
	s_and_saveexec_b64 s[42:43], s[28:29]
	s_cbranch_execz .LBB4_1338
; %bb.649:                              ;   in Loop: Header=BB4_648 Depth=2
	v_lshlrev_b64 v[12:13], 1, v[3:4]
	s_mov_b32 s53, 1
	s_mov_b64 s[76:77], -1
	v_mov_b32_e32 v10, 0
	s_mov_b64 s[74:75], 0
	s_branch .LBB4_651
.LBB4_650:                              ;   in Loop: Header=BB4_651 Depth=3
	s_or_b64 exec, exec, s[28:29]
	v_add_u32_e32 v10, v8, v10
	v_cmp_ge_i32_e32 vcc, v10, v22
	s_xor_b64 s[28:29], s[76:77], -1
	s_or_b64 s[28:29], s[28:29], vcc
	s_and_b64 s[28:29], exec, s[28:29]
	s_or_b64 s[74:75], s[28:29], s[74:75]
	s_mov_b64 s[76:77], 0
	v_mov_b32_e32 v0, s53
	s_mov_b32 s53, 2
	s_andn2_b64 exec, exec, s[74:75]
	s_cbranch_execz .LBB4_1337
.LBB4_651:                              ;   Parent Loop BB4_47 Depth=1
                                        ;     Parent Loop BB4_648 Depth=2
                                        ; =>    This Loop Header: Depth=3
                                        ;         Child Loop BB4_659 Depth 4
                                        ;         Child Loop BB4_687 Depth 4
	;; [unrolled: 1-line block ×4, first 2 shown]
                                        ;           Child Loop BB4_736 Depth 5
                                        ;           Child Loop BB4_805 Depth 5
                                        ;         Child Loop BB4_944 Depth 4
                                        ;           Child Loop BB4_945 Depth 5
                                        ;           Child Loop BB4_1014 Depth 5
                                        ;         Child Loop BB4_1155 Depth 4
                                        ;         Child Loop BB4_1262 Depth 4
                                        ;           Child Loop BB4_1263 Depth 5
                                        ;           Child Loop BB4_1276 Depth 5
                                        ;         Child Loop BB4_1303 Depth 4
                                        ;         Child Loop BB4_1322 Depth 4
	s_and_saveexec_b64 s[28:29], s[4:5]
	s_cbranch_execz .LBB4_653
; %bb.652:                              ;   in Loop: Header=BB4_651 Depth=3
	s_trap 2
	ds_read_b64 v[3:4], v0
	buffer_load_dword v14, off, s[0:3], s33 offset:204 ; 4-byte Folded Reload
	buffer_load_dword v15, off, s[0:3], s33 offset:208 ; 4-byte Folded Reload
	v_ashrrev_i32_e32 v11, 31, v10
	s_waitcnt vmcnt(0)
	v_lshlrev_b64 v[14:15], 1, v[14:15]
	s_waitcnt lgkmcnt(0)
	v_add_co_u32_e32 v0, vcc, v3, v14
	v_addc_co_u32_e32 v3, vcc, v4, v15, vcc
	v_add_co_u32_e32 v0, vcc, v0, v12
	v_addc_co_u32_e32 v9, vcc, v3, v13, vcc
	v_lshlrev_b64 v[3:4], 1, v[10:11]
	v_add_co_u32_e32 v3, vcc, v0, v3
	v_addc_co_u32_e32 v4, vcc, v9, v4, vcc
	ds_write_b64 v0, v[3:4]
	v_mov_b32_e32 v3, v2
	ds_write_b64 v0, v[2:3]
.LBB4_653:                              ;   in Loop: Header=BB4_651 Depth=3
	s_or_b64 exec, exec, s[28:29]
	v_sub_u32_e32 v0, v22, v10
	v_min_i32_e32 v8, v8, v0
	v_and_b32_e32 v0, 12, v5
	v_cmp_ne_u32_e32 vcc, 0, v0
	s_and_saveexec_b64 s[40:41], vcc
	s_cbranch_execz .LBB4_679
; %bb.654:                              ;   in Loop: Header=BB4_651 Depth=3
	v_and_b32_e32 v0, 8, v5
	s_waitcnt lgkmcnt(0)
	v_add_co_u32_e32 v14, vcc, v38, v0
	v_addc_co_u32_e32 v15, vcc, 0, v39, vcc
	v_add_co_u32_e32 v3, vcc, 2, v6
	v_addc_co_u32_e32 v4, vcc, 0, v7, vcc
	v_cmp_lt_u64_e32 vcc, v[14:15], v[3:4]
	s_and_saveexec_b64 s[78:79], vcc
	s_cbranch_execz .LBB4_666
; %bb.655:                              ;   in Loop: Header=BB4_651 Depth=3
	v_and_b32_e32 v7, 64, v5
	s_mov_b32 s8, 0
	v_cmp_eq_u32_e32 vcc, 0, v7
	s_mov_b64 s[88:89], 0
                                        ; implicit-def: $sgpr90_sgpr91
                                        ; implicit-def: $sgpr92_sgpr93
                                        ; implicit-def: $sgpr94_sgpr95
	s_branch .LBB4_659
.LBB4_656:                              ;   in Loop: Header=BB4_659 Depth=4
	s_waitcnt vmcnt(0) lgkmcnt(0)
	v_add_co_u32_e64 v14, s[28:29], v38, v0
	v_addc_co_u32_e64 v15, s[28:29], 0, v39, s[28:29]
	v_cmp_ge_u64_e64 s[28:29], v[14:15], v[3:4]
	s_or_b64 s[36:37], s[36:37], exec
	s_orn2_b64 s[34:35], s[28:29], exec
.LBB4_657:                              ;   in Loop: Header=BB4_659 Depth=4
	s_or_b64 exec, exec, s[48:49]
	s_andn2_b64 s[28:29], s[94:95], exec
	s_and_b64 s[94:95], s[36:37], exec
	s_or_b64 s[94:95], s[28:29], s[94:95]
	s_andn2_b64 s[28:29], s[92:93], exec
	s_and_b64 s[92:93], s[34:35], exec
	s_or_b64 s[92:93], s[28:29], s[92:93]
.LBB4_658:                              ;   in Loop: Header=BB4_659 Depth=4
	s_or_b64 exec, exec, s[30:31]
	s_and_b64 s[28:29], exec, s[92:93]
	s_or_b64 s[88:89], s[28:29], s[88:89]
	s_andn2_b64 s[28:29], s[90:91], exec
	s_and_b64 s[90:91], s[94:95], exec
	s_or_b64 s[90:91], s[28:29], s[90:91]
	s_andn2_b64 exec, exec, s[88:89]
	s_cbranch_execz .LBB4_663
.LBB4_659:                              ;   Parent Loop BB4_47 Depth=1
                                        ;     Parent Loop BB4_648 Depth=2
                                        ;       Parent Loop BB4_651 Depth=3
                                        ; =>      This Inner Loop Header: Depth=4
	s_sleep 1
	s_waitcnt vmcnt(0) lgkmcnt(0)
	flat_load_dwordx2 v[38:39], v[32:33] glc
	s_or_b64 s[94:95], s[94:95], exec
	s_or_b64 s[92:93], s[92:93], exec
                                        ; implicit-def: $vgpr9
	s_and_saveexec_b64 s[30:31], vcc
	s_cbranch_execz .LBB4_658
; %bb.660:                              ;   in Loop: Header=BB4_659 Depth=4
	s_cmpk_lt_i32 s8, 0x270f
	s_cselect_b64 s[38:39], -1, 0
	s_cmpk_gt_i32 s8, 0x270e
	s_mov_b64 s[34:35], -1
	s_cbranch_scc0 .LBB4_662
; %bb.661:                              ;   in Loop: Header=BB4_659 Depth=4
	s_trap 2
	ds_read_b64 v[14:15], v0
	s_andn2_b64 s[38:39], s[38:39], exec
	s_mov_b32 s8, 0
	s_mov_b64 s[36:37], 0
	s_waitcnt vmcnt(0) lgkmcnt(0)
	flat_load_dword v9, v[14:15] glc
	s_waitcnt vmcnt(0) lgkmcnt(0)
	buffer_wbinvl1_vol
	v_cmp_eq_u32_e64 s[28:29], 0, v9
	s_and_b64 s[28:29], s[28:29], exec
	s_or_b64 s[38:39], s[38:39], s[28:29]
	s_and_saveexec_b64 s[48:49], s[38:39]
	s_cbranch_execz .LBB4_657
	s_branch .LBB4_656
.LBB4_662:                              ;   in Loop: Header=BB4_659 Depth=4
	s_add_i32 s8, s8, 1
	s_mov_b64 s[36:37], -1
                                        ; implicit-def: $vgpr9
	s_and_saveexec_b64 s[48:49], s[38:39]
	s_cbranch_execz .LBB4_657
	s_branch .LBB4_656
.LBB4_663:                              ;   in Loop: Header=BB4_651 Depth=3
	s_or_b64 exec, exec, s[88:89]
	s_xor_b64 s[28:29], s[90:91], -1
	s_and_saveexec_b64 s[88:89], s[28:29]
	s_xor_b64 s[28:29], exec, s[88:89]
	s_cbranch_execz .LBB4_665
; %bb.664:                              ;   in Loop: Header=BB4_651 Depth=3
	v_or_b32_e32 v5, 64, v5
	s_waitcnt lgkmcnt(0)
	ds_write_b32 v0, v9
	s_trap 2
.LBB4_665:                              ;   in Loop: Header=BB4_651 Depth=3
	s_or_b64 exec, exec, s[28:29]
.LBB4_666:                              ;   in Loop: Header=BB4_651 Depth=3
	s_or_b64 exec, exec, s[78:79]
	v_and_b32_e32 v7, 0x108, v5
	v_cmp_ne_u32_e32 vcc, s45, v7
	;;#ASMSTART
	s_wakeup
	;;#ASMEND
                                        ; implicit-def: $vgpr14_vgpr15
	s_and_saveexec_b64 s[28:29], vcc
	s_xor_b64 s[28:29], exec, s[28:29]
; %bb.667:                              ;   in Loop: Header=BB4_651 Depth=3
	v_and_b32_e32 v14, 7, v6
	v_mov_b32_e32 v15, v2
                                        ; implicit-def: $vgpr6_vgpr7
; %bb.668:                              ;   in Loop: Header=BB4_651 Depth=3
	s_andn2_saveexec_b64 s[28:29], s[28:29]
	s_cbranch_execz .LBB4_670
; %bb.669:                              ;   in Loop: Header=BB4_651 Depth=3
	buffer_load_dword v15, off, s[0:3], s33 offset:160 ; 4-byte Folded Reload
	buffer_load_dword v16, off, s[0:3], s33 offset:164 ; 4-byte Folded Reload
	;; [unrolled: 1-line block ×4, first 2 shown]
	v_and_b32_e32 v14, 7, v6
	v_ashrrev_i32_e32 v9, 31, v8
	s_waitcnt vmcnt(0)
	v_mad_u64_u32 v[6:7], s[78:79], v14, 24, v[15:16]
	v_lshlrev_b64 v[16:17], 1, v[8:9]
	v_mov_b32_e32 v15, v2
	flat_store_dwordx2 v[6:7], v[16:17] offset:8
.LBB4_670:                              ;   in Loop: Header=BB4_651 Depth=3
	s_or_b64 exec, exec, s[28:29]
	v_and_b32_e32 v6, 0x100, v5
	v_cmp_ne_u32_e32 vcc, 0, v6
	s_mov_b64 s[28:29], -1
                                        ; implicit-def: $vgpr16_vgpr17
	s_and_saveexec_b64 s[78:79], vcc
	s_cbranch_execz .LBB4_674
; %bb.671:                              ;   in Loop: Header=BB4_651 Depth=3
	buffer_load_dword v16, off, s[0:3], s33 offset:160 ; 4-byte Folded Reload
	buffer_load_dword v17, off, s[0:3], s33 offset:164 ; 4-byte Folded Reload
	;; [unrolled: 1-line block ×4, first 2 shown]
	s_waitcnt vmcnt(0)
	v_mad_u64_u32 v[18:19], s[28:29], v14, 24, v[16:17]
                                        ; implicit-def: $vgpr16_vgpr17
	v_mov_b32_e32 v6, v19
	v_mad_u64_u32 v[6:7], s[28:29], v15, 24, v[6:7]
	v_mov_b32_e32 v19, v6
	flat_load_dword v6, v[18:19]
	s_waitcnt vmcnt(0) lgkmcnt(0)
	v_cmp_ne_u32_e32 vcc, 1, v6
	v_cmp_eq_u32_e64 s[28:29], 1, v6
	s_and_saveexec_b64 s[88:89], s[28:29]
	s_cbranch_execz .LBB4_673
; %bb.672:                              ;   in Loop: Header=BB4_651 Depth=3
	flat_load_dword v6, v[18:19] offset:4 glc
	s_waitcnt vmcnt(0) lgkmcnt(0)
	v_ashrrev_i32_e32 v7, 31, v6
	v_lshrrev_b64 v[16:17], 1, v[6:7]
.LBB4_673:                              ;   in Loop: Header=BB4_651 Depth=3
	s_or_b64 exec, exec, s[88:89]
	s_orn2_b64 s[28:29], vcc, exec
.LBB4_674:                              ;   in Loop: Header=BB4_651 Depth=3
	s_or_b64 exec, exec, s[78:79]
	s_and_saveexec_b64 s[78:79], s[28:29]
	s_cbranch_execz .LBB4_676
; %bb.675:                              ;   in Loop: Header=BB4_651 Depth=3
	buffer_load_dword v9, off, s[0:3], s33 offset:184 ; 4-byte Folded Reload
	buffer_load_dword v7, off, s[0:3], s33 offset:196 ; 4-byte Folded Reload
	s_waitcnt vmcnt(0)
	v_mul_lo_u32 v6, v15, v9
	v_mul_lo_u32 v7, v14, v7
	v_mad_u64_u32 v[16:17], s[28:29], v14, v9, 0
	v_add3_u32 v17, v17, v7, v6
.LBB4_676:                              ;   in Loop: Header=BB4_651 Depth=3
	s_or_b64 exec, exec, s[78:79]
	buffer_load_dword v14, off, s[0:3], s33 offset:152 ; 4-byte Folded Reload
	buffer_load_dword v15, off, s[0:3], s33 offset:156 ; 4-byte Folded Reload
	v_cmp_eq_u32_e32 vcc, 0, v0
	v_mov_b32_e32 v0, 0xc8
	v_mov_b32_e32 v6, 0x90
	v_cndmask_b32_e32 v0, v0, v6, vcc
	v_lshlrev_b64 v[6:7], 1, v[16:17]
	v_add_u32_e32 v0, v0, v0
	s_waitcnt vmcnt(0)
	v_add_co_u32_e32 v6, vcc, v14, v6
	v_addc_co_u32_e32 v7, vcc, v15, v7, vcc
	ds_write_b64 v0, v[6:7] offset:584
	v_and_b32_e32 v0, 0x2000, v5
	v_cmp_ne_u32_e32 vcc, 0, v0
	s_and_saveexec_b64 s[28:29], vcc
	s_cbranch_execz .LBB4_678
; %bb.677:                              ;   in Loop: Header=BB4_651 Depth=3
	ds_read_b64 v[6:7], v0 offset:872
	s_waitcnt lgkmcnt(0)
	v_add_co_u32_e32 v6, vcc, 1, v6
	v_addc_co_u32_e32 v7, vcc, 0, v7, vcc
	ds_write_b64 v0, v[6:7] offset:872
.LBB4_678:                              ;   in Loop: Header=BB4_651 Depth=3
	s_or_b64 exec, exec, s[28:29]
	v_mov_b32_e32 v7, v4
	v_mov_b32_e32 v6, v3
.LBB4_679:                              ;   in Loop: Header=BB4_651 Depth=3
	s_or_b64 exec, exec, s[40:41]
	s_and_saveexec_b64 s[28:29], s[10:11]
	s_cbranch_execz .LBB4_698
; %bb.680:                              ;   in Loop: Header=BB4_651 Depth=3
	s_and_saveexec_b64 s[40:41], s[56:57]
	s_xor_b64 s[40:41], exec, s[40:41]
	s_cbranch_execz .LBB4_695
; %bb.681:                              ;   in Loop: Header=BB4_651 Depth=3
	s_and_saveexec_b64 s[78:79], s[16:17]
	s_cbranch_execz .LBB4_694
; %bb.682:                              ;   in Loop: Header=BB4_651 Depth=3
	s_mov_b64 s[90:91], exec
	v_mbcnt_lo_u32_b32 v0, s90, 0
	v_mbcnt_hi_u32_b32 v0, s91, v0
	v_cmp_eq_u32_e32 vcc, 0, v0
	s_waitcnt vmcnt(0) lgkmcnt(0)
	buffer_wbinvl1_vol
	s_and_saveexec_b64 s[88:89], vcc
	s_cbranch_execz .LBB4_684
; %bb.683:                              ;   in Loop: Header=BB4_651 Depth=3
	s_bcnt1_i32_b64 s8, s[90:91]
	v_mov_b32_e32 v3, s8
	v_mov_b32_e32 v4, v2
	ds_add_u64 v0, v[3:4]
	s_trap 2
.LBB4_684:                              ;   in Loop: Header=BB4_651 Depth=3
	s_or_b64 exec, exec, s[88:89]
	s_trap 2
	ds_read_b64 v[3:4], v0
	s_waitcnt lgkmcnt(0)
	v_add_co_u32_e32 v36, vcc, v36, v59
	v_addc_co_u32_e32 v37, vcc, 0, v37, vcc
	v_cmp_lt_u64_e32 vcc, v[3:4], v[36:37]
	s_and_saveexec_b64 s[88:89], vcc
	s_cbranch_execz .LBB4_693
; %bb.685:                              ;   in Loop: Header=BB4_651 Depth=3
	s_mov_b32 s8, 0
	s_mov_b64 s[90:91], 0
                                        ; implicit-def: $sgpr92_sgpr93
                                        ; implicit-def: $sgpr94_sgpr95
	s_branch .LBB4_687
.LBB4_686:                              ;   in Loop: Header=BB4_687 Depth=4
	s_or_b64 exec, exec, s[34:35]
	s_and_b64 vcc, exec, vcc
	s_or_b64 s[90:91], vcc, s[90:91]
	s_andn2_b64 s[92:93], s[92:93], exec
	s_and_b64 vcc, s[94:95], exec
	s_or_b64 s[92:93], s[92:93], vcc
	s_andn2_b64 exec, exec, s[90:91]
	s_cbranch_execz .LBB4_691
.LBB4_687:                              ;   Parent Loop BB4_47 Depth=1
                                        ;     Parent Loop BB4_648 Depth=2
                                        ;       Parent Loop BB4_651 Depth=3
                                        ; =>      This Inner Loop Header: Depth=4
	s_add_i32 s8, s8, 1
	s_cmpk_lg_i32 s8, 0x2710
	s_cselect_b64 s[30:31], -1, 0
	s_and_b64 vcc, exec, s[30:31]
	s_cbranch_vccz .LBB4_689
; %bb.688:                              ;   in Loop: Header=BB4_687 Depth=4
	s_mov_b64 vcc, -1
	s_or_b64 s[94:95], s[94:95], exec
	s_and_saveexec_b64 s[34:35], s[30:31]
	s_cbranch_execz .LBB4_686
	s_branch .LBB4_690
.LBB4_689:                              ;   in Loop: Header=BB4_687 Depth=4
	s_trap 2
	ds_read_b64 v[3:4], v0
	s_andn2_b64 s[30:31], s[30:31], exec
	s_mov_b32 s8, 0
	s_waitcnt lgkmcnt(0)
	flat_load_dword v0, v[3:4] glc
	s_waitcnt vmcnt(0) lgkmcnt(0)
	buffer_wbinvl1_vol
	v_cmp_eq_u32_e32 vcc, 0, v0
	s_and_b64 vcc, vcc, exec
	s_or_b64 s[30:31], s[30:31], vcc
	s_mov_b64 vcc, -1
	s_or_b64 s[94:95], s[94:95], exec
	s_and_saveexec_b64 s[34:35], s[30:31]
	s_cbranch_execz .LBB4_686
.LBB4_690:                              ;   in Loop: Header=BB4_687 Depth=4
	s_sleep 1
	s_trap 2
	ds_read_b64 v[3:4], v0
	s_waitcnt lgkmcnt(0)
	s_andn2_b64 s[94:95], s[94:95], exec
	v_cmp_ge_u64_e32 vcc, v[3:4], v[36:37]
	s_orn2_b64 vcc, vcc, exec
	s_branch .LBB4_686
.LBB4_691:                              ;   in Loop: Header=BB4_651 Depth=3
	s_or_b64 exec, exec, s[90:91]
	s_and_saveexec_b64 s[90:91], s[92:93]
	s_xor_b64 s[90:91], exec, s[90:91]
	s_cbranch_execz .LBB4_693
; %bb.692:                              ;   in Loop: Header=BB4_651 Depth=3
	v_mov_b32_e32 v0, 1
	ds_write_b32 v0, v0
	s_trap 2
.LBB4_693:                              ;   in Loop: Header=BB4_651 Depth=3
	s_or_b64 exec, exec, s[88:89]
	;;#ASMSTART
	s_wakeup
	;;#ASMEND
.LBB4_694:                              ;   in Loop: Header=BB4_651 Depth=3
	s_or_b64 exec, exec, s[78:79]
.LBB4_695:                              ;   in Loop: Header=BB4_651 Depth=3
	s_andn2_saveexec_b64 s[40:41], s[40:41]
	s_cbranch_execz .LBB4_697
; %bb.696:                              ;   in Loop: Header=BB4_651 Depth=3
	s_waitcnt vmcnt(0) lgkmcnt(0)
	buffer_wbinvl1_vol
	s_barrier
.LBB4_697:                              ;   in Loop: Header=BB4_651 Depth=3
	s_or_b64 exec, exec, s[40:41]
.LBB4_698:                              ;   in Loop: Header=BB4_651 Depth=3
	s_or_b64 exec, exec, s[28:29]
	s_trap 2
	ds_read_b32 v0, v0
	v_and_b32_e32 v3, 0x4000, v5
	v_cmp_ne_u32_e32 vcc, 0, v3
	s_xor_b64 s[28:29], s[6:7], -1
	s_and_b64 s[40:41], s[28:29], vcc
	s_and_saveexec_b64 s[28:29], s[40:41]
	s_cbranch_execz .LBB4_717
; %bb.699:                              ;   in Loop: Header=BB4_651 Depth=3
	s_and_saveexec_b64 s[40:41], s[56:57]
	s_xor_b64 s[40:41], exec, s[40:41]
	s_cbranch_execz .LBB4_714
; %bb.700:                              ;   in Loop: Header=BB4_651 Depth=3
	s_and_saveexec_b64 s[78:79], s[16:17]
	s_cbranch_execz .LBB4_713
; %bb.701:                              ;   in Loop: Header=BB4_651 Depth=3
	s_mov_b64 s[90:91], exec
	v_mbcnt_lo_u32_b32 v3, s90, 0
	v_mbcnt_hi_u32_b32 v3, s91, v3
	v_cmp_eq_u32_e32 vcc, 0, v3
	s_waitcnt vmcnt(0) lgkmcnt(0)
	buffer_wbinvl1_vol
	s_and_saveexec_b64 s[88:89], vcc
	s_cbranch_execz .LBB4_703
; %bb.702:                              ;   in Loop: Header=BB4_651 Depth=3
	s_bcnt1_i32_b64 s8, s[90:91]
	v_mov_b32_e32 v3, s8
	v_mov_b32_e32 v4, v2
	ds_add_u64 v0, v[3:4]
	s_trap 2
.LBB4_703:                              ;   in Loop: Header=BB4_651 Depth=3
	s_or_b64 exec, exec, s[88:89]
	s_trap 2
	ds_read_b64 v[3:4], v0
	s_waitcnt lgkmcnt(0)
	v_add_co_u32_e32 v36, vcc, v36, v59
	v_addc_co_u32_e32 v37, vcc, 0, v37, vcc
	v_cmp_lt_u64_e32 vcc, v[3:4], v[36:37]
	s_and_saveexec_b64 s[88:89], vcc
	s_cbranch_execz .LBB4_712
; %bb.704:                              ;   in Loop: Header=BB4_651 Depth=3
	s_mov_b32 s8, 0
	s_mov_b64 s[90:91], 0
                                        ; implicit-def: $sgpr92_sgpr93
                                        ; implicit-def: $sgpr94_sgpr95
	s_branch .LBB4_706
.LBB4_705:                              ;   in Loop: Header=BB4_706 Depth=4
	s_or_b64 exec, exec, s[34:35]
	s_and_b64 vcc, exec, vcc
	s_or_b64 s[90:91], vcc, s[90:91]
	s_andn2_b64 s[92:93], s[92:93], exec
	s_and_b64 vcc, s[94:95], exec
	s_or_b64 s[92:93], s[92:93], vcc
	s_andn2_b64 exec, exec, s[90:91]
	s_cbranch_execz .LBB4_710
.LBB4_706:                              ;   Parent Loop BB4_47 Depth=1
                                        ;     Parent Loop BB4_648 Depth=2
                                        ;       Parent Loop BB4_651 Depth=3
                                        ; =>      This Inner Loop Header: Depth=4
	s_add_i32 s8, s8, 1
	s_cmpk_lg_i32 s8, 0x2710
	s_cselect_b64 s[30:31], -1, 0
	s_and_b64 vcc, exec, s[30:31]
	s_cbranch_vccz .LBB4_708
; %bb.707:                              ;   in Loop: Header=BB4_706 Depth=4
	s_mov_b64 vcc, -1
	s_or_b64 s[94:95], s[94:95], exec
	s_and_saveexec_b64 s[34:35], s[30:31]
	s_cbranch_execz .LBB4_705
	s_branch .LBB4_709
.LBB4_708:                              ;   in Loop: Header=BB4_706 Depth=4
	s_trap 2
	ds_read_b64 v[3:4], v0
	s_andn2_b64 s[30:31], s[30:31], exec
	s_mov_b32 s8, 0
	s_waitcnt lgkmcnt(0)
	flat_load_dword v3, v[3:4] glc
	s_waitcnt vmcnt(0) lgkmcnt(0)
	buffer_wbinvl1_vol
	v_cmp_eq_u32_e32 vcc, 0, v3
	s_and_b64 vcc, vcc, exec
	s_or_b64 s[30:31], s[30:31], vcc
	s_mov_b64 vcc, -1
	s_or_b64 s[94:95], s[94:95], exec
	s_and_saveexec_b64 s[34:35], s[30:31]
	s_cbranch_execz .LBB4_705
.LBB4_709:                              ;   in Loop: Header=BB4_706 Depth=4
	s_sleep 1
	s_trap 2
	ds_read_b64 v[3:4], v0
	s_waitcnt lgkmcnt(0)
	s_andn2_b64 s[94:95], s[94:95], exec
	v_cmp_ge_u64_e32 vcc, v[3:4], v[36:37]
	s_orn2_b64 vcc, vcc, exec
	s_branch .LBB4_705
.LBB4_710:                              ;   in Loop: Header=BB4_651 Depth=3
	s_or_b64 exec, exec, s[90:91]
	s_and_saveexec_b64 s[90:91], s[92:93]
	s_xor_b64 s[90:91], exec, s[90:91]
	s_cbranch_execz .LBB4_712
; %bb.711:                              ;   in Loop: Header=BB4_651 Depth=3
	v_mov_b32_e32 v3, 1
	ds_write_b32 v0, v3
	s_trap 2
.LBB4_712:                              ;   in Loop: Header=BB4_651 Depth=3
	s_or_b64 exec, exec, s[88:89]
	;;#ASMSTART
	s_wakeup
	;;#ASMEND
.LBB4_713:                              ;   in Loop: Header=BB4_651 Depth=3
	s_or_b64 exec, exec, s[78:79]
.LBB4_714:                              ;   in Loop: Header=BB4_651 Depth=3
	s_andn2_saveexec_b64 s[40:41], s[40:41]
	s_cbranch_execz .LBB4_716
; %bb.715:                              ;   in Loop: Header=BB4_651 Depth=3
	s_waitcnt vmcnt(0) lgkmcnt(0)
	buffer_wbinvl1_vol
	s_barrier
.LBB4_716:                              ;   in Loop: Header=BB4_651 Depth=3
	s_or_b64 exec, exec, s[40:41]
.LBB4_717:                              ;   in Loop: Header=BB4_651 Depth=3
	s_or_b64 exec, exec, s[28:29]
	s_trap 2
	s_waitcnt lgkmcnt(0)
	ds_read_b64 v[14:15], v0
	s_waitcnt lgkmcnt(0)
	v_cmp_eq_u64_e32 vcc, 0, v[14:15]
	s_cbranch_vccnz .LBB4_725
; %bb.718:                              ;   in Loop: Header=BB4_651 Depth=3
	s_trap 2
	ds_read_b64 v[16:17], v0
	s_waitcnt lgkmcnt(0)
	v_cmp_eq_u64_e32 vcc, 0, v[16:17]
	s_cbranch_vccnz .LBB4_725
; %bb.719:                              ;   in Loop: Header=BB4_651 Depth=3
	s_mov_b64 s[40:41], -1
	s_and_saveexec_b64 s[28:29], s[22:23]
	s_cbranch_execz .LBB4_721
; %bb.720:                              ;   in Loop: Header=BB4_651 Depth=3
	ds_read_b32 v3, v0 offset:720
	s_waitcnt lgkmcnt(0)
	v_and_b32_e32 v3, 15, v3
	v_cmp_eq_u32_e32 vcc, 0, v3
	s_orn2_b64 s[40:41], vcc, exec
.LBB4_721:                              ;   in Loop: Header=BB4_651 Depth=3
	s_or_b64 exec, exec, s[28:29]
	s_and_saveexec_b64 s[28:29], s[20:21]
	s_cbranch_execz .LBB4_723
; %bb.722:                              ;   in Loop: Header=BB4_651 Depth=3
	ds_read_b32 v3, v0 offset:784
	s_waitcnt lgkmcnt(0)
	v_and_b32_e32 v3, 15, v3
	v_cmp_eq_u32_e32 vcc, 0, v3
	s_and_b64 s[78:79], s[40:41], vcc
	s_andn2_b64 s[40:41], s[40:41], exec
	s_and_b64 s[78:79], s[78:79], exec
	s_or_b64 s[40:41], s[40:41], s[78:79]
.LBB4_723:                              ;   in Loop: Header=BB4_651 Depth=3
	s_or_b64 exec, exec, s[28:29]
	s_xor_b64 s[40:41], s[40:41], -1
	v_cmp_eq_u32_e64 s[28:29], 0, v0
	v_cndmask_b32_e64 v0, 0, 1, s[40:41]
	s_mov_b64 s[88:89], -1
	v_cmp_ne_u32_e32 vcc, 0, v0
	s_cbranch_vccz .LBB4_730
; %bb.724:                              ;   in Loop: Header=BB4_651 Depth=3
	s_mov_b64 s[88:89], 0
	s_mov_b64 s[78:79], -1
	s_branch .LBB4_731
.LBB4_725:                              ;   in Loop: Header=BB4_651 Depth=3
	s_mov_b64 s[28:29], 0
	s_and_saveexec_b64 s[40:41], s[10:11]
	s_cbranch_execnz .LBB4_1296
.LBB4_726:                              ;   in Loop: Header=BB4_651 Depth=3
	s_or_b64 exec, exec, s[40:41]
                                        ; implicit-def: $vgpr0
	s_and_saveexec_b64 s[40:41], s[24:25]
	s_xor_b64 s[40:41], exec, s[40:41]
	s_cbranch_execz .LBB4_1314
.LBB4_727:                              ;   in Loop: Header=BB4_651 Depth=3
	v_and_b32_e32 v3, 16, v5
	v_cmp_ne_u32_e32 vcc, 0, v3
	s_waitcnt vmcnt(0)
	v_and_b32_e32 v0, 16, v5
	s_and_b64 s[78:79], vcc, s[28:29]
	s_and_saveexec_b64 s[28:29], s[78:79]
	s_cbranch_execz .LBB4_729
; %bb.728:                              ;   in Loop: Header=BB4_651 Depth=3
	v_mov_b32_e32 v0, 1
	s_waitcnt lgkmcnt(0)
	buffer_wbinvl1_vol
.LBB4_729:                              ;   in Loop: Header=BB4_651 Depth=3
	s_or_b64 exec, exec, s[28:29]
	s_andn2_saveexec_b64 s[28:29], s[40:41]
	s_cbranch_execz .LBB4_1333
	s_branch .LBB4_1315
.LBB4_730:                              ;   in Loop: Header=BB4_651 Depth=3
	s_mov_b64 s[78:79], 0
.LBB4_731:                              ;   in Loop: Header=BB4_651 Depth=3
	v_cndmask_b32_e64 v9, 0, v8, s[28:29]
	v_lshlrev_b32_e32 v11, 1, v9
	s_andn2_b64 vcc, exec, s[88:89]
	v_mov_b32_e32 v27, 0
	s_cbranch_vccnz .LBB4_872
; %bb.732:                              ;   in Loop: Header=BB4_651 Depth=3
	v_ashrrev_i32_e32 v0, 31, v11
	v_lshrrev_b32_e32 v0, 22, v0
	v_add_u32_e32 v0, v11, v0
	buffer_load_dword v21, off, s[0:3], s33 offset:212 ; 4-byte Folded Reload
	v_ashrrev_i32_e32 v20, 10, v0
	v_and_b32_e32 v4, 0xfffffc00, v0
	s_trap 2
	ds_read_b64 v[18:19], v0
	buffer_load_dword v0, off, s[0:3], s33 offset:220 ; 4-byte Folded Reload
	v_sub_u32_e32 v23, v11, v4
	v_cmp_lt_i32_e64 s[28:29], 15, v23
	s_mov_b64 s[90:91], 0
	s_waitcnt vmcnt(0)
	v_sub_u32_e32 v3, v11, v21
	s_waitcnt vmcnt(0)
	v_sub_u32_e32 v0, v20, v0
	v_addc_co_u32_e64 v24, vcc, 0, v0, s[28:29]
	v_add_co_u32_e32 v20, vcc, v16, v21
	v_addc_co_u32_e32 v21, vcc, 0, v17, vcc
	v_cmp_lt_i32_e32 vcc, 15, v3
	s_and_saveexec_b64 s[88:89], vcc
	s_cbranch_execz .LBB4_874
; %bb.733:                              ;   in Loop: Header=BB4_651 Depth=3
	buffer_load_dword v27, off, s[0:3], s33 offset:212 ; 4-byte Folded Reload
	s_trap 2
	ds_read_b32 v0, v0
	s_mov_b64 s[94:95], 0
                                        ; implicit-def: $sgpr92_sgpr93
	s_waitcnt lgkmcnt(0)
	v_lshlrev_b32_e32 v29, 16, v0
	s_waitcnt vmcnt(0)
	v_add_co_u32_e32 v25, vcc, v14, v27
	v_addc_co_u32_e32 v26, vcc, 0, v15, vcc
	v_add_co_u32_e32 v27, vcc, v18, v27
	v_addc_co_u32_e32 v28, vcc, 0, v19, vcc
	s_branch .LBB4_735
.LBB4_734:                              ;   in Loop: Header=BB4_735 Depth=4
	s_or_b64 exec, exec, s[40:41]
	v_cmp_gt_i32_e32 vcc, 16, v3
	s_or_b64 s[90:91], vcc, s[90:91]
	s_andn2_b64 s[40:41], s[92:93], exec
	s_and_b64 s[92:93], s[94:95], exec
	s_or_b64 s[92:93], s[40:41], s[92:93]
	s_andn2_b64 exec, exec, s[90:91]
	s_cbranch_execz .LBB4_873
.LBB4_735:                              ;   Parent Loop BB4_47 Depth=1
                                        ;     Parent Loop BB4_648 Depth=2
                                        ;       Parent Loop BB4_651 Depth=3
                                        ; =>      This Loop Header: Depth=4
                                        ;           Child Loop BB4_736 Depth 5
                                        ;           Child Loop BB4_805 Depth 5
	s_lshr_b32 s8, s33, 6
	s_add_i32 s8, s8, 64
	s_mov_b64 s[30:31], -1
	s_mov_b64 s[34:35], 0
.LBB4_736:                              ;   Parent Loop BB4_47 Depth=1
                                        ;     Parent Loop BB4_648 Depth=2
                                        ;       Parent Loop BB4_651 Depth=3
                                        ;         Parent Loop BB4_735 Depth=4
                                        ; =>        This Inner Loop Header: Depth=5
	s_cmp_eq_u32 s34, 1
	s_cselect_b64 s[40:41], -1, 0
	v_cndmask_b32_e64 v31, v26, v28, s[40:41]
	v_cndmask_b32_e64 v30, v25, v27, s[40:41]
	global_load_dwordx4 v[50:53], v[30:31], off glc slc
	v_mov_b32_e32 v0, s8
	s_cmp_eq_u32 s34, 0
	s_mov_b64 s[34:35], 1
	s_mov_b32 s8, s68
	s_waitcnt vmcnt(0)
	buffer_store_dword v51, v0, s[0:3], 0 offen offset:4
	buffer_store_dword v50, v0, s[0:3], 0 offen
	buffer_store_dword v53, v0, s[0:3], 0 offen offset:12
	buffer_store_dword v52, v0, s[0:3], 0 offen offset:8
	v_add_co_u32_e32 v0, vcc, s52, v30
	v_addc_co_u32_e32 v30, vcc, 0, v31, vcc
	s_cselect_b64 vcc, -1, 0
	v_cndmask_b32_e32 v26, v26, v30, vcc
	v_cndmask_b32_e32 v25, v25, v0, vcc
	v_cndmask_b32_e64 v28, v28, v30, s[40:41]
	v_cndmask_b32_e64 v27, v27, v0, s[40:41]
	s_and_b64 vcc, exec, s[30:31]
	s_mov_b64 s[30:31], 0
	s_cbranch_vccnz .LBB4_736
; %bb.737:                              ;   in Loop: Header=BB4_735 Depth=4
	s_and_saveexec_b64 s[40:41], s[94:95]
	s_cbranch_execz .LBB4_803
; %bb.738:                              ;   in Loop: Header=BB4_735 Depth=4
	buffer_load_dword v35, off, s[0:3], s33 offset:96
	buffer_load_dword v31, off, s[0:3], s33 offset:100
	;; [unrolled: 1-line block ×4, first 2 shown]
	s_waitcnt vmcnt(3)
	v_lshlrev_b32_e32 v34, 16, v35
	v_mul_f32_e32 v50, v29, v34
	v_and_b32_e32 v34, 0x7f800000, v50
	v_cmp_ne_u32_e32 vcc, s46, v34
                                        ; implicit-def: $vgpr34
	s_and_saveexec_b64 s[94:95], vcc
	s_xor_b64 s[94:95], exec, s[94:95]
; %bb.739:                              ;   in Loop: Header=BB4_735 Depth=4
	v_bfe_u32 v34, v50, 16, 1
	v_add3_u32 v34, v50, v34, s47
                                        ; implicit-def: $vgpr50
; %bb.740:                              ;   in Loop: Header=BB4_735 Depth=4
	s_andn2_saveexec_b64 s[94:95], s[94:95]
; %bb.741:                              ;   in Loop: Header=BB4_735 Depth=4
	v_or_b32_e32 v34, 0x10000, v50
	v_cmp_eq_u32_sdwa vcc, v50, v2 src0_sel:WORD_0 src1_sel:DWORD
	v_cndmask_b32_e32 v34, v34, v50, vcc
; %bb.742:                              ;   in Loop: Header=BB4_735 Depth=4
	s_or_b64 exec, exec, s[94:95]
	v_and_b32_e32 v35, 0xffff0000, v35
	v_mul_f32_e32 v35, v29, v35
	v_and_b32_e32 v48, 0x7f800000, v35
	v_cmp_ne_u32_e32 vcc, s46, v48
                                        ; implicit-def: $vgpr52
	s_and_saveexec_b64 s[94:95], vcc
	s_xor_b64 s[94:95], exec, s[94:95]
; %bb.743:                              ;   in Loop: Header=BB4_735 Depth=4
	v_bfe_u32 v48, v35, 16, 1
	v_add3_u32 v52, v35, v48, s47
                                        ; implicit-def: $vgpr35
; %bb.744:                              ;   in Loop: Header=BB4_735 Depth=4
	s_andn2_saveexec_b64 s[94:95], s[94:95]
; %bb.745:                              ;   in Loop: Header=BB4_735 Depth=4
	v_or_b32_e32 v48, 0x10000, v35
	v_cmp_eq_u32_sdwa vcc, v35, v2 src0_sel:WORD_0 src1_sel:DWORD
	v_cndmask_b32_e32 v52, v48, v35, vcc
; %bb.746:                              ;   in Loop: Header=BB4_735 Depth=4
	s_or_b64 exec, exec, s[94:95]
	s_waitcnt vmcnt(2)
	v_lshlrev_b32_e32 v35, 16, v31
	v_mul_f32_e32 v35, v29, v35
	v_and_b32_e32 v48, 0x7f800000, v35
	v_cmp_ne_u32_e32 vcc, s46, v48
                                        ; implicit-def: $vgpr51
	s_and_saveexec_b64 s[94:95], vcc
	s_xor_b64 s[94:95], exec, s[94:95]
; %bb.747:                              ;   in Loop: Header=BB4_735 Depth=4
	v_bfe_u32 v48, v35, 16, 1
	v_add3_u32 v51, v35, v48, s47
                                        ; implicit-def: $vgpr35
; %bb.748:                              ;   in Loop: Header=BB4_735 Depth=4
	s_andn2_saveexec_b64 s[94:95], s[94:95]
; %bb.749:                              ;   in Loop: Header=BB4_735 Depth=4
	v_or_b32_e32 v48, 0x10000, v35
	v_cmp_eq_u32_sdwa vcc, v35, v2 src0_sel:WORD_0 src1_sel:DWORD
	v_cndmask_b32_e32 v51, v48, v35, vcc
; %bb.750:                              ;   in Loop: Header=BB4_735 Depth=4
	s_or_b64 exec, exec, s[94:95]
	v_and_b32_e32 v31, 0xffff0000, v31
	v_mul_f32_e32 v31, v29, v31
	v_and_b32_e32 v35, 0x7f800000, v31
	v_cmp_ne_u32_e32 vcc, s46, v35
                                        ; implicit-def: $vgpr35
	s_and_saveexec_b64 s[94:95], vcc
	s_xor_b64 s[94:95], exec, s[94:95]
; %bb.751:                              ;   in Loop: Header=BB4_735 Depth=4
	v_bfe_u32 v35, v31, 16, 1
	v_add3_u32 v35, v31, v35, s47
                                        ; implicit-def: $vgpr31
; %bb.752:                              ;   in Loop: Header=BB4_735 Depth=4
	s_andn2_saveexec_b64 s[94:95], s[94:95]
; %bb.753:                              ;   in Loop: Header=BB4_735 Depth=4
	v_or_b32_e32 v35, 0x10000, v31
	v_cmp_eq_u32_sdwa vcc, v31, v2 src0_sel:WORD_0 src1_sel:DWORD
	v_cndmask_b32_e32 v35, v35, v31, vcc
; %bb.754:                              ;   in Loop: Header=BB4_735 Depth=4
	s_or_b64 exec, exec, s[94:95]
	s_waitcnt vmcnt(1)
	v_lshlrev_b32_e32 v31, 16, v30
	v_mul_f32_e32 v31, v29, v31
	v_and_b32_e32 v48, 0x7f800000, v31
	v_cmp_ne_u32_e32 vcc, s46, v48
                                        ; implicit-def: $vgpr50
	s_and_saveexec_b64 s[94:95], vcc
	s_xor_b64 s[94:95], exec, s[94:95]
; %bb.755:                              ;   in Loop: Header=BB4_735 Depth=4
	v_bfe_u32 v48, v31, 16, 1
	v_add3_u32 v50, v31, v48, s47
                                        ; implicit-def: $vgpr31
; %bb.756:                              ;   in Loop: Header=BB4_735 Depth=4
	s_andn2_saveexec_b64 s[94:95], s[94:95]
; %bb.757:                              ;   in Loop: Header=BB4_735 Depth=4
	v_or_b32_e32 v48, 0x10000, v31
	v_cmp_eq_u32_sdwa vcc, v31, v2 src0_sel:WORD_0 src1_sel:DWORD
	v_cndmask_b32_e32 v50, v48, v31, vcc
; %bb.758:                              ;   in Loop: Header=BB4_735 Depth=4
	s_or_b64 exec, exec, s[94:95]
	v_and_b32_e32 v30, 0xffff0000, v30
	v_mul_f32_e32 v31, v29, v30
	v_and_b32_e32 v30, 0x7f800000, v31
	v_cmp_ne_u32_e32 vcc, s46, v30
                                        ; implicit-def: $vgpr30
	s_and_saveexec_b64 s[94:95], vcc
	s_xor_b64 s[94:95], exec, s[94:95]
; %bb.759:                              ;   in Loop: Header=BB4_735 Depth=4
	v_bfe_u32 v30, v31, 16, 1
	v_add3_u32 v30, v31, v30, s47
                                        ; implicit-def: $vgpr31
; %bb.760:                              ;   in Loop: Header=BB4_735 Depth=4
	s_andn2_saveexec_b64 s[94:95], s[94:95]
; %bb.761:                              ;   in Loop: Header=BB4_735 Depth=4
	v_or_b32_e32 v30, 0x10000, v31
	v_cmp_eq_u32_sdwa vcc, v31, v2 src0_sel:WORD_0 src1_sel:DWORD
	v_cndmask_b32_e32 v30, v30, v31, vcc
; %bb.762:                              ;   in Loop: Header=BB4_735 Depth=4
	s_or_b64 exec, exec, s[94:95]
	s_waitcnt vmcnt(0)
	v_lshlrev_b32_e32 v31, 16, v0
	v_mul_f32_e32 v53, v29, v31
	v_and_b32_e32 v31, 0x7f800000, v53
	v_cmp_ne_u32_e32 vcc, s46, v31
                                        ; implicit-def: $vgpr31
	s_and_saveexec_b64 s[94:95], vcc
	s_xor_b64 s[94:95], exec, s[94:95]
; %bb.763:                              ;   in Loop: Header=BB4_735 Depth=4
	v_bfe_u32 v31, v53, 16, 1
	v_add3_u32 v31, v53, v31, s47
                                        ; implicit-def: $vgpr53
; %bb.764:                              ;   in Loop: Header=BB4_735 Depth=4
	s_andn2_saveexec_b64 s[94:95], s[94:95]
; %bb.765:                              ;   in Loop: Header=BB4_735 Depth=4
	v_or_b32_e32 v31, 0x10000, v53
	v_cmp_eq_u32_sdwa vcc, v53, v2 src0_sel:WORD_0 src1_sel:DWORD
	v_cndmask_b32_e32 v31, v31, v53, vcc
; %bb.766:                              ;   in Loop: Header=BB4_735 Depth=4
	s_or_b64 exec, exec, s[94:95]
	v_and_b32_e32 v0, 0xffff0000, v0
	v_mul_f32_e32 v53, v29, v0
	v_and_b32_e32 v0, 0x7f800000, v53
	v_cmp_ne_u32_e32 vcc, s46, v0
                                        ; implicit-def: $vgpr0
	s_and_saveexec_b64 s[94:95], vcc
	s_xor_b64 s[94:95], exec, s[94:95]
; %bb.767:                              ;   in Loop: Header=BB4_735 Depth=4
	v_bfe_u32 v0, v53, 16, 1
	v_add3_u32 v0, v53, v0, s47
                                        ; implicit-def: $vgpr53
; %bb.768:                              ;   in Loop: Header=BB4_735 Depth=4
	s_andn2_saveexec_b64 s[94:95], s[94:95]
; %bb.769:                              ;   in Loop: Header=BB4_735 Depth=4
	v_or_b32_e32 v0, 0x10000, v53
	v_cmp_eq_u32_sdwa vcc, v53, v2 src0_sel:WORD_0 src1_sel:DWORD
	v_cndmask_b32_e32 v0, v0, v53, vcc
; %bb.770:                              ;   in Loop: Header=BB4_735 Depth=4
	s_or_b64 exec, exec, s[94:95]
	buffer_load_dword v43, off, s[0:3], s33 offset:112
	buffer_load_dword v56, off, s[0:3], s33 offset:116
	buffer_load_dword v44, off, s[0:3], s33 offset:120
	buffer_load_dword v53, off, s[0:3], s33 offset:124
	v_and_b32_e32 v34, 0xffff0000, v34
	s_waitcnt vmcnt(3)
	v_lshlrev_b32_e32 v48, 16, v43
	v_add_f32_e32 v57, v34, v48
	v_and_b32_e32 v34, 0x7f800000, v57
	v_cmp_ne_u32_e32 vcc, s46, v34
                                        ; implicit-def: $vgpr34
	s_and_saveexec_b64 s[94:95], vcc
	s_xor_b64 s[94:95], exec, s[94:95]
; %bb.771:                              ;   in Loop: Header=BB4_735 Depth=4
	v_bfe_u32 v34, v57, 16, 1
	v_add3_u32 v34, v57, v34, s47
                                        ; implicit-def: $vgpr57
; %bb.772:                              ;   in Loop: Header=BB4_735 Depth=4
	s_andn2_saveexec_b64 s[94:95], s[94:95]
; %bb.773:                              ;   in Loop: Header=BB4_735 Depth=4
	v_or_b32_e32 v34, 0x10000, v57
	v_cmp_eq_u32_sdwa vcc, v57, v2 src0_sel:WORD_0 src1_sel:DWORD
	v_cndmask_b32_e32 v34, v34, v57, vcc
; %bb.774:                              ;   in Loop: Header=BB4_735 Depth=4
	s_or_b64 exec, exec, s[94:95]
	v_and_b32_e32 v48, 0xffff0000, v52
	v_and_b32_e32 v52, 0xffff0000, v43
	v_add_f32_e32 v43, v48, v52
	v_and_b32_e32 v48, 0x7f800000, v43
	v_cmp_ne_u32_e32 vcc, s46, v48
                                        ; implicit-def: $vgpr52
	s_and_saveexec_b64 s[94:95], vcc
	s_xor_b64 s[94:95], exec, s[94:95]
; %bb.775:                              ;   in Loop: Header=BB4_735 Depth=4
	v_bfe_u32 v48, v43, 16, 1
	v_add3_u32 v52, v43, v48, s47
                                        ; implicit-def: $vgpr43
; %bb.776:                              ;   in Loop: Header=BB4_735 Depth=4
	s_andn2_saveexec_b64 s[94:95], s[94:95]
; %bb.777:                              ;   in Loop: Header=BB4_735 Depth=4
	v_or_b32_e32 v48, 0x10000, v43
	v_cmp_eq_u32_sdwa vcc, v43, v2 src0_sel:WORD_0 src1_sel:DWORD
	v_cndmask_b32_e32 v52, v48, v43, vcc
; %bb.778:                              ;   in Loop: Header=BB4_735 Depth=4
	s_or_b64 exec, exec, s[94:95]
	v_and_b32_e32 v48, 0xffff0000, v51
	s_waitcnt vmcnt(2)
	v_lshlrev_b32_e32 v51, 16, v56
	v_add_f32_e32 v43, v48, v51
	v_and_b32_e32 v48, 0x7f800000, v43
	v_cmp_ne_u32_e32 vcc, s46, v48
                                        ; implicit-def: $vgpr51
	s_and_saveexec_b64 s[94:95], vcc
	s_xor_b64 s[94:95], exec, s[94:95]
; %bb.779:                              ;   in Loop: Header=BB4_735 Depth=4
	v_bfe_u32 v48, v43, 16, 1
	v_add3_u32 v51, v43, v48, s47
                                        ; implicit-def: $vgpr43
; %bb.780:                              ;   in Loop: Header=BB4_735 Depth=4
	s_andn2_saveexec_b64 s[94:95], s[94:95]
; %bb.781:                              ;   in Loop: Header=BB4_735 Depth=4
	v_or_b32_e32 v48, 0x10000, v43
	v_cmp_eq_u32_sdwa vcc, v43, v2 src0_sel:WORD_0 src1_sel:DWORD
	v_cndmask_b32_e32 v51, v48, v43, vcc
; %bb.782:                              ;   in Loop: Header=BB4_735 Depth=4
	s_or_b64 exec, exec, s[94:95]
	v_and_b32_e32 v48, 0xffff0000, v56
	v_and_b32_e32 v35, 0xffff0000, v35
	v_add_f32_e32 v43, v35, v48
	v_and_b32_e32 v35, 0x7f800000, v43
	v_cmp_ne_u32_e32 vcc, s46, v35
                                        ; implicit-def: $vgpr35
	s_and_saveexec_b64 s[94:95], vcc
	s_xor_b64 s[94:95], exec, s[94:95]
; %bb.783:                              ;   in Loop: Header=BB4_735 Depth=4
	v_bfe_u32 v35, v43, 16, 1
	v_add3_u32 v35, v43, v35, s47
                                        ; implicit-def: $vgpr43
; %bb.784:                              ;   in Loop: Header=BB4_735 Depth=4
	s_andn2_saveexec_b64 s[94:95], s[94:95]
; %bb.785:                              ;   in Loop: Header=BB4_735 Depth=4
	v_or_b32_e32 v35, 0x10000, v43
	v_cmp_eq_u32_sdwa vcc, v43, v2 src0_sel:WORD_0 src1_sel:DWORD
	v_cndmask_b32_e32 v35, v35, v43, vcc
; %bb.786:                              ;   in Loop: Header=BB4_735 Depth=4
	s_or_b64 exec, exec, s[94:95]
	v_and_b32_e32 v48, 0xffff0000, v50
	s_waitcnt vmcnt(1)
	v_lshlrev_b32_e32 v50, 16, v44
	v_add_f32_e32 v43, v48, v50
	v_and_b32_e32 v48, 0x7f800000, v43
	v_cmp_ne_u32_e32 vcc, s46, v48
                                        ; implicit-def: $vgpr50
	s_and_saveexec_b64 s[94:95], vcc
	s_xor_b64 s[94:95], exec, s[94:95]
; %bb.787:                              ;   in Loop: Header=BB4_735 Depth=4
	v_bfe_u32 v48, v43, 16, 1
	v_add3_u32 v50, v43, v48, s47
                                        ; implicit-def: $vgpr43
; %bb.788:                              ;   in Loop: Header=BB4_735 Depth=4
	s_andn2_saveexec_b64 s[94:95], s[94:95]
; %bb.789:                              ;   in Loop: Header=BB4_735 Depth=4
	v_or_b32_e32 v48, 0x10000, v43
	v_cmp_eq_u32_sdwa vcc, v43, v2 src0_sel:WORD_0 src1_sel:DWORD
	v_cndmask_b32_e32 v50, v48, v43, vcc
; %bb.790:                              ;   in Loop: Header=BB4_735 Depth=4
	s_or_b64 exec, exec, s[94:95]
	v_and_b32_e32 v48, 0xffff0000, v44
	v_and_b32_e32 v30, 0xffff0000, v30
	v_add_f32_e32 v43, v30, v48
	v_and_b32_e32 v30, 0x7f800000, v43
	v_cmp_ne_u32_e32 vcc, s46, v30
                                        ; implicit-def: $vgpr30
	s_and_saveexec_b64 s[94:95], vcc
	s_xor_b64 s[94:95], exec, s[94:95]
; %bb.791:                              ;   in Loop: Header=BB4_735 Depth=4
	v_bfe_u32 v30, v43, 16, 1
	v_add3_u32 v30, v43, v30, s47
                                        ; implicit-def: $vgpr43
; %bb.792:                              ;   in Loop: Header=BB4_735 Depth=4
	s_andn2_saveexec_b64 s[94:95], s[94:95]
; %bb.793:                              ;   in Loop: Header=BB4_735 Depth=4
	v_or_b32_e32 v30, 0x10000, v43
	v_cmp_eq_u32_sdwa vcc, v43, v2 src0_sel:WORD_0 src1_sel:DWORD
	v_cndmask_b32_e32 v30, v30, v43, vcc
; %bb.794:                              ;   in Loop: Header=BB4_735 Depth=4
	s_or_b64 exec, exec, s[94:95]
	v_and_b32_e32 v31, 0xffff0000, v31
	s_waitcnt vmcnt(0)
	v_lshlrev_b32_e32 v48, 16, v53
	v_add_f32_e32 v43, v31, v48
	v_and_b32_e32 v31, 0x7f800000, v43
	v_cmp_ne_u32_e32 vcc, s46, v31
                                        ; implicit-def: $vgpr31
	s_and_saveexec_b64 s[94:95], vcc
	s_xor_b64 s[94:95], exec, s[94:95]
; %bb.795:                              ;   in Loop: Header=BB4_735 Depth=4
	v_bfe_u32 v31, v43, 16, 1
	v_add3_u32 v31, v43, v31, s47
                                        ; implicit-def: $vgpr43
; %bb.796:                              ;   in Loop: Header=BB4_735 Depth=4
	s_andn2_saveexec_b64 s[94:95], s[94:95]
; %bb.797:                              ;   in Loop: Header=BB4_735 Depth=4
	v_or_b32_e32 v31, 0x10000, v43
	v_cmp_eq_u32_sdwa vcc, v43, v2 src0_sel:WORD_0 src1_sel:DWORD
	v_cndmask_b32_e32 v31, v31, v43, vcc
; %bb.798:                              ;   in Loop: Header=BB4_735 Depth=4
	s_or_b64 exec, exec, s[94:95]
	v_and_b32_e32 v48, 0xffff0000, v53
	v_and_b32_e32 v0, 0xffff0000, v0
	v_add_f32_e32 v53, v0, v48
	v_and_b32_e32 v0, 0x7f800000, v53
	v_cmp_ne_u32_e32 vcc, s46, v0
                                        ; implicit-def: $vgpr0
	s_and_saveexec_b64 s[94:95], vcc
	s_xor_b64 s[94:95], exec, s[94:95]
; %bb.799:                              ;   in Loop: Header=BB4_735 Depth=4
	v_bfe_u32 v0, v53, 16, 1
	v_add3_u32 v0, v53, v0, s47
                                        ; implicit-def: $vgpr53
; %bb.800:                              ;   in Loop: Header=BB4_735 Depth=4
	s_andn2_saveexec_b64 s[94:95], s[94:95]
; %bb.801:                              ;   in Loop: Header=BB4_735 Depth=4
	v_or_b32_e32 v0, 0x10000, v53
	v_cmp_eq_u32_sdwa vcc, v53, v2 src0_sel:WORD_0 src1_sel:DWORD
	v_cndmask_b32_e32 v0, v0, v53, vcc
; %bb.802:                              ;   in Loop: Header=BB4_735 Depth=4
	s_or_b64 exec, exec, s[94:95]
	v_lshrrev_b32_e32 v34, 16, v34
	v_lshrrev_b32_e32 v48, 16, v51
	v_and_or_b32 v43, v52, s44, v34
	v_lshrrev_b32_e32 v34, 16, v50
	v_and_or_b32 v44, v35, s44, v48
	v_and_or_b32 v45, v30, s44, v34
	v_lshrrev_b32_e32 v30, 16, v31
	v_and_or_b32 v46, v0, s44, v30
	buffer_store_dword v44, off, s[0:3], s33 offset:100
	buffer_store_dword v43, off, s[0:3], s33 offset:96
	;; [unrolled: 1-line block ×4, first 2 shown]
	buffer_load_dword v0, off, s[0:3], s33 offset:132 ; 4-byte Folded Reload
	s_nop 0
	global_store_dwordx4 v[20:21], v[43:46], off glc slc
	s_waitcnt vmcnt(1)
	v_add_co_u32_e32 v20, vcc, v0, v20
	buffer_load_dword v0, off, s[0:3], s33 offset:136 ; 4-byte Folded Reload
	s_waitcnt vmcnt(0)
	v_addc_co_u32_e32 v21, vcc, v0, v21, vcc
.LBB4_803:                              ;   in Loop: Header=BB4_735 Depth=4
	s_or_b64 exec, exec, s[40:41]
	buffer_load_dword v0, off, s[0:3], s33 offset:128 ; 4-byte Folded Reload
	s_waitcnt vmcnt(0)
	v_add_co_u32_e32 v25, vcc, v25, v0
	v_addc_co_u32_e32 v26, vcc, v26, v49, vcc
	v_add_co_u32_e32 v27, vcc, v27, v0
	v_lshlrev_b32_e32 v0, 10, v59
	v_sub_u32_e32 v3, v3, v0
	v_addc_co_u32_e32 v28, vcc, v28, v49, vcc
	v_cmp_lt_i32_e64 s[94:95], 15, v3
	s_and_saveexec_b64 s[30:31], s[94:95]
	s_cbranch_execz .LBB4_806
; %bb.804:                              ;   in Loop: Header=BB4_735 Depth=4
	s_lshr_b32 s8, s33, 6
	s_addk_i32 s8, 0x60
	s_mov_b64 s[36:37], 0
	s_mov_b64 s[34:35], -1
.LBB4_805:                              ;   Parent Loop BB4_47 Depth=1
                                        ;     Parent Loop BB4_648 Depth=2
                                        ;       Parent Loop BB4_651 Depth=3
                                        ;         Parent Loop BB4_735 Depth=4
                                        ; =>        This Inner Loop Header: Depth=5
	s_cmp_eq_u32 s36, 1
	s_cselect_b64 s[40:41], -1, 0
	v_cndmask_b32_e64 v31, v26, v28, s[40:41]
	v_cndmask_b32_e64 v30, v25, v27, s[40:41]
	global_load_dwordx4 v[50:53], v[30:31], off glc slc
	v_mov_b32_e32 v0, s8
	s_cmp_eq_u32 s36, 0
	s_mov_b64 s[36:37], 1
	s_mov_b32 s8, s67
	s_waitcnt vmcnt(0)
	buffer_store_dword v51, v0, s[0:3], 0 offen offset:4
	buffer_store_dword v50, v0, s[0:3], 0 offen
	buffer_store_dword v53, v0, s[0:3], 0 offen offset:12
	buffer_store_dword v52, v0, s[0:3], 0 offen offset:8
	v_add_co_u32_e32 v0, vcc, s52, v30
	v_addc_co_u32_e32 v30, vcc, 0, v31, vcc
	s_cselect_b64 vcc, -1, 0
	v_cndmask_b32_e32 v26, v26, v30, vcc
	v_cndmask_b32_e32 v25, v25, v0, vcc
	v_cndmask_b32_e64 v28, v28, v30, s[40:41]
	v_cndmask_b32_e64 v27, v27, v0, s[40:41]
	s_and_b64 vcc, exec, s[34:35]
	s_mov_b64 s[34:35], 0
	s_cbranch_vccnz .LBB4_805
.LBB4_806:                              ;   in Loop: Header=BB4_735 Depth=4
	s_or_b64 exec, exec, s[30:31]
	buffer_load_dword v35, off, s[0:3], s33 offset:64
	buffer_load_dword v31, off, s[0:3], s33 offset:68
	;; [unrolled: 1-line block ×4, first 2 shown]
	s_waitcnt vmcnt(3)
	v_lshlrev_b32_e32 v34, 16, v35
	v_mul_f32_e32 v50, v29, v34
	v_and_b32_e32 v34, 0x7f800000, v50
	v_cmp_ne_u32_e32 vcc, s46, v34
                                        ; implicit-def: $vgpr34
	s_and_saveexec_b64 s[40:41], vcc
	s_xor_b64 s[40:41], exec, s[40:41]
; %bb.807:                              ;   in Loop: Header=BB4_735 Depth=4
	v_bfe_u32 v34, v50, 16, 1
	v_add3_u32 v34, v50, v34, s47
                                        ; implicit-def: $vgpr50
; %bb.808:                              ;   in Loop: Header=BB4_735 Depth=4
	s_andn2_saveexec_b64 s[40:41], s[40:41]
; %bb.809:                              ;   in Loop: Header=BB4_735 Depth=4
	v_or_b32_e32 v34, 0x10000, v50
	v_cmp_eq_u32_sdwa vcc, v50, v2 src0_sel:WORD_0 src1_sel:DWORD
	v_cndmask_b32_e32 v34, v34, v50, vcc
; %bb.810:                              ;   in Loop: Header=BB4_735 Depth=4
	s_or_b64 exec, exec, s[40:41]
	v_and_b32_e32 v35, 0xffff0000, v35
	v_mul_f32_e32 v35, v29, v35
	v_and_b32_e32 v48, 0x7f800000, v35
	v_cmp_ne_u32_e32 vcc, s46, v48
                                        ; implicit-def: $vgpr52
	s_and_saveexec_b64 s[40:41], vcc
	s_xor_b64 s[40:41], exec, s[40:41]
; %bb.811:                              ;   in Loop: Header=BB4_735 Depth=4
	v_bfe_u32 v48, v35, 16, 1
	v_add3_u32 v52, v35, v48, s47
                                        ; implicit-def: $vgpr35
; %bb.812:                              ;   in Loop: Header=BB4_735 Depth=4
	s_andn2_saveexec_b64 s[40:41], s[40:41]
; %bb.813:                              ;   in Loop: Header=BB4_735 Depth=4
	v_or_b32_e32 v48, 0x10000, v35
	v_cmp_eq_u32_sdwa vcc, v35, v2 src0_sel:WORD_0 src1_sel:DWORD
	v_cndmask_b32_e32 v52, v48, v35, vcc
; %bb.814:                              ;   in Loop: Header=BB4_735 Depth=4
	s_or_b64 exec, exec, s[40:41]
	s_waitcnt vmcnt(2)
	v_lshlrev_b32_e32 v35, 16, v31
	v_mul_f32_e32 v35, v29, v35
	v_and_b32_e32 v48, 0x7f800000, v35
	v_cmp_ne_u32_e32 vcc, s46, v48
                                        ; implicit-def: $vgpr51
	s_and_saveexec_b64 s[40:41], vcc
	s_xor_b64 s[40:41], exec, s[40:41]
; %bb.815:                              ;   in Loop: Header=BB4_735 Depth=4
	v_bfe_u32 v48, v35, 16, 1
	v_add3_u32 v51, v35, v48, s47
                                        ; implicit-def: $vgpr35
; %bb.816:                              ;   in Loop: Header=BB4_735 Depth=4
	s_andn2_saveexec_b64 s[40:41], s[40:41]
; %bb.817:                              ;   in Loop: Header=BB4_735 Depth=4
	v_or_b32_e32 v48, 0x10000, v35
	v_cmp_eq_u32_sdwa vcc, v35, v2 src0_sel:WORD_0 src1_sel:DWORD
	v_cndmask_b32_e32 v51, v48, v35, vcc
; %bb.818:                              ;   in Loop: Header=BB4_735 Depth=4
	s_or_b64 exec, exec, s[40:41]
	v_and_b32_e32 v31, 0xffff0000, v31
	v_mul_f32_e32 v31, v29, v31
	v_and_b32_e32 v35, 0x7f800000, v31
	v_cmp_ne_u32_e32 vcc, s46, v35
                                        ; implicit-def: $vgpr35
	s_and_saveexec_b64 s[40:41], vcc
	s_xor_b64 s[40:41], exec, s[40:41]
; %bb.819:                              ;   in Loop: Header=BB4_735 Depth=4
	v_bfe_u32 v35, v31, 16, 1
	v_add3_u32 v35, v31, v35, s47
                                        ; implicit-def: $vgpr31
; %bb.820:                              ;   in Loop: Header=BB4_735 Depth=4
	s_andn2_saveexec_b64 s[40:41], s[40:41]
; %bb.821:                              ;   in Loop: Header=BB4_735 Depth=4
	v_or_b32_e32 v35, 0x10000, v31
	v_cmp_eq_u32_sdwa vcc, v31, v2 src0_sel:WORD_0 src1_sel:DWORD
	v_cndmask_b32_e32 v35, v35, v31, vcc
; %bb.822:                              ;   in Loop: Header=BB4_735 Depth=4
	s_or_b64 exec, exec, s[40:41]
	s_waitcnt vmcnt(1)
	v_lshlrev_b32_e32 v31, 16, v30
	v_mul_f32_e32 v31, v29, v31
	v_and_b32_e32 v48, 0x7f800000, v31
	v_cmp_ne_u32_e32 vcc, s46, v48
                                        ; implicit-def: $vgpr50
	s_and_saveexec_b64 s[40:41], vcc
	s_xor_b64 s[40:41], exec, s[40:41]
; %bb.823:                              ;   in Loop: Header=BB4_735 Depth=4
	v_bfe_u32 v48, v31, 16, 1
	v_add3_u32 v50, v31, v48, s47
                                        ; implicit-def: $vgpr31
; %bb.824:                              ;   in Loop: Header=BB4_735 Depth=4
	s_andn2_saveexec_b64 s[40:41], s[40:41]
; %bb.825:                              ;   in Loop: Header=BB4_735 Depth=4
	v_or_b32_e32 v48, 0x10000, v31
	v_cmp_eq_u32_sdwa vcc, v31, v2 src0_sel:WORD_0 src1_sel:DWORD
	v_cndmask_b32_e32 v50, v48, v31, vcc
; %bb.826:                              ;   in Loop: Header=BB4_735 Depth=4
	s_or_b64 exec, exec, s[40:41]
	v_and_b32_e32 v30, 0xffff0000, v30
	v_mul_f32_e32 v31, v29, v30
	v_and_b32_e32 v30, 0x7f800000, v31
	v_cmp_ne_u32_e32 vcc, s46, v30
                                        ; implicit-def: $vgpr30
	s_and_saveexec_b64 s[40:41], vcc
	s_xor_b64 s[40:41], exec, s[40:41]
; %bb.827:                              ;   in Loop: Header=BB4_735 Depth=4
	v_bfe_u32 v30, v31, 16, 1
	v_add3_u32 v30, v31, v30, s47
                                        ; implicit-def: $vgpr31
; %bb.828:                              ;   in Loop: Header=BB4_735 Depth=4
	s_andn2_saveexec_b64 s[40:41], s[40:41]
; %bb.829:                              ;   in Loop: Header=BB4_735 Depth=4
	v_or_b32_e32 v30, 0x10000, v31
	v_cmp_eq_u32_sdwa vcc, v31, v2 src0_sel:WORD_0 src1_sel:DWORD
	v_cndmask_b32_e32 v30, v30, v31, vcc
; %bb.830:                              ;   in Loop: Header=BB4_735 Depth=4
	s_or_b64 exec, exec, s[40:41]
	s_waitcnt vmcnt(0)
	v_lshlrev_b32_e32 v31, 16, v0
	v_mul_f32_e32 v53, v29, v31
	v_and_b32_e32 v31, 0x7f800000, v53
	v_cmp_ne_u32_e32 vcc, s46, v31
                                        ; implicit-def: $vgpr31
	s_and_saveexec_b64 s[40:41], vcc
	s_xor_b64 s[40:41], exec, s[40:41]
; %bb.831:                              ;   in Loop: Header=BB4_735 Depth=4
	v_bfe_u32 v31, v53, 16, 1
	v_add3_u32 v31, v53, v31, s47
                                        ; implicit-def: $vgpr53
; %bb.832:                              ;   in Loop: Header=BB4_735 Depth=4
	s_andn2_saveexec_b64 s[40:41], s[40:41]
; %bb.833:                              ;   in Loop: Header=BB4_735 Depth=4
	v_or_b32_e32 v31, 0x10000, v53
	v_cmp_eq_u32_sdwa vcc, v53, v2 src0_sel:WORD_0 src1_sel:DWORD
	v_cndmask_b32_e32 v31, v31, v53, vcc
; %bb.834:                              ;   in Loop: Header=BB4_735 Depth=4
	s_or_b64 exec, exec, s[40:41]
	v_and_b32_e32 v0, 0xffff0000, v0
	v_mul_f32_e32 v53, v29, v0
	v_and_b32_e32 v0, 0x7f800000, v53
	v_cmp_ne_u32_e32 vcc, s46, v0
                                        ; implicit-def: $vgpr0
	s_and_saveexec_b64 s[40:41], vcc
	s_xor_b64 s[40:41], exec, s[40:41]
; %bb.835:                              ;   in Loop: Header=BB4_735 Depth=4
	v_bfe_u32 v0, v53, 16, 1
	v_add3_u32 v0, v53, v0, s47
                                        ; implicit-def: $vgpr53
; %bb.836:                              ;   in Loop: Header=BB4_735 Depth=4
	s_andn2_saveexec_b64 s[40:41], s[40:41]
; %bb.837:                              ;   in Loop: Header=BB4_735 Depth=4
	v_or_b32_e32 v0, 0x10000, v53
	v_cmp_eq_u32_sdwa vcc, v53, v2 src0_sel:WORD_0 src1_sel:DWORD
	v_cndmask_b32_e32 v0, v0, v53, vcc
; %bb.838:                              ;   in Loop: Header=BB4_735 Depth=4
	s_or_b64 exec, exec, s[40:41]
	buffer_load_dword v43, off, s[0:3], s33 offset:80
	buffer_load_dword v56, off, s[0:3], s33 offset:84
	;; [unrolled: 1-line block ×4, first 2 shown]
	v_and_b32_e32 v34, 0xffff0000, v34
	s_waitcnt vmcnt(3)
	v_lshlrev_b32_e32 v48, 16, v43
	v_add_f32_e32 v57, v34, v48
	v_and_b32_e32 v34, 0x7f800000, v57
	v_cmp_ne_u32_e32 vcc, s46, v34
                                        ; implicit-def: $vgpr34
	s_and_saveexec_b64 s[40:41], vcc
	s_xor_b64 s[40:41], exec, s[40:41]
; %bb.839:                              ;   in Loop: Header=BB4_735 Depth=4
	v_bfe_u32 v34, v57, 16, 1
	v_add3_u32 v34, v57, v34, s47
                                        ; implicit-def: $vgpr57
; %bb.840:                              ;   in Loop: Header=BB4_735 Depth=4
	s_andn2_saveexec_b64 s[40:41], s[40:41]
; %bb.841:                              ;   in Loop: Header=BB4_735 Depth=4
	v_or_b32_e32 v34, 0x10000, v57
	v_cmp_eq_u32_sdwa vcc, v57, v2 src0_sel:WORD_0 src1_sel:DWORD
	v_cndmask_b32_e32 v34, v34, v57, vcc
; %bb.842:                              ;   in Loop: Header=BB4_735 Depth=4
	s_or_b64 exec, exec, s[40:41]
	v_and_b32_e32 v48, 0xffff0000, v52
	v_and_b32_e32 v52, 0xffff0000, v43
	v_add_f32_e32 v43, v48, v52
	v_and_b32_e32 v48, 0x7f800000, v43
	v_cmp_ne_u32_e32 vcc, s46, v48
                                        ; implicit-def: $vgpr52
	s_and_saveexec_b64 s[40:41], vcc
	s_xor_b64 s[40:41], exec, s[40:41]
; %bb.843:                              ;   in Loop: Header=BB4_735 Depth=4
	v_bfe_u32 v48, v43, 16, 1
	v_add3_u32 v52, v43, v48, s47
                                        ; implicit-def: $vgpr43
; %bb.844:                              ;   in Loop: Header=BB4_735 Depth=4
	s_andn2_saveexec_b64 s[40:41], s[40:41]
; %bb.845:                              ;   in Loop: Header=BB4_735 Depth=4
	v_or_b32_e32 v48, 0x10000, v43
	v_cmp_eq_u32_sdwa vcc, v43, v2 src0_sel:WORD_0 src1_sel:DWORD
	v_cndmask_b32_e32 v52, v48, v43, vcc
; %bb.846:                              ;   in Loop: Header=BB4_735 Depth=4
	s_or_b64 exec, exec, s[40:41]
	v_and_b32_e32 v48, 0xffff0000, v51
	s_waitcnt vmcnt(2)
	v_lshlrev_b32_e32 v51, 16, v56
	v_add_f32_e32 v43, v48, v51
	v_and_b32_e32 v48, 0x7f800000, v43
	v_cmp_ne_u32_e32 vcc, s46, v48
                                        ; implicit-def: $vgpr51
	s_and_saveexec_b64 s[40:41], vcc
	s_xor_b64 s[40:41], exec, s[40:41]
; %bb.847:                              ;   in Loop: Header=BB4_735 Depth=4
	v_bfe_u32 v48, v43, 16, 1
	v_add3_u32 v51, v43, v48, s47
                                        ; implicit-def: $vgpr43
; %bb.848:                              ;   in Loop: Header=BB4_735 Depth=4
	s_andn2_saveexec_b64 s[40:41], s[40:41]
; %bb.849:                              ;   in Loop: Header=BB4_735 Depth=4
	v_or_b32_e32 v48, 0x10000, v43
	v_cmp_eq_u32_sdwa vcc, v43, v2 src0_sel:WORD_0 src1_sel:DWORD
	v_cndmask_b32_e32 v51, v48, v43, vcc
; %bb.850:                              ;   in Loop: Header=BB4_735 Depth=4
	s_or_b64 exec, exec, s[40:41]
	v_and_b32_e32 v48, 0xffff0000, v56
	v_and_b32_e32 v35, 0xffff0000, v35
	v_add_f32_e32 v43, v35, v48
	v_and_b32_e32 v35, 0x7f800000, v43
	v_cmp_ne_u32_e32 vcc, s46, v35
                                        ; implicit-def: $vgpr35
	s_and_saveexec_b64 s[40:41], vcc
	s_xor_b64 s[40:41], exec, s[40:41]
; %bb.851:                              ;   in Loop: Header=BB4_735 Depth=4
	v_bfe_u32 v35, v43, 16, 1
	v_add3_u32 v35, v43, v35, s47
                                        ; implicit-def: $vgpr43
; %bb.852:                              ;   in Loop: Header=BB4_735 Depth=4
	s_andn2_saveexec_b64 s[40:41], s[40:41]
; %bb.853:                              ;   in Loop: Header=BB4_735 Depth=4
	v_or_b32_e32 v35, 0x10000, v43
	v_cmp_eq_u32_sdwa vcc, v43, v2 src0_sel:WORD_0 src1_sel:DWORD
	v_cndmask_b32_e32 v35, v35, v43, vcc
; %bb.854:                              ;   in Loop: Header=BB4_735 Depth=4
	s_or_b64 exec, exec, s[40:41]
	v_and_b32_e32 v48, 0xffff0000, v50
	s_waitcnt vmcnt(1)
	v_lshlrev_b32_e32 v50, 16, v44
	v_add_f32_e32 v43, v48, v50
	v_and_b32_e32 v48, 0x7f800000, v43
	v_cmp_ne_u32_e32 vcc, s46, v48
                                        ; implicit-def: $vgpr50
	s_and_saveexec_b64 s[40:41], vcc
	s_xor_b64 s[40:41], exec, s[40:41]
; %bb.855:                              ;   in Loop: Header=BB4_735 Depth=4
	v_bfe_u32 v48, v43, 16, 1
	v_add3_u32 v50, v43, v48, s47
                                        ; implicit-def: $vgpr43
; %bb.856:                              ;   in Loop: Header=BB4_735 Depth=4
	s_andn2_saveexec_b64 s[40:41], s[40:41]
; %bb.857:                              ;   in Loop: Header=BB4_735 Depth=4
	v_or_b32_e32 v48, 0x10000, v43
	v_cmp_eq_u32_sdwa vcc, v43, v2 src0_sel:WORD_0 src1_sel:DWORD
	v_cndmask_b32_e32 v50, v48, v43, vcc
; %bb.858:                              ;   in Loop: Header=BB4_735 Depth=4
	s_or_b64 exec, exec, s[40:41]
	v_and_b32_e32 v48, 0xffff0000, v44
	v_and_b32_e32 v30, 0xffff0000, v30
	v_add_f32_e32 v43, v30, v48
	v_and_b32_e32 v30, 0x7f800000, v43
	v_cmp_ne_u32_e32 vcc, s46, v30
                                        ; implicit-def: $vgpr30
	s_and_saveexec_b64 s[40:41], vcc
	s_xor_b64 s[40:41], exec, s[40:41]
; %bb.859:                              ;   in Loop: Header=BB4_735 Depth=4
	v_bfe_u32 v30, v43, 16, 1
	v_add3_u32 v30, v43, v30, s47
                                        ; implicit-def: $vgpr43
; %bb.860:                              ;   in Loop: Header=BB4_735 Depth=4
	s_andn2_saveexec_b64 s[40:41], s[40:41]
; %bb.861:                              ;   in Loop: Header=BB4_735 Depth=4
	v_or_b32_e32 v30, 0x10000, v43
	v_cmp_eq_u32_sdwa vcc, v43, v2 src0_sel:WORD_0 src1_sel:DWORD
	v_cndmask_b32_e32 v30, v30, v43, vcc
; %bb.862:                              ;   in Loop: Header=BB4_735 Depth=4
	s_or_b64 exec, exec, s[40:41]
	v_and_b32_e32 v31, 0xffff0000, v31
	s_waitcnt vmcnt(0)
	v_lshlrev_b32_e32 v48, 16, v53
	v_add_f32_e32 v43, v31, v48
	v_and_b32_e32 v31, 0x7f800000, v43
	v_cmp_ne_u32_e32 vcc, s46, v31
                                        ; implicit-def: $vgpr31
	s_and_saveexec_b64 s[40:41], vcc
	s_xor_b64 s[40:41], exec, s[40:41]
; %bb.863:                              ;   in Loop: Header=BB4_735 Depth=4
	v_bfe_u32 v31, v43, 16, 1
	v_add3_u32 v31, v43, v31, s47
                                        ; implicit-def: $vgpr43
; %bb.864:                              ;   in Loop: Header=BB4_735 Depth=4
	s_andn2_saveexec_b64 s[40:41], s[40:41]
; %bb.865:                              ;   in Loop: Header=BB4_735 Depth=4
	v_or_b32_e32 v31, 0x10000, v43
	v_cmp_eq_u32_sdwa vcc, v43, v2 src0_sel:WORD_0 src1_sel:DWORD
	v_cndmask_b32_e32 v31, v31, v43, vcc
; %bb.866:                              ;   in Loop: Header=BB4_735 Depth=4
	s_or_b64 exec, exec, s[40:41]
	v_and_b32_e32 v48, 0xffff0000, v53
	v_and_b32_e32 v0, 0xffff0000, v0
	v_add_f32_e32 v53, v0, v48
	v_and_b32_e32 v0, 0x7f800000, v53
	v_cmp_ne_u32_e32 vcc, s46, v0
                                        ; implicit-def: $vgpr0
	s_and_saveexec_b64 s[40:41], vcc
	s_xor_b64 s[40:41], exec, s[40:41]
; %bb.867:                              ;   in Loop: Header=BB4_735 Depth=4
	v_bfe_u32 v0, v53, 16, 1
	v_add3_u32 v0, v53, v0, s47
                                        ; implicit-def: $vgpr53
; %bb.868:                              ;   in Loop: Header=BB4_735 Depth=4
	s_andn2_saveexec_b64 s[40:41], s[40:41]
; %bb.869:                              ;   in Loop: Header=BB4_735 Depth=4
	v_or_b32_e32 v0, 0x10000, v53
	v_cmp_eq_u32_sdwa vcc, v53, v2 src0_sel:WORD_0 src1_sel:DWORD
	v_cndmask_b32_e32 v0, v0, v53, vcc
; %bb.870:                              ;   in Loop: Header=BB4_735 Depth=4
	s_or_b64 exec, exec, s[40:41]
	v_lshrrev_b32_e32 v34, 16, v34
	v_and_or_b32 v43, v52, s44, v34
	v_lshrrev_b32_e32 v34, 16, v50
	v_lshrrev_b32_e32 v48, 16, v51
	v_and_or_b32 v45, v30, s44, v34
	v_lshrrev_b32_e32 v30, 16, v31
	v_and_or_b32 v44, v35, s44, v48
	v_and_or_b32 v46, v0, s44, v30
	buffer_store_dword v44, off, s[0:3], s33 offset:68
	buffer_store_dword v43, off, s[0:3], s33 offset:64
	;; [unrolled: 1-line block ×4, first 2 shown]
	global_store_dwordx4 v[20:21], v[43:46], off glc slc
	v_add_co_u32_e32 v20, vcc, 0x400, v20
	v_sub_u32_e32 v24, v24, v59
	v_addc_co_u32_e32 v21, vcc, 0, v21, vcc
	s_and_saveexec_b64 s[40:41], s[94:95]
	s_cbranch_execz .LBB4_734
; %bb.871:                              ;   in Loop: Header=BB4_735 Depth=4
	buffer_load_dword v0, off, s[0:3], s33 offset:128 ; 4-byte Folded Reload
	v_sub_u32_e32 v24, v24, v59
	s_waitcnt vmcnt(0)
	v_add_co_u32_e32 v25, vcc, v25, v0
	v_addc_co_u32_e32 v26, vcc, v26, v49, vcc
	v_add_co_u32_e32 v27, vcc, v27, v0
	v_addc_co_u32_e32 v28, vcc, v28, v49, vcc
	v_add_co_u32_e32 v20, vcc, v20, v0
	v_lshlrev_b32_e32 v0, 10, v59
	v_addc_co_u32_e32 v21, vcc, v21, v49, vcc
	v_sub_u32_e32 v3, v3, v0
	s_branch .LBB4_734
.LBB4_872:                              ;   in Loop: Header=BB4_651 Depth=3
	buffer_load_dword v0, off, s[0:3], s33 offset:216 ; 4-byte Folded Reload
	buffer_load_dword v28, off, s[0:3], s33 offset:200 ; 4-byte Folded Reload
	s_and_saveexec_b64 s[40:41], s[78:79]
	s_cbranch_execnz .LBB4_1152
	s_branch .LBB4_1295
.LBB4_873:                              ;   in Loop: Header=BB4_651 Depth=3
	s_or_b64 exec, exec, s[90:91]
	s_and_b64 s[90:91], s[92:93], exec
.LBB4_874:                              ;   in Loop: Header=BB4_651 Depth=3
	s_or_b64 exec, exec, s[88:89]
	s_and_saveexec_b64 s[40:41], s[90:91]
	s_cbranch_execz .LBB4_940
; %bb.875:                              ;   in Loop: Header=BB4_651 Depth=3
	s_trap 2
	buffer_load_dword v27, off, s[0:3], s33 offset:96
	buffer_load_dword v25, off, s[0:3], s33 offset:100
	;; [unrolled: 1-line block ×4, first 2 shown]
	s_waitcnt vmcnt(0)
	ds_read_b32 v26, v0
	s_waitcnt lgkmcnt(0)
	v_lshlrev_b32_e32 v31, 16, v26
	v_lshlrev_b32_e32 v26, 16, v27
	v_mul_f32_e32 v28, v31, v26
	v_and_b32_e32 v26, 0x7f800000, v28
	v_cmp_ne_u32_e32 vcc, s46, v26
                                        ; implicit-def: $vgpr26
	s_and_saveexec_b64 s[88:89], vcc
	s_xor_b64 s[88:89], exec, s[88:89]
; %bb.876:                              ;   in Loop: Header=BB4_651 Depth=3
	v_bfe_u32 v26, v28, 16, 1
	v_add3_u32 v26, v28, v26, s47
                                        ; implicit-def: $vgpr28
; %bb.877:                              ;   in Loop: Header=BB4_651 Depth=3
	s_andn2_saveexec_b64 s[88:89], s[88:89]
; %bb.878:                              ;   in Loop: Header=BB4_651 Depth=3
	v_or_b32_e32 v26, 0x10000, v28
	v_cmp_eq_u32_sdwa vcc, v28, v2 src0_sel:WORD_0 src1_sel:DWORD
	v_cndmask_b32_e32 v26, v26, v28, vcc
; %bb.879:                              ;   in Loop: Header=BB4_651 Depth=3
	s_or_b64 exec, exec, s[88:89]
	v_and_b32_e32 v27, 0xffff0000, v27
	v_mul_f32_e32 v27, v31, v27
	v_and_b32_e32 v28, 0x7f800000, v27
	v_cmp_ne_u32_e32 vcc, s46, v28
                                        ; implicit-def: $vgpr30
	s_and_saveexec_b64 s[88:89], vcc
	s_xor_b64 s[88:89], exec, s[88:89]
; %bb.880:                              ;   in Loop: Header=BB4_651 Depth=3
	v_bfe_u32 v28, v27, 16, 1
	v_add3_u32 v30, v27, v28, s47
                                        ; implicit-def: $vgpr27
; %bb.881:                              ;   in Loop: Header=BB4_651 Depth=3
	s_andn2_saveexec_b64 s[88:89], s[88:89]
; %bb.882:                              ;   in Loop: Header=BB4_651 Depth=3
	v_or_b32_e32 v28, 0x10000, v27
	v_cmp_eq_u32_sdwa vcc, v27, v2 src0_sel:WORD_0 src1_sel:DWORD
	v_cndmask_b32_e32 v30, v28, v27, vcc
; %bb.883:                              ;   in Loop: Header=BB4_651 Depth=3
	s_or_b64 exec, exec, s[88:89]
	v_lshlrev_b32_e32 v27, 16, v25
	v_mul_f32_e32 v27, v31, v27
	v_and_b32_e32 v28, 0x7f800000, v27
	v_cmp_ne_u32_e32 vcc, s46, v28
                                        ; implicit-def: $vgpr29
	s_and_saveexec_b64 s[88:89], vcc
	s_xor_b64 s[88:89], exec, s[88:89]
; %bb.884:                              ;   in Loop: Header=BB4_651 Depth=3
	v_bfe_u32 v28, v27, 16, 1
	v_add3_u32 v29, v27, v28, s47
                                        ; implicit-def: $vgpr27
; %bb.885:                              ;   in Loop: Header=BB4_651 Depth=3
	s_andn2_saveexec_b64 s[88:89], s[88:89]
; %bb.886:                              ;   in Loop: Header=BB4_651 Depth=3
	v_or_b32_e32 v28, 0x10000, v27
	v_cmp_eq_u32_sdwa vcc, v27, v2 src0_sel:WORD_0 src1_sel:DWORD
	v_cndmask_b32_e32 v29, v28, v27, vcc
; %bb.887:                              ;   in Loop: Header=BB4_651 Depth=3
	s_or_b64 exec, exec, s[88:89]
	v_and_b32_e32 v25, 0xffff0000, v25
	v_mul_f32_e32 v25, v31, v25
	v_and_b32_e32 v27, 0x7f800000, v25
	v_cmp_ne_u32_e32 vcc, s46, v27
                                        ; implicit-def: $vgpr27
	s_and_saveexec_b64 s[88:89], vcc
	s_xor_b64 s[88:89], exec, s[88:89]
; %bb.888:                              ;   in Loop: Header=BB4_651 Depth=3
	v_bfe_u32 v27, v25, 16, 1
	v_add3_u32 v27, v25, v27, s47
                                        ; implicit-def: $vgpr25
; %bb.889:                              ;   in Loop: Header=BB4_651 Depth=3
	s_andn2_saveexec_b64 s[88:89], s[88:89]
; %bb.890:                              ;   in Loop: Header=BB4_651 Depth=3
	v_or_b32_e32 v27, 0x10000, v25
	v_cmp_eq_u32_sdwa vcc, v25, v2 src0_sel:WORD_0 src1_sel:DWORD
	v_cndmask_b32_e32 v27, v27, v25, vcc
; %bb.891:                              ;   in Loop: Header=BB4_651 Depth=3
	s_or_b64 exec, exec, s[88:89]
	v_lshlrev_b32_e32 v25, 16, v3
	v_mul_f32_e32 v25, v31, v25
	v_and_b32_e32 v28, 0x7f800000, v25
	v_cmp_ne_u32_e32 vcc, s46, v28
                                        ; implicit-def: $vgpr28
	s_and_saveexec_b64 s[88:89], vcc
	s_xor_b64 s[88:89], exec, s[88:89]
; %bb.892:                              ;   in Loop: Header=BB4_651 Depth=3
	v_bfe_u32 v28, v25, 16, 1
	v_add3_u32 v28, v25, v28, s47
                                        ; implicit-def: $vgpr25
; %bb.893:                              ;   in Loop: Header=BB4_651 Depth=3
	s_andn2_saveexec_b64 s[88:89], s[88:89]
; %bb.894:                              ;   in Loop: Header=BB4_651 Depth=3
	v_or_b32_e32 v28, 0x10000, v25
	v_cmp_eq_u32_sdwa vcc, v25, v2 src0_sel:WORD_0 src1_sel:DWORD
	v_cndmask_b32_e32 v28, v28, v25, vcc
; %bb.895:                              ;   in Loop: Header=BB4_651 Depth=3
	s_or_b64 exec, exec, s[88:89]
	v_and_b32_e32 v3, 0xffff0000, v3
	v_mul_f32_e32 v25, v31, v3
	v_and_b32_e32 v3, 0x7f800000, v25
	v_cmp_ne_u32_e32 vcc, s46, v3
                                        ; implicit-def: $vgpr3
	s_and_saveexec_b64 s[88:89], vcc
	s_xor_b64 s[88:89], exec, s[88:89]
; %bb.896:                              ;   in Loop: Header=BB4_651 Depth=3
	v_bfe_u32 v3, v25, 16, 1
	v_add3_u32 v3, v25, v3, s47
                                        ; implicit-def: $vgpr25
; %bb.897:                              ;   in Loop: Header=BB4_651 Depth=3
	s_andn2_saveexec_b64 s[88:89], s[88:89]
; %bb.898:                              ;   in Loop: Header=BB4_651 Depth=3
	v_or_b32_e32 v3, 0x10000, v25
	v_cmp_eq_u32_sdwa vcc, v25, v2 src0_sel:WORD_0 src1_sel:DWORD
	v_cndmask_b32_e32 v3, v3, v25, vcc
; %bb.899:                              ;   in Loop: Header=BB4_651 Depth=3
	s_or_b64 exec, exec, s[88:89]
	v_lshlrev_b32_e32 v25, 16, v0
	v_mul_f32_e32 v34, v31, v25
	v_and_b32_e32 v25, 0x7f800000, v34
	v_cmp_ne_u32_e32 vcc, s46, v25
                                        ; implicit-def: $vgpr25
	s_and_saveexec_b64 s[88:89], vcc
	s_xor_b64 s[88:89], exec, s[88:89]
; %bb.900:                              ;   in Loop: Header=BB4_651 Depth=3
	v_bfe_u32 v25, v34, 16, 1
	v_add3_u32 v25, v34, v25, s47
                                        ; implicit-def: $vgpr34
; %bb.901:                              ;   in Loop: Header=BB4_651 Depth=3
	s_andn2_saveexec_b64 s[88:89], s[88:89]
; %bb.902:                              ;   in Loop: Header=BB4_651 Depth=3
	v_or_b32_e32 v25, 0x10000, v34
	v_cmp_eq_u32_sdwa vcc, v34, v2 src0_sel:WORD_0 src1_sel:DWORD
	v_cndmask_b32_e32 v25, v25, v34, vcc
; %bb.903:                              ;   in Loop: Header=BB4_651 Depth=3
	s_or_b64 exec, exec, s[88:89]
	v_and_b32_e32 v0, 0xffff0000, v0
	v_mul_f32_e32 v31, v31, v0
	v_and_b32_e32 v0, 0x7f800000, v31
	v_cmp_ne_u32_e32 vcc, s46, v0
                                        ; implicit-def: $vgpr0
	s_and_saveexec_b64 s[88:89], vcc
	s_xor_b64 s[88:89], exec, s[88:89]
; %bb.904:                              ;   in Loop: Header=BB4_651 Depth=3
	v_bfe_u32 v0, v31, 16, 1
	v_add3_u32 v0, v31, v0, s47
                                        ; implicit-def: $vgpr31
; %bb.905:                              ;   in Loop: Header=BB4_651 Depth=3
	s_andn2_saveexec_b64 s[88:89], s[88:89]
; %bb.906:                              ;   in Loop: Header=BB4_651 Depth=3
	v_or_b32_e32 v0, 0x10000, v31
	v_cmp_eq_u32_sdwa vcc, v31, v2 src0_sel:WORD_0 src1_sel:DWORD
	v_cndmask_b32_e32 v0, v0, v31, vcc
; %bb.907:                              ;   in Loop: Header=BB4_651 Depth=3
	s_or_b64 exec, exec, s[88:89]
	buffer_load_dword v50, off, s[0:3], s33 offset:112
	buffer_load_dword v35, off, s[0:3], s33 offset:116
	;; [unrolled: 1-line block ×4, first 2 shown]
	v_and_b32_e32 v26, 0xffff0000, v26
	s_waitcnt vmcnt(3)
	v_lshlrev_b32_e32 v48, 16, v50
	v_add_f32_e32 v51, v26, v48
	v_and_b32_e32 v26, 0x7f800000, v51
	v_cmp_ne_u32_e32 vcc, s46, v26
                                        ; implicit-def: $vgpr26
	s_and_saveexec_b64 s[88:89], vcc
	s_xor_b64 s[88:89], exec, s[88:89]
; %bb.908:                              ;   in Loop: Header=BB4_651 Depth=3
	v_bfe_u32 v26, v51, 16, 1
	v_add3_u32 v26, v51, v26, s47
                                        ; implicit-def: $vgpr51
; %bb.909:                              ;   in Loop: Header=BB4_651 Depth=3
	s_andn2_saveexec_b64 s[88:89], s[88:89]
; %bb.910:                              ;   in Loop: Header=BB4_651 Depth=3
	v_or_b32_e32 v26, 0x10000, v51
	v_cmp_eq_u32_sdwa vcc, v51, v2 src0_sel:WORD_0 src1_sel:DWORD
	v_cndmask_b32_e32 v26, v26, v51, vcc
; %bb.911:                              ;   in Loop: Header=BB4_651 Depth=3
	s_or_b64 exec, exec, s[88:89]
	v_and_b32_e32 v30, 0xffff0000, v30
	v_and_b32_e32 v48, 0xffff0000, v50
	v_add_f32_e32 v50, v30, v48
	v_and_b32_e32 v30, 0x7f800000, v50
	v_cmp_ne_u32_e32 vcc, s46, v30
                                        ; implicit-def: $vgpr30
	s_and_saveexec_b64 s[88:89], vcc
	s_xor_b64 s[88:89], exec, s[88:89]
; %bb.912:                              ;   in Loop: Header=BB4_651 Depth=3
	v_bfe_u32 v30, v50, 16, 1
	v_add3_u32 v30, v50, v30, s47
                                        ; implicit-def: $vgpr50
; %bb.913:                              ;   in Loop: Header=BB4_651 Depth=3
	s_andn2_saveexec_b64 s[88:89], s[88:89]
; %bb.914:                              ;   in Loop: Header=BB4_651 Depth=3
	v_or_b32_e32 v30, 0x10000, v50
	v_cmp_eq_u32_sdwa vcc, v50, v2 src0_sel:WORD_0 src1_sel:DWORD
	v_cndmask_b32_e32 v30, v30, v50, vcc
; %bb.915:                              ;   in Loop: Header=BB4_651 Depth=3
	s_or_b64 exec, exec, s[88:89]
	v_and_b32_e32 v29, 0xffff0000, v29
	s_waitcnt vmcnt(2)
	v_lshlrev_b32_e32 v48, 16, v35
	v_add_f32_e32 v50, v29, v48
	v_and_b32_e32 v29, 0x7f800000, v50
	v_cmp_ne_u32_e32 vcc, s46, v29
                                        ; implicit-def: $vgpr29
	s_and_saveexec_b64 s[88:89], vcc
	s_xor_b64 s[88:89], exec, s[88:89]
; %bb.916:                              ;   in Loop: Header=BB4_651 Depth=3
	v_bfe_u32 v29, v50, 16, 1
	v_add3_u32 v29, v50, v29, s47
                                        ; implicit-def: $vgpr50
; %bb.917:                              ;   in Loop: Header=BB4_651 Depth=3
	s_andn2_saveexec_b64 s[88:89], s[88:89]
; %bb.918:                              ;   in Loop: Header=BB4_651 Depth=3
	v_or_b32_e32 v29, 0x10000, v50
	v_cmp_eq_u32_sdwa vcc, v50, v2 src0_sel:WORD_0 src1_sel:DWORD
	v_cndmask_b32_e32 v29, v29, v50, vcc
; %bb.919:                              ;   in Loop: Header=BB4_651 Depth=3
	s_or_b64 exec, exec, s[88:89]
	v_and_b32_e32 v35, 0xffff0000, v35
	v_and_b32_e32 v27, 0xffff0000, v27
	v_add_f32_e32 v35, v27, v35
	v_and_b32_e32 v27, 0x7f800000, v35
	v_cmp_ne_u32_e32 vcc, s46, v27
                                        ; implicit-def: $vgpr27
	s_and_saveexec_b64 s[88:89], vcc
	s_xor_b64 s[88:89], exec, s[88:89]
; %bb.920:                              ;   in Loop: Header=BB4_651 Depth=3
	v_bfe_u32 v27, v35, 16, 1
	v_add3_u32 v27, v35, v27, s47
                                        ; implicit-def: $vgpr35
; %bb.921:                              ;   in Loop: Header=BB4_651 Depth=3
	s_andn2_saveexec_b64 s[88:89], s[88:89]
; %bb.922:                              ;   in Loop: Header=BB4_651 Depth=3
	v_or_b32_e32 v27, 0x10000, v35
	v_cmp_eq_u32_sdwa vcc, v35, v2 src0_sel:WORD_0 src1_sel:DWORD
	v_cndmask_b32_e32 v27, v27, v35, vcc
; %bb.923:                              ;   in Loop: Header=BB4_651 Depth=3
	s_or_b64 exec, exec, s[88:89]
	v_and_b32_e32 v28, 0xffff0000, v28
	s_waitcnt vmcnt(1)
	v_lshlrev_b32_e32 v35, 16, v34
	v_add_f32_e32 v35, v28, v35
	v_and_b32_e32 v28, 0x7f800000, v35
	v_cmp_ne_u32_e32 vcc, s46, v28
                                        ; implicit-def: $vgpr28
	s_and_saveexec_b64 s[88:89], vcc
	s_xor_b64 s[88:89], exec, s[88:89]
; %bb.924:                              ;   in Loop: Header=BB4_651 Depth=3
	v_bfe_u32 v28, v35, 16, 1
	v_add3_u32 v28, v35, v28, s47
                                        ; implicit-def: $vgpr35
; %bb.925:                              ;   in Loop: Header=BB4_651 Depth=3
	s_andn2_saveexec_b64 s[88:89], s[88:89]
; %bb.926:                              ;   in Loop: Header=BB4_651 Depth=3
	v_or_b32_e32 v28, 0x10000, v35
	v_cmp_eq_u32_sdwa vcc, v35, v2 src0_sel:WORD_0 src1_sel:DWORD
	v_cndmask_b32_e32 v28, v28, v35, vcc
; %bb.927:                              ;   in Loop: Header=BB4_651 Depth=3
	s_or_b64 exec, exec, s[88:89]
	v_and_b32_e32 v34, 0xffff0000, v34
	v_and_b32_e32 v3, 0xffff0000, v3
	v_add_f32_e32 v34, v3, v34
	v_and_b32_e32 v3, 0x7f800000, v34
	v_cmp_ne_u32_e32 vcc, s46, v3
                                        ; implicit-def: $vgpr3
	s_and_saveexec_b64 s[88:89], vcc
	s_xor_b64 s[88:89], exec, s[88:89]
; %bb.928:                              ;   in Loop: Header=BB4_651 Depth=3
	v_bfe_u32 v3, v34, 16, 1
	v_add3_u32 v3, v34, v3, s47
                                        ; implicit-def: $vgpr34
; %bb.929:                              ;   in Loop: Header=BB4_651 Depth=3
	s_andn2_saveexec_b64 s[88:89], s[88:89]
; %bb.930:                              ;   in Loop: Header=BB4_651 Depth=3
	v_or_b32_e32 v3, 0x10000, v34
	v_cmp_eq_u32_sdwa vcc, v34, v2 src0_sel:WORD_0 src1_sel:DWORD
	v_cndmask_b32_e32 v3, v3, v34, vcc
; %bb.931:                              ;   in Loop: Header=BB4_651 Depth=3
	s_or_b64 exec, exec, s[88:89]
	v_and_b32_e32 v25, 0xffff0000, v25
	s_waitcnt vmcnt(0)
	v_lshlrev_b32_e32 v34, 16, v31
	v_add_f32_e32 v34, v25, v34
	v_and_b32_e32 v25, 0x7f800000, v34
	v_cmp_ne_u32_e32 vcc, s46, v25
                                        ; implicit-def: $vgpr25
	s_and_saveexec_b64 s[88:89], vcc
	s_xor_b64 s[88:89], exec, s[88:89]
; %bb.932:                              ;   in Loop: Header=BB4_651 Depth=3
	v_bfe_u32 v25, v34, 16, 1
	v_add3_u32 v25, v34, v25, s47
                                        ; implicit-def: $vgpr34
; %bb.933:                              ;   in Loop: Header=BB4_651 Depth=3
	s_andn2_saveexec_b64 s[88:89], s[88:89]
; %bb.934:                              ;   in Loop: Header=BB4_651 Depth=3
	v_or_b32_e32 v25, 0x10000, v34
	v_cmp_eq_u32_sdwa vcc, v34, v2 src0_sel:WORD_0 src1_sel:DWORD
	v_cndmask_b32_e32 v25, v25, v34, vcc
; %bb.935:                              ;   in Loop: Header=BB4_651 Depth=3
	s_or_b64 exec, exec, s[88:89]
	v_and_b32_e32 v31, 0xffff0000, v31
	v_and_b32_e32 v0, 0xffff0000, v0
	v_add_f32_e32 v31, v0, v31
	v_and_b32_e32 v0, 0x7f800000, v31
	v_cmp_ne_u32_e32 vcc, s46, v0
                                        ; implicit-def: $vgpr0
	s_and_saveexec_b64 s[88:89], vcc
	s_xor_b64 s[88:89], exec, s[88:89]
; %bb.936:                              ;   in Loop: Header=BB4_651 Depth=3
	v_bfe_u32 v0, v31, 16, 1
	v_add3_u32 v0, v31, v0, s47
                                        ; implicit-def: $vgpr31
; %bb.937:                              ;   in Loop: Header=BB4_651 Depth=3
	s_andn2_saveexec_b64 s[88:89], s[88:89]
; %bb.938:                              ;   in Loop: Header=BB4_651 Depth=3
	v_or_b32_e32 v0, 0x10000, v31
	v_cmp_eq_u32_sdwa vcc, v31, v2 src0_sel:WORD_0 src1_sel:DWORD
	v_cndmask_b32_e32 v0, v0, v31, vcc
; %bb.939:                              ;   in Loop: Header=BB4_651 Depth=3
	s_or_b64 exec, exec, s[88:89]
	v_lshrrev_b32_e32 v28, 16, v28
	v_lshrrev_b32_e32 v29, 16, v29
	v_lshrrev_b32_e32 v26, 16, v26
	v_and_or_b32 v28, v3, s44, v28
	v_lshrrev_b32_e32 v3, 16, v25
	v_and_or_b32 v27, v27, s44, v29
	v_and_or_b32 v26, v30, s44, v26
	;; [unrolled: 1-line block ×3, first 2 shown]
	global_store_dwordx4 v[20:21], v[26:29], off glc slc
.LBB4_940:                              ;   in Loop: Header=BB4_651 Depth=3
	s_or_b64 exec, exec, s[40:41]
	v_and_b32_e32 v20, 14, v11
	v_cndmask_b32_e64 v3, v23, v20, s[28:29]
	v_cmp_ne_u32_e32 vcc, 0, v3
                                        ; implicit-def: $vgpr11
                                        ; implicit-def: $vgpr27
                                        ; implicit-def: $vgpr0
                                        ; implicit-def: $vgpr28
	s_and_saveexec_b64 s[88:89], vcc
	s_cbranch_execz .LBB4_1151
; %bb.941:                              ;   in Loop: Header=BB4_651 Depth=3
	buffer_load_dword v11, off, s[0:3], s33 offset:200 ; 4-byte Folded Reload
	v_sub_u32_e32 v0, v23, v20
	v_cndmask_b32_e64 v0, 0, v0, s[28:29]
	v_cmp_lt_i32_e32 vcc, 0, v24
	v_add_u32_e32 v4, v0, v4
	v_cndmask_b32_e32 v0, 0, v59, vcc
	v_sub_u32_e32 v0, v0, v24
	v_ashrrev_i32_e32 v21, 31, v3
	v_lshrrev_b32_e32 v21, 22, v21
	v_add_u32_e32 v21, v3, v21
	v_and_b32_e32 v24, 0xfffffc00, v21
	v_sub_u32_e32 v25, v3, v24
	v_ashrrev_i32_e32 v26, 10, v21
	v_cmp_lt_i32_e64 s[28:29], 15, v25
	v_addc_co_u32_e64 v21, vcc, 0, v26, s[28:29]
	s_mov_b64 s[92:93], 0
	s_waitcnt vmcnt(0)
	v_lshl_or_b32 v0, v0, 6, v11
	v_ashrrev_i32_e32 v11, 31, v0
	v_lshrrev_b32_e32 v11, 26, v11
	v_add_u32_e32 v11, v0, v11
	v_ashrrev_i32_e32 v20, 6, v11
	v_and_b32_e32 v11, 0xffffffc0, v11
	v_sub_u32_e32 v23, v0, v11
	v_lshlrev_b32_e32 v0, 4, v23
	v_lshl_add_u32 v11, v20, 10, v0
	v_add_u32_e32 v0, v11, v4
	v_ashrrev_i32_e32 v29, 31, v0
	v_sub_u32_e32 v26, v21, v20
	v_add_co_u32_e32 v20, vcc, v0, v16
	v_sub_u32_e32 v11, v3, v11
	v_addc_co_u32_e32 v21, vcc, v29, v17, vcc
	v_cmp_lt_i32_e32 vcc, 15, v11
	s_and_saveexec_b64 s[90:91], vcc
	s_cbranch_execz .LBB4_1082
; %bb.942:                              ;   in Loop: Header=BB4_651 Depth=3
	v_add_co_u32_e32 v27, vcc, v0, v14
	v_addc_co_u32_e32 v28, vcc, v29, v15, vcc
	s_waitcnt lgkmcnt(0)
	v_add_co_u32_e32 v18, vcc, v0, v18
	s_trap 2
	ds_read_b32 v0, v0
	v_addc_co_u32_e32 v19, vcc, v29, v19, vcc
	s_mov_b64 s[30:31], 0
                                        ; implicit-def: $sgpr94_sgpr95
	s_waitcnt lgkmcnt(0)
	v_lshlrev_b32_e32 v29, 16, v0
	s_branch .LBB4_944
.LBB4_943:                              ;   in Loop: Header=BB4_944 Depth=4
	s_or_b64 exec, exec, s[40:41]
	v_cmp_gt_i32_e32 vcc, 16, v11
	s_or_b64 s[92:93], vcc, s[92:93]
	s_andn2_b64 s[40:41], s[94:95], exec
	s_and_b64 s[94:95], s[30:31], exec
	s_or_b64 s[94:95], s[40:41], s[94:95]
	s_andn2_b64 exec, exec, s[92:93]
	s_cbranch_execz .LBB4_1081
.LBB4_944:                              ;   Parent Loop BB4_47 Depth=1
                                        ;     Parent Loop BB4_648 Depth=2
                                        ;       Parent Loop BB4_651 Depth=3
                                        ; =>      This Loop Header: Depth=4
                                        ;           Child Loop BB4_945 Depth 5
                                        ;           Child Loop BB4_1014 Depth 5
	s_lshr_b32 s8, s33, 6
	s_add_i32 s8, s8, 64
	s_mov_b64 s[34:35], -1
	s_mov_b64 s[36:37], 0
.LBB4_945:                              ;   Parent Loop BB4_47 Depth=1
                                        ;     Parent Loop BB4_648 Depth=2
                                        ;       Parent Loop BB4_651 Depth=3
                                        ;         Parent Loop BB4_944 Depth=4
                                        ; =>        This Inner Loop Header: Depth=5
	s_cmp_eq_u32 s36, 1
	s_cselect_b64 s[40:41], -1, 0
	v_cndmask_b32_e64 v31, v28, v19, s[40:41]
	v_cndmask_b32_e64 v30, v27, v18, s[40:41]
	global_load_dwordx4 v[50:53], v[30:31], off glc slc
	v_mov_b32_e32 v0, s8
	s_cmp_eq_u32 s36, 0
	s_mov_b64 s[36:37], 1
	s_mov_b32 s8, s70
	s_waitcnt vmcnt(0)
	buffer_store_dword v51, v0, s[0:3], 0 offen offset:4
	buffer_store_dword v50, v0, s[0:3], 0 offen
	buffer_store_dword v53, v0, s[0:3], 0 offen offset:12
	buffer_store_dword v52, v0, s[0:3], 0 offen offset:8
	v_add_co_u32_e32 v0, vcc, s52, v30
	v_addc_co_u32_e32 v30, vcc, 0, v31, vcc
	s_cselect_b64 vcc, -1, 0
	v_cndmask_b32_e32 v28, v28, v30, vcc
	v_cndmask_b32_e32 v27, v27, v0, vcc
	v_cndmask_b32_e64 v19, v19, v30, s[40:41]
	v_cndmask_b32_e64 v18, v18, v0, s[40:41]
	s_and_b64 vcc, exec, s[34:35]
	s_mov_b64 s[34:35], 0
	s_cbranch_vccnz .LBB4_945
; %bb.946:                              ;   in Loop: Header=BB4_944 Depth=4
	s_and_saveexec_b64 s[40:41], s[30:31]
	s_cbranch_execz .LBB4_1012
; %bb.947:                              ;   in Loop: Header=BB4_944 Depth=4
	buffer_load_dword v35, off, s[0:3], s33 offset:96
	buffer_load_dword v31, off, s[0:3], s33 offset:100
	;; [unrolled: 1-line block ×4, first 2 shown]
	s_waitcnt vmcnt(3)
	v_lshlrev_b32_e32 v34, 16, v35
	v_mul_f32_e32 v50, v29, v34
	v_and_b32_e32 v34, 0x7f800000, v50
	v_cmp_ne_u32_e32 vcc, s46, v34
                                        ; implicit-def: $vgpr34
	s_and_saveexec_b64 s[30:31], vcc
	s_xor_b64 vcc, exec, s[30:31]
; %bb.948:                              ;   in Loop: Header=BB4_944 Depth=4
	v_bfe_u32 v34, v50, 16, 1
	v_add3_u32 v34, v50, v34, s47
                                        ; implicit-def: $vgpr50
; %bb.949:                              ;   in Loop: Header=BB4_944 Depth=4
	s_andn2_saveexec_b64 s[30:31], vcc
; %bb.950:                              ;   in Loop: Header=BB4_944 Depth=4
	v_or_b32_e32 v34, 0x10000, v50
	v_cmp_eq_u32_sdwa vcc, v50, v2 src0_sel:WORD_0 src1_sel:DWORD
	v_cndmask_b32_e32 v34, v34, v50, vcc
; %bb.951:                              ;   in Loop: Header=BB4_944 Depth=4
	s_or_b64 exec, exec, s[30:31]
	v_and_b32_e32 v35, 0xffff0000, v35
	v_mul_f32_e32 v35, v29, v35
	v_and_b32_e32 v48, 0x7f800000, v35
	v_cmp_ne_u32_e32 vcc, s46, v48
                                        ; implicit-def: $vgpr52
	s_and_saveexec_b64 s[30:31], vcc
	s_xor_b64 vcc, exec, s[30:31]
; %bb.952:                              ;   in Loop: Header=BB4_944 Depth=4
	v_bfe_u32 v48, v35, 16, 1
	v_add3_u32 v52, v35, v48, s47
                                        ; implicit-def: $vgpr35
; %bb.953:                              ;   in Loop: Header=BB4_944 Depth=4
	s_andn2_saveexec_b64 s[30:31], vcc
; %bb.954:                              ;   in Loop: Header=BB4_944 Depth=4
	v_or_b32_e32 v48, 0x10000, v35
	v_cmp_eq_u32_sdwa vcc, v35, v2 src0_sel:WORD_0 src1_sel:DWORD
	v_cndmask_b32_e32 v52, v48, v35, vcc
; %bb.955:                              ;   in Loop: Header=BB4_944 Depth=4
	s_or_b64 exec, exec, s[30:31]
	s_waitcnt vmcnt(2)
	v_lshlrev_b32_e32 v35, 16, v31
	v_mul_f32_e32 v35, v29, v35
	v_and_b32_e32 v48, 0x7f800000, v35
	v_cmp_ne_u32_e32 vcc, s46, v48
                                        ; implicit-def: $vgpr51
	s_and_saveexec_b64 s[30:31], vcc
	s_xor_b64 vcc, exec, s[30:31]
; %bb.956:                              ;   in Loop: Header=BB4_944 Depth=4
	v_bfe_u32 v48, v35, 16, 1
	v_add3_u32 v51, v35, v48, s47
                                        ; implicit-def: $vgpr35
; %bb.957:                              ;   in Loop: Header=BB4_944 Depth=4
	s_andn2_saveexec_b64 s[30:31], vcc
; %bb.958:                              ;   in Loop: Header=BB4_944 Depth=4
	v_or_b32_e32 v48, 0x10000, v35
	v_cmp_eq_u32_sdwa vcc, v35, v2 src0_sel:WORD_0 src1_sel:DWORD
	v_cndmask_b32_e32 v51, v48, v35, vcc
; %bb.959:                              ;   in Loop: Header=BB4_944 Depth=4
	s_or_b64 exec, exec, s[30:31]
	v_and_b32_e32 v31, 0xffff0000, v31
	v_mul_f32_e32 v31, v29, v31
	v_and_b32_e32 v35, 0x7f800000, v31
	v_cmp_ne_u32_e32 vcc, s46, v35
                                        ; implicit-def: $vgpr35
	s_and_saveexec_b64 s[30:31], vcc
	s_xor_b64 vcc, exec, s[30:31]
; %bb.960:                              ;   in Loop: Header=BB4_944 Depth=4
	v_bfe_u32 v35, v31, 16, 1
	v_add3_u32 v35, v31, v35, s47
                                        ; implicit-def: $vgpr31
; %bb.961:                              ;   in Loop: Header=BB4_944 Depth=4
	s_andn2_saveexec_b64 s[30:31], vcc
; %bb.962:                              ;   in Loop: Header=BB4_944 Depth=4
	v_or_b32_e32 v35, 0x10000, v31
	v_cmp_eq_u32_sdwa vcc, v31, v2 src0_sel:WORD_0 src1_sel:DWORD
	v_cndmask_b32_e32 v35, v35, v31, vcc
; %bb.963:                              ;   in Loop: Header=BB4_944 Depth=4
	s_or_b64 exec, exec, s[30:31]
	s_waitcnt vmcnt(1)
	v_lshlrev_b32_e32 v31, 16, v30
	v_mul_f32_e32 v31, v29, v31
	v_and_b32_e32 v48, 0x7f800000, v31
	v_cmp_ne_u32_e32 vcc, s46, v48
                                        ; implicit-def: $vgpr50
	s_and_saveexec_b64 s[30:31], vcc
	s_xor_b64 vcc, exec, s[30:31]
; %bb.964:                              ;   in Loop: Header=BB4_944 Depth=4
	v_bfe_u32 v48, v31, 16, 1
	v_add3_u32 v50, v31, v48, s47
                                        ; implicit-def: $vgpr31
; %bb.965:                              ;   in Loop: Header=BB4_944 Depth=4
	s_andn2_saveexec_b64 s[30:31], vcc
; %bb.966:                              ;   in Loop: Header=BB4_944 Depth=4
	v_or_b32_e32 v48, 0x10000, v31
	v_cmp_eq_u32_sdwa vcc, v31, v2 src0_sel:WORD_0 src1_sel:DWORD
	v_cndmask_b32_e32 v50, v48, v31, vcc
; %bb.967:                              ;   in Loop: Header=BB4_944 Depth=4
	s_or_b64 exec, exec, s[30:31]
	v_and_b32_e32 v30, 0xffff0000, v30
	v_mul_f32_e32 v31, v29, v30
	v_and_b32_e32 v30, 0x7f800000, v31
	v_cmp_ne_u32_e32 vcc, s46, v30
                                        ; implicit-def: $vgpr30
	s_and_saveexec_b64 s[30:31], vcc
	s_xor_b64 vcc, exec, s[30:31]
; %bb.968:                              ;   in Loop: Header=BB4_944 Depth=4
	v_bfe_u32 v30, v31, 16, 1
	v_add3_u32 v30, v31, v30, s47
                                        ; implicit-def: $vgpr31
; %bb.969:                              ;   in Loop: Header=BB4_944 Depth=4
	s_andn2_saveexec_b64 s[30:31], vcc
; %bb.970:                              ;   in Loop: Header=BB4_944 Depth=4
	v_or_b32_e32 v30, 0x10000, v31
	v_cmp_eq_u32_sdwa vcc, v31, v2 src0_sel:WORD_0 src1_sel:DWORD
	v_cndmask_b32_e32 v30, v30, v31, vcc
; %bb.971:                              ;   in Loop: Header=BB4_944 Depth=4
	s_or_b64 exec, exec, s[30:31]
	s_waitcnt vmcnt(0)
	v_lshlrev_b32_e32 v31, 16, v0
	v_mul_f32_e32 v53, v29, v31
	v_and_b32_e32 v31, 0x7f800000, v53
	v_cmp_ne_u32_e32 vcc, s46, v31
                                        ; implicit-def: $vgpr31
	s_and_saveexec_b64 s[30:31], vcc
	s_xor_b64 vcc, exec, s[30:31]
; %bb.972:                              ;   in Loop: Header=BB4_944 Depth=4
	v_bfe_u32 v31, v53, 16, 1
	v_add3_u32 v31, v53, v31, s47
                                        ; implicit-def: $vgpr53
; %bb.973:                              ;   in Loop: Header=BB4_944 Depth=4
	s_andn2_saveexec_b64 s[30:31], vcc
; %bb.974:                              ;   in Loop: Header=BB4_944 Depth=4
	v_or_b32_e32 v31, 0x10000, v53
	v_cmp_eq_u32_sdwa vcc, v53, v2 src0_sel:WORD_0 src1_sel:DWORD
	v_cndmask_b32_e32 v31, v31, v53, vcc
; %bb.975:                              ;   in Loop: Header=BB4_944 Depth=4
	s_or_b64 exec, exec, s[30:31]
	v_and_b32_e32 v0, 0xffff0000, v0
	v_mul_f32_e32 v53, v29, v0
	v_and_b32_e32 v0, 0x7f800000, v53
	v_cmp_ne_u32_e32 vcc, s46, v0
                                        ; implicit-def: $vgpr0
	s_and_saveexec_b64 s[30:31], vcc
	s_xor_b64 vcc, exec, s[30:31]
; %bb.976:                              ;   in Loop: Header=BB4_944 Depth=4
	v_bfe_u32 v0, v53, 16, 1
	v_add3_u32 v0, v53, v0, s47
                                        ; implicit-def: $vgpr53
; %bb.977:                              ;   in Loop: Header=BB4_944 Depth=4
	s_andn2_saveexec_b64 s[30:31], vcc
; %bb.978:                              ;   in Loop: Header=BB4_944 Depth=4
	v_or_b32_e32 v0, 0x10000, v53
	v_cmp_eq_u32_sdwa vcc, v53, v2 src0_sel:WORD_0 src1_sel:DWORD
	v_cndmask_b32_e32 v0, v0, v53, vcc
; %bb.979:                              ;   in Loop: Header=BB4_944 Depth=4
	s_or_b64 exec, exec, s[30:31]
	buffer_load_dword v43, off, s[0:3], s33 offset:112
	buffer_load_dword v56, off, s[0:3], s33 offset:116
	;; [unrolled: 1-line block ×4, first 2 shown]
	v_and_b32_e32 v34, 0xffff0000, v34
	s_waitcnt vmcnt(3)
	v_lshlrev_b32_e32 v48, 16, v43
	v_add_f32_e32 v57, v34, v48
	v_and_b32_e32 v34, 0x7f800000, v57
	v_cmp_ne_u32_e32 vcc, s46, v34
                                        ; implicit-def: $vgpr34
	s_and_saveexec_b64 s[30:31], vcc
	s_xor_b64 vcc, exec, s[30:31]
; %bb.980:                              ;   in Loop: Header=BB4_944 Depth=4
	v_bfe_u32 v34, v57, 16, 1
	v_add3_u32 v34, v57, v34, s47
                                        ; implicit-def: $vgpr57
; %bb.981:                              ;   in Loop: Header=BB4_944 Depth=4
	s_andn2_saveexec_b64 s[30:31], vcc
; %bb.982:                              ;   in Loop: Header=BB4_944 Depth=4
	v_or_b32_e32 v34, 0x10000, v57
	v_cmp_eq_u32_sdwa vcc, v57, v2 src0_sel:WORD_0 src1_sel:DWORD
	v_cndmask_b32_e32 v34, v34, v57, vcc
; %bb.983:                              ;   in Loop: Header=BB4_944 Depth=4
	s_or_b64 exec, exec, s[30:31]
	v_and_b32_e32 v48, 0xffff0000, v52
	v_and_b32_e32 v52, 0xffff0000, v43
	v_add_f32_e32 v43, v48, v52
	v_and_b32_e32 v48, 0x7f800000, v43
	v_cmp_ne_u32_e32 vcc, s46, v48
                                        ; implicit-def: $vgpr52
	s_and_saveexec_b64 s[30:31], vcc
	s_xor_b64 vcc, exec, s[30:31]
; %bb.984:                              ;   in Loop: Header=BB4_944 Depth=4
	v_bfe_u32 v48, v43, 16, 1
	v_add3_u32 v52, v43, v48, s47
                                        ; implicit-def: $vgpr43
; %bb.985:                              ;   in Loop: Header=BB4_944 Depth=4
	s_andn2_saveexec_b64 s[30:31], vcc
; %bb.986:                              ;   in Loop: Header=BB4_944 Depth=4
	v_or_b32_e32 v48, 0x10000, v43
	v_cmp_eq_u32_sdwa vcc, v43, v2 src0_sel:WORD_0 src1_sel:DWORD
	v_cndmask_b32_e32 v52, v48, v43, vcc
; %bb.987:                              ;   in Loop: Header=BB4_944 Depth=4
	s_or_b64 exec, exec, s[30:31]
	v_and_b32_e32 v48, 0xffff0000, v51
	s_waitcnt vmcnt(2)
	v_lshlrev_b32_e32 v51, 16, v56
	v_add_f32_e32 v43, v48, v51
	v_and_b32_e32 v48, 0x7f800000, v43
	v_cmp_ne_u32_e32 vcc, s46, v48
                                        ; implicit-def: $vgpr51
	s_and_saveexec_b64 s[30:31], vcc
	s_xor_b64 vcc, exec, s[30:31]
; %bb.988:                              ;   in Loop: Header=BB4_944 Depth=4
	v_bfe_u32 v48, v43, 16, 1
	v_add3_u32 v51, v43, v48, s47
                                        ; implicit-def: $vgpr43
; %bb.989:                              ;   in Loop: Header=BB4_944 Depth=4
	s_andn2_saveexec_b64 s[30:31], vcc
; %bb.990:                              ;   in Loop: Header=BB4_944 Depth=4
	v_or_b32_e32 v48, 0x10000, v43
	v_cmp_eq_u32_sdwa vcc, v43, v2 src0_sel:WORD_0 src1_sel:DWORD
	v_cndmask_b32_e32 v51, v48, v43, vcc
; %bb.991:                              ;   in Loop: Header=BB4_944 Depth=4
	s_or_b64 exec, exec, s[30:31]
	v_and_b32_e32 v48, 0xffff0000, v56
	v_and_b32_e32 v35, 0xffff0000, v35
	v_add_f32_e32 v43, v35, v48
	v_and_b32_e32 v35, 0x7f800000, v43
	v_cmp_ne_u32_e32 vcc, s46, v35
                                        ; implicit-def: $vgpr35
	s_and_saveexec_b64 s[30:31], vcc
	s_xor_b64 vcc, exec, s[30:31]
; %bb.992:                              ;   in Loop: Header=BB4_944 Depth=4
	v_bfe_u32 v35, v43, 16, 1
	v_add3_u32 v35, v43, v35, s47
                                        ; implicit-def: $vgpr43
; %bb.993:                              ;   in Loop: Header=BB4_944 Depth=4
	s_andn2_saveexec_b64 s[30:31], vcc
; %bb.994:                              ;   in Loop: Header=BB4_944 Depth=4
	v_or_b32_e32 v35, 0x10000, v43
	v_cmp_eq_u32_sdwa vcc, v43, v2 src0_sel:WORD_0 src1_sel:DWORD
	v_cndmask_b32_e32 v35, v35, v43, vcc
; %bb.995:                              ;   in Loop: Header=BB4_944 Depth=4
	s_or_b64 exec, exec, s[30:31]
	v_and_b32_e32 v48, 0xffff0000, v50
	s_waitcnt vmcnt(1)
	v_lshlrev_b32_e32 v50, 16, v44
	v_add_f32_e32 v43, v48, v50
	v_and_b32_e32 v48, 0x7f800000, v43
	v_cmp_ne_u32_e32 vcc, s46, v48
                                        ; implicit-def: $vgpr50
	s_and_saveexec_b64 s[30:31], vcc
	s_xor_b64 vcc, exec, s[30:31]
; %bb.996:                              ;   in Loop: Header=BB4_944 Depth=4
	v_bfe_u32 v48, v43, 16, 1
	v_add3_u32 v50, v43, v48, s47
                                        ; implicit-def: $vgpr43
; %bb.997:                              ;   in Loop: Header=BB4_944 Depth=4
	s_andn2_saveexec_b64 s[30:31], vcc
; %bb.998:                              ;   in Loop: Header=BB4_944 Depth=4
	v_or_b32_e32 v48, 0x10000, v43
	v_cmp_eq_u32_sdwa vcc, v43, v2 src0_sel:WORD_0 src1_sel:DWORD
	v_cndmask_b32_e32 v50, v48, v43, vcc
; %bb.999:                              ;   in Loop: Header=BB4_944 Depth=4
	s_or_b64 exec, exec, s[30:31]
	v_and_b32_e32 v48, 0xffff0000, v44
	v_and_b32_e32 v30, 0xffff0000, v30
	v_add_f32_e32 v43, v30, v48
	v_and_b32_e32 v30, 0x7f800000, v43
	v_cmp_ne_u32_e32 vcc, s46, v30
                                        ; implicit-def: $vgpr30
	s_and_saveexec_b64 s[30:31], vcc
	s_xor_b64 vcc, exec, s[30:31]
; %bb.1000:                             ;   in Loop: Header=BB4_944 Depth=4
	v_bfe_u32 v30, v43, 16, 1
	v_add3_u32 v30, v43, v30, s47
                                        ; implicit-def: $vgpr43
; %bb.1001:                             ;   in Loop: Header=BB4_944 Depth=4
	s_andn2_saveexec_b64 s[30:31], vcc
; %bb.1002:                             ;   in Loop: Header=BB4_944 Depth=4
	v_or_b32_e32 v30, 0x10000, v43
	v_cmp_eq_u32_sdwa vcc, v43, v2 src0_sel:WORD_0 src1_sel:DWORD
	v_cndmask_b32_e32 v30, v30, v43, vcc
; %bb.1003:                             ;   in Loop: Header=BB4_944 Depth=4
	s_or_b64 exec, exec, s[30:31]
	v_and_b32_e32 v31, 0xffff0000, v31
	s_waitcnt vmcnt(0)
	v_lshlrev_b32_e32 v48, 16, v53
	v_add_f32_e32 v43, v31, v48
	v_and_b32_e32 v31, 0x7f800000, v43
	v_cmp_ne_u32_e32 vcc, s46, v31
                                        ; implicit-def: $vgpr31
	s_and_saveexec_b64 s[30:31], vcc
	s_xor_b64 vcc, exec, s[30:31]
; %bb.1004:                             ;   in Loop: Header=BB4_944 Depth=4
	v_bfe_u32 v31, v43, 16, 1
	v_add3_u32 v31, v43, v31, s47
                                        ; implicit-def: $vgpr43
; %bb.1005:                             ;   in Loop: Header=BB4_944 Depth=4
	s_andn2_saveexec_b64 s[30:31], vcc
; %bb.1006:                             ;   in Loop: Header=BB4_944 Depth=4
	v_or_b32_e32 v31, 0x10000, v43
	v_cmp_eq_u32_sdwa vcc, v43, v2 src0_sel:WORD_0 src1_sel:DWORD
	v_cndmask_b32_e32 v31, v31, v43, vcc
; %bb.1007:                             ;   in Loop: Header=BB4_944 Depth=4
	s_or_b64 exec, exec, s[30:31]
	v_and_b32_e32 v48, 0xffff0000, v53
	v_and_b32_e32 v0, 0xffff0000, v0
	v_add_f32_e32 v53, v0, v48
	v_and_b32_e32 v0, 0x7f800000, v53
	v_cmp_ne_u32_e32 vcc, s46, v0
                                        ; implicit-def: $vgpr0
	s_and_saveexec_b64 s[30:31], vcc
	s_xor_b64 vcc, exec, s[30:31]
; %bb.1008:                             ;   in Loop: Header=BB4_944 Depth=4
	v_bfe_u32 v0, v53, 16, 1
	v_add3_u32 v0, v53, v0, s47
                                        ; implicit-def: $vgpr53
; %bb.1009:                             ;   in Loop: Header=BB4_944 Depth=4
	s_andn2_saveexec_b64 s[30:31], vcc
; %bb.1010:                             ;   in Loop: Header=BB4_944 Depth=4
	v_or_b32_e32 v0, 0x10000, v53
	v_cmp_eq_u32_sdwa vcc, v53, v2 src0_sel:WORD_0 src1_sel:DWORD
	v_cndmask_b32_e32 v0, v0, v53, vcc
; %bb.1011:                             ;   in Loop: Header=BB4_944 Depth=4
	s_or_b64 exec, exec, s[30:31]
	v_lshrrev_b32_e32 v34, 16, v34
	v_lshrrev_b32_e32 v48, 16, v51
	v_and_or_b32 v43, v52, s44, v34
	v_lshrrev_b32_e32 v34, 16, v50
	v_and_or_b32 v44, v35, s44, v48
	v_and_or_b32 v45, v30, s44, v34
	v_lshrrev_b32_e32 v30, 16, v31
	v_and_or_b32 v46, v0, s44, v30
	buffer_store_dword v44, off, s[0:3], s33 offset:100
	buffer_store_dword v43, off, s[0:3], s33 offset:96
	;; [unrolled: 1-line block ×4, first 2 shown]
	buffer_load_dword v0, off, s[0:3], s33 offset:132 ; 4-byte Folded Reload
	s_nop 0
	global_store_dwordx4 v[20:21], v[43:46], off glc slc
	s_waitcnt vmcnt(1)
	v_add_co_u32_e32 v20, vcc, v0, v20
	buffer_load_dword v0, off, s[0:3], s33 offset:136 ; 4-byte Folded Reload
	s_waitcnt vmcnt(0)
	v_addc_co_u32_e32 v21, vcc, v0, v21, vcc
.LBB4_1012:                             ;   in Loop: Header=BB4_944 Depth=4
	s_or_b64 exec, exec, s[40:41]
	buffer_load_dword v0, off, s[0:3], s33 offset:128 ; 4-byte Folded Reload
	s_waitcnt vmcnt(0)
	v_add_co_u32_e32 v27, vcc, v27, v0
	v_addc_co_u32_e32 v28, vcc, v28, v49, vcc
	v_add_co_u32_e32 v18, vcc, v18, v0
	v_lshlrev_b32_e32 v0, 10, v59
	v_sub_u32_e32 v11, v11, v0
	v_addc_co_u32_e32 v19, vcc, v19, v49, vcc
	v_cmp_lt_i32_e64 s[30:31], 15, v11
	s_and_saveexec_b64 s[34:35], s[30:31]
	s_cbranch_execz .LBB4_1015
; %bb.1013:                             ;   in Loop: Header=BB4_944 Depth=4
	s_lshr_b32 s8, s33, 6
	s_addk_i32 s8, 0x60
	s_mov_b64 s[38:39], 0
	s_mov_b64 s[36:37], -1
.LBB4_1014:                             ;   Parent Loop BB4_47 Depth=1
                                        ;     Parent Loop BB4_648 Depth=2
                                        ;       Parent Loop BB4_651 Depth=3
                                        ;         Parent Loop BB4_944 Depth=4
                                        ; =>        This Inner Loop Header: Depth=5
	s_cmp_eq_u32 s38, 1
	s_cselect_b64 s[40:41], -1, 0
	v_cndmask_b32_e64 v31, v28, v19, s[40:41]
	v_cndmask_b32_e64 v30, v27, v18, s[40:41]
	global_load_dwordx4 v[50:53], v[30:31], off glc slc
	v_mov_b32_e32 v0, s8
	s_cmp_eq_u32 s38, 0
	s_mov_b64 s[38:39], 1
	s_mov_b32 s8, s69
	s_waitcnt vmcnt(0)
	buffer_store_dword v51, v0, s[0:3], 0 offen offset:4
	buffer_store_dword v50, v0, s[0:3], 0 offen
	buffer_store_dword v53, v0, s[0:3], 0 offen offset:12
	buffer_store_dword v52, v0, s[0:3], 0 offen offset:8
	v_add_co_u32_e32 v0, vcc, s52, v30
	v_addc_co_u32_e32 v30, vcc, 0, v31, vcc
	s_cselect_b64 vcc, -1, 0
	v_cndmask_b32_e32 v28, v28, v30, vcc
	v_cndmask_b32_e32 v27, v27, v0, vcc
	v_cndmask_b32_e64 v19, v19, v30, s[40:41]
	v_cndmask_b32_e64 v18, v18, v0, s[40:41]
	s_and_b64 vcc, exec, s[36:37]
	s_mov_b64 s[36:37], 0
	s_cbranch_vccnz .LBB4_1014
.LBB4_1015:                             ;   in Loop: Header=BB4_944 Depth=4
	s_or_b64 exec, exec, s[34:35]
	buffer_load_dword v35, off, s[0:3], s33 offset:64
	buffer_load_dword v31, off, s[0:3], s33 offset:68
	;; [unrolled: 1-line block ×4, first 2 shown]
	s_waitcnt vmcnt(3)
	v_lshlrev_b32_e32 v34, 16, v35
	v_mul_f32_e32 v50, v29, v34
	v_and_b32_e32 v34, 0x7f800000, v50
	v_cmp_ne_u32_e32 vcc, s46, v34
                                        ; implicit-def: $vgpr34
	s_and_saveexec_b64 s[40:41], vcc
	s_xor_b64 s[40:41], exec, s[40:41]
; %bb.1016:                             ;   in Loop: Header=BB4_944 Depth=4
	v_bfe_u32 v34, v50, 16, 1
	v_add3_u32 v34, v50, v34, s47
                                        ; implicit-def: $vgpr50
; %bb.1017:                             ;   in Loop: Header=BB4_944 Depth=4
	s_andn2_saveexec_b64 s[40:41], s[40:41]
; %bb.1018:                             ;   in Loop: Header=BB4_944 Depth=4
	v_or_b32_e32 v34, 0x10000, v50
	v_cmp_eq_u32_sdwa vcc, v50, v2 src0_sel:WORD_0 src1_sel:DWORD
	v_cndmask_b32_e32 v34, v34, v50, vcc
; %bb.1019:                             ;   in Loop: Header=BB4_944 Depth=4
	s_or_b64 exec, exec, s[40:41]
	v_and_b32_e32 v35, 0xffff0000, v35
	v_mul_f32_e32 v35, v29, v35
	v_and_b32_e32 v48, 0x7f800000, v35
	v_cmp_ne_u32_e32 vcc, s46, v48
                                        ; implicit-def: $vgpr52
	s_and_saveexec_b64 s[40:41], vcc
	s_xor_b64 s[40:41], exec, s[40:41]
; %bb.1020:                             ;   in Loop: Header=BB4_944 Depth=4
	v_bfe_u32 v48, v35, 16, 1
	v_add3_u32 v52, v35, v48, s47
                                        ; implicit-def: $vgpr35
; %bb.1021:                             ;   in Loop: Header=BB4_944 Depth=4
	s_andn2_saveexec_b64 s[40:41], s[40:41]
; %bb.1022:                             ;   in Loop: Header=BB4_944 Depth=4
	v_or_b32_e32 v48, 0x10000, v35
	v_cmp_eq_u32_sdwa vcc, v35, v2 src0_sel:WORD_0 src1_sel:DWORD
	v_cndmask_b32_e32 v52, v48, v35, vcc
; %bb.1023:                             ;   in Loop: Header=BB4_944 Depth=4
	s_or_b64 exec, exec, s[40:41]
	s_waitcnt vmcnt(2)
	v_lshlrev_b32_e32 v35, 16, v31
	v_mul_f32_e32 v35, v29, v35
	v_and_b32_e32 v48, 0x7f800000, v35
	v_cmp_ne_u32_e32 vcc, s46, v48
                                        ; implicit-def: $vgpr51
	s_and_saveexec_b64 s[40:41], vcc
	s_xor_b64 s[40:41], exec, s[40:41]
; %bb.1024:                             ;   in Loop: Header=BB4_944 Depth=4
	v_bfe_u32 v48, v35, 16, 1
	v_add3_u32 v51, v35, v48, s47
                                        ; implicit-def: $vgpr35
; %bb.1025:                             ;   in Loop: Header=BB4_944 Depth=4
	s_andn2_saveexec_b64 s[40:41], s[40:41]
; %bb.1026:                             ;   in Loop: Header=BB4_944 Depth=4
	v_or_b32_e32 v48, 0x10000, v35
	v_cmp_eq_u32_sdwa vcc, v35, v2 src0_sel:WORD_0 src1_sel:DWORD
	v_cndmask_b32_e32 v51, v48, v35, vcc
; %bb.1027:                             ;   in Loop: Header=BB4_944 Depth=4
	s_or_b64 exec, exec, s[40:41]
	v_and_b32_e32 v31, 0xffff0000, v31
	v_mul_f32_e32 v31, v29, v31
	v_and_b32_e32 v35, 0x7f800000, v31
	v_cmp_ne_u32_e32 vcc, s46, v35
                                        ; implicit-def: $vgpr35
	s_and_saveexec_b64 s[40:41], vcc
	s_xor_b64 s[40:41], exec, s[40:41]
; %bb.1028:                             ;   in Loop: Header=BB4_944 Depth=4
	v_bfe_u32 v35, v31, 16, 1
	v_add3_u32 v35, v31, v35, s47
                                        ; implicit-def: $vgpr31
; %bb.1029:                             ;   in Loop: Header=BB4_944 Depth=4
	s_andn2_saveexec_b64 s[40:41], s[40:41]
; %bb.1030:                             ;   in Loop: Header=BB4_944 Depth=4
	v_or_b32_e32 v35, 0x10000, v31
	v_cmp_eq_u32_sdwa vcc, v31, v2 src0_sel:WORD_0 src1_sel:DWORD
	v_cndmask_b32_e32 v35, v35, v31, vcc
; %bb.1031:                             ;   in Loop: Header=BB4_944 Depth=4
	s_or_b64 exec, exec, s[40:41]
	s_waitcnt vmcnt(1)
	v_lshlrev_b32_e32 v31, 16, v30
	v_mul_f32_e32 v31, v29, v31
	v_and_b32_e32 v48, 0x7f800000, v31
	v_cmp_ne_u32_e32 vcc, s46, v48
                                        ; implicit-def: $vgpr50
	s_and_saveexec_b64 s[40:41], vcc
	s_xor_b64 s[40:41], exec, s[40:41]
; %bb.1032:                             ;   in Loop: Header=BB4_944 Depth=4
	v_bfe_u32 v48, v31, 16, 1
	v_add3_u32 v50, v31, v48, s47
                                        ; implicit-def: $vgpr31
; %bb.1033:                             ;   in Loop: Header=BB4_944 Depth=4
	s_andn2_saveexec_b64 s[40:41], s[40:41]
; %bb.1034:                             ;   in Loop: Header=BB4_944 Depth=4
	v_or_b32_e32 v48, 0x10000, v31
	v_cmp_eq_u32_sdwa vcc, v31, v2 src0_sel:WORD_0 src1_sel:DWORD
	v_cndmask_b32_e32 v50, v48, v31, vcc
; %bb.1035:                             ;   in Loop: Header=BB4_944 Depth=4
	s_or_b64 exec, exec, s[40:41]
	v_and_b32_e32 v30, 0xffff0000, v30
	v_mul_f32_e32 v31, v29, v30
	v_and_b32_e32 v30, 0x7f800000, v31
	v_cmp_ne_u32_e32 vcc, s46, v30
                                        ; implicit-def: $vgpr30
	s_and_saveexec_b64 s[40:41], vcc
	s_xor_b64 s[40:41], exec, s[40:41]
; %bb.1036:                             ;   in Loop: Header=BB4_944 Depth=4
	v_bfe_u32 v30, v31, 16, 1
	v_add3_u32 v30, v31, v30, s47
                                        ; implicit-def: $vgpr31
; %bb.1037:                             ;   in Loop: Header=BB4_944 Depth=4
	s_andn2_saveexec_b64 s[40:41], s[40:41]
; %bb.1038:                             ;   in Loop: Header=BB4_944 Depth=4
	v_or_b32_e32 v30, 0x10000, v31
	v_cmp_eq_u32_sdwa vcc, v31, v2 src0_sel:WORD_0 src1_sel:DWORD
	v_cndmask_b32_e32 v30, v30, v31, vcc
; %bb.1039:                             ;   in Loop: Header=BB4_944 Depth=4
	s_or_b64 exec, exec, s[40:41]
	s_waitcnt vmcnt(0)
	v_lshlrev_b32_e32 v31, 16, v0
	v_mul_f32_e32 v53, v29, v31
	v_and_b32_e32 v31, 0x7f800000, v53
	v_cmp_ne_u32_e32 vcc, s46, v31
                                        ; implicit-def: $vgpr31
	s_and_saveexec_b64 s[40:41], vcc
	s_xor_b64 s[40:41], exec, s[40:41]
; %bb.1040:                             ;   in Loop: Header=BB4_944 Depth=4
	v_bfe_u32 v31, v53, 16, 1
	v_add3_u32 v31, v53, v31, s47
                                        ; implicit-def: $vgpr53
; %bb.1041:                             ;   in Loop: Header=BB4_944 Depth=4
	s_andn2_saveexec_b64 s[40:41], s[40:41]
; %bb.1042:                             ;   in Loop: Header=BB4_944 Depth=4
	v_or_b32_e32 v31, 0x10000, v53
	v_cmp_eq_u32_sdwa vcc, v53, v2 src0_sel:WORD_0 src1_sel:DWORD
	v_cndmask_b32_e32 v31, v31, v53, vcc
; %bb.1043:                             ;   in Loop: Header=BB4_944 Depth=4
	s_or_b64 exec, exec, s[40:41]
	v_and_b32_e32 v0, 0xffff0000, v0
	v_mul_f32_e32 v53, v29, v0
	v_and_b32_e32 v0, 0x7f800000, v53
	v_cmp_ne_u32_e32 vcc, s46, v0
                                        ; implicit-def: $vgpr0
	s_and_saveexec_b64 s[40:41], vcc
	s_xor_b64 s[40:41], exec, s[40:41]
; %bb.1044:                             ;   in Loop: Header=BB4_944 Depth=4
	v_bfe_u32 v0, v53, 16, 1
	v_add3_u32 v0, v53, v0, s47
                                        ; implicit-def: $vgpr53
; %bb.1045:                             ;   in Loop: Header=BB4_944 Depth=4
	s_andn2_saveexec_b64 s[40:41], s[40:41]
; %bb.1046:                             ;   in Loop: Header=BB4_944 Depth=4
	v_or_b32_e32 v0, 0x10000, v53
	v_cmp_eq_u32_sdwa vcc, v53, v2 src0_sel:WORD_0 src1_sel:DWORD
	v_cndmask_b32_e32 v0, v0, v53, vcc
; %bb.1047:                             ;   in Loop: Header=BB4_944 Depth=4
	s_or_b64 exec, exec, s[40:41]
	buffer_load_dword v43, off, s[0:3], s33 offset:80
	buffer_load_dword v56, off, s[0:3], s33 offset:84
	;; [unrolled: 1-line block ×4, first 2 shown]
	v_and_b32_e32 v34, 0xffff0000, v34
	s_waitcnt vmcnt(3)
	v_lshlrev_b32_e32 v48, 16, v43
	v_add_f32_e32 v57, v34, v48
	v_and_b32_e32 v34, 0x7f800000, v57
	v_cmp_ne_u32_e32 vcc, s46, v34
                                        ; implicit-def: $vgpr34
	s_and_saveexec_b64 s[40:41], vcc
	s_xor_b64 s[40:41], exec, s[40:41]
; %bb.1048:                             ;   in Loop: Header=BB4_944 Depth=4
	v_bfe_u32 v34, v57, 16, 1
	v_add3_u32 v34, v57, v34, s47
                                        ; implicit-def: $vgpr57
; %bb.1049:                             ;   in Loop: Header=BB4_944 Depth=4
	s_andn2_saveexec_b64 s[40:41], s[40:41]
; %bb.1050:                             ;   in Loop: Header=BB4_944 Depth=4
	v_or_b32_e32 v34, 0x10000, v57
	v_cmp_eq_u32_sdwa vcc, v57, v2 src0_sel:WORD_0 src1_sel:DWORD
	v_cndmask_b32_e32 v34, v34, v57, vcc
; %bb.1051:                             ;   in Loop: Header=BB4_944 Depth=4
	s_or_b64 exec, exec, s[40:41]
	v_and_b32_e32 v48, 0xffff0000, v52
	v_and_b32_e32 v52, 0xffff0000, v43
	v_add_f32_e32 v43, v48, v52
	v_and_b32_e32 v48, 0x7f800000, v43
	v_cmp_ne_u32_e32 vcc, s46, v48
                                        ; implicit-def: $vgpr52
	s_and_saveexec_b64 s[40:41], vcc
	s_xor_b64 s[40:41], exec, s[40:41]
; %bb.1052:                             ;   in Loop: Header=BB4_944 Depth=4
	v_bfe_u32 v48, v43, 16, 1
	v_add3_u32 v52, v43, v48, s47
                                        ; implicit-def: $vgpr43
; %bb.1053:                             ;   in Loop: Header=BB4_944 Depth=4
	s_andn2_saveexec_b64 s[40:41], s[40:41]
; %bb.1054:                             ;   in Loop: Header=BB4_944 Depth=4
	v_or_b32_e32 v48, 0x10000, v43
	v_cmp_eq_u32_sdwa vcc, v43, v2 src0_sel:WORD_0 src1_sel:DWORD
	v_cndmask_b32_e32 v52, v48, v43, vcc
; %bb.1055:                             ;   in Loop: Header=BB4_944 Depth=4
	s_or_b64 exec, exec, s[40:41]
	v_and_b32_e32 v48, 0xffff0000, v51
	s_waitcnt vmcnt(2)
	v_lshlrev_b32_e32 v51, 16, v56
	v_add_f32_e32 v43, v48, v51
	v_and_b32_e32 v48, 0x7f800000, v43
	v_cmp_ne_u32_e32 vcc, s46, v48
                                        ; implicit-def: $vgpr51
	s_and_saveexec_b64 s[40:41], vcc
	s_xor_b64 s[40:41], exec, s[40:41]
; %bb.1056:                             ;   in Loop: Header=BB4_944 Depth=4
	v_bfe_u32 v48, v43, 16, 1
	v_add3_u32 v51, v43, v48, s47
                                        ; implicit-def: $vgpr43
; %bb.1057:                             ;   in Loop: Header=BB4_944 Depth=4
	s_andn2_saveexec_b64 s[40:41], s[40:41]
; %bb.1058:                             ;   in Loop: Header=BB4_944 Depth=4
	v_or_b32_e32 v48, 0x10000, v43
	v_cmp_eq_u32_sdwa vcc, v43, v2 src0_sel:WORD_0 src1_sel:DWORD
	v_cndmask_b32_e32 v51, v48, v43, vcc
; %bb.1059:                             ;   in Loop: Header=BB4_944 Depth=4
	s_or_b64 exec, exec, s[40:41]
	v_and_b32_e32 v48, 0xffff0000, v56
	v_and_b32_e32 v35, 0xffff0000, v35
	v_add_f32_e32 v43, v35, v48
	v_and_b32_e32 v35, 0x7f800000, v43
	v_cmp_ne_u32_e32 vcc, s46, v35
                                        ; implicit-def: $vgpr35
	s_and_saveexec_b64 s[40:41], vcc
	s_xor_b64 s[40:41], exec, s[40:41]
; %bb.1060:                             ;   in Loop: Header=BB4_944 Depth=4
	v_bfe_u32 v35, v43, 16, 1
	v_add3_u32 v35, v43, v35, s47
                                        ; implicit-def: $vgpr43
; %bb.1061:                             ;   in Loop: Header=BB4_944 Depth=4
	s_andn2_saveexec_b64 s[40:41], s[40:41]
; %bb.1062:                             ;   in Loop: Header=BB4_944 Depth=4
	v_or_b32_e32 v35, 0x10000, v43
	v_cmp_eq_u32_sdwa vcc, v43, v2 src0_sel:WORD_0 src1_sel:DWORD
	v_cndmask_b32_e32 v35, v35, v43, vcc
; %bb.1063:                             ;   in Loop: Header=BB4_944 Depth=4
	s_or_b64 exec, exec, s[40:41]
	v_and_b32_e32 v48, 0xffff0000, v50
	s_waitcnt vmcnt(1)
	v_lshlrev_b32_e32 v50, 16, v44
	v_add_f32_e32 v43, v48, v50
	v_and_b32_e32 v48, 0x7f800000, v43
	v_cmp_ne_u32_e32 vcc, s46, v48
                                        ; implicit-def: $vgpr50
	s_and_saveexec_b64 s[40:41], vcc
	s_xor_b64 s[40:41], exec, s[40:41]
; %bb.1064:                             ;   in Loop: Header=BB4_944 Depth=4
	v_bfe_u32 v48, v43, 16, 1
	v_add3_u32 v50, v43, v48, s47
                                        ; implicit-def: $vgpr43
; %bb.1065:                             ;   in Loop: Header=BB4_944 Depth=4
	s_andn2_saveexec_b64 s[40:41], s[40:41]
; %bb.1066:                             ;   in Loop: Header=BB4_944 Depth=4
	v_or_b32_e32 v48, 0x10000, v43
	v_cmp_eq_u32_sdwa vcc, v43, v2 src0_sel:WORD_0 src1_sel:DWORD
	v_cndmask_b32_e32 v50, v48, v43, vcc
; %bb.1067:                             ;   in Loop: Header=BB4_944 Depth=4
	s_or_b64 exec, exec, s[40:41]
	v_and_b32_e32 v48, 0xffff0000, v44
	v_and_b32_e32 v30, 0xffff0000, v30
	v_add_f32_e32 v43, v30, v48
	v_and_b32_e32 v30, 0x7f800000, v43
	v_cmp_ne_u32_e32 vcc, s46, v30
                                        ; implicit-def: $vgpr30
	s_and_saveexec_b64 s[40:41], vcc
	s_xor_b64 s[40:41], exec, s[40:41]
; %bb.1068:                             ;   in Loop: Header=BB4_944 Depth=4
	v_bfe_u32 v30, v43, 16, 1
	v_add3_u32 v30, v43, v30, s47
                                        ; implicit-def: $vgpr43
; %bb.1069:                             ;   in Loop: Header=BB4_944 Depth=4
	s_andn2_saveexec_b64 s[40:41], s[40:41]
; %bb.1070:                             ;   in Loop: Header=BB4_944 Depth=4
	v_or_b32_e32 v30, 0x10000, v43
	v_cmp_eq_u32_sdwa vcc, v43, v2 src0_sel:WORD_0 src1_sel:DWORD
	v_cndmask_b32_e32 v30, v30, v43, vcc
; %bb.1071:                             ;   in Loop: Header=BB4_944 Depth=4
	s_or_b64 exec, exec, s[40:41]
	v_and_b32_e32 v31, 0xffff0000, v31
	s_waitcnt vmcnt(0)
	v_lshlrev_b32_e32 v48, 16, v53
	v_add_f32_e32 v43, v31, v48
	v_and_b32_e32 v31, 0x7f800000, v43
	v_cmp_ne_u32_e32 vcc, s46, v31
                                        ; implicit-def: $vgpr31
	s_and_saveexec_b64 s[40:41], vcc
	s_xor_b64 s[40:41], exec, s[40:41]
; %bb.1072:                             ;   in Loop: Header=BB4_944 Depth=4
	v_bfe_u32 v31, v43, 16, 1
	v_add3_u32 v31, v43, v31, s47
                                        ; implicit-def: $vgpr43
; %bb.1073:                             ;   in Loop: Header=BB4_944 Depth=4
	s_andn2_saveexec_b64 s[40:41], s[40:41]
; %bb.1074:                             ;   in Loop: Header=BB4_944 Depth=4
	v_or_b32_e32 v31, 0x10000, v43
	v_cmp_eq_u32_sdwa vcc, v43, v2 src0_sel:WORD_0 src1_sel:DWORD
	v_cndmask_b32_e32 v31, v31, v43, vcc
; %bb.1075:                             ;   in Loop: Header=BB4_944 Depth=4
	s_or_b64 exec, exec, s[40:41]
	v_and_b32_e32 v48, 0xffff0000, v53
	v_and_b32_e32 v0, 0xffff0000, v0
	v_add_f32_e32 v53, v0, v48
	v_and_b32_e32 v0, 0x7f800000, v53
	v_cmp_ne_u32_e32 vcc, s46, v0
                                        ; implicit-def: $vgpr0
	s_and_saveexec_b64 s[40:41], vcc
	s_xor_b64 s[40:41], exec, s[40:41]
; %bb.1076:                             ;   in Loop: Header=BB4_944 Depth=4
	v_bfe_u32 v0, v53, 16, 1
	v_add3_u32 v0, v53, v0, s47
                                        ; implicit-def: $vgpr53
; %bb.1077:                             ;   in Loop: Header=BB4_944 Depth=4
	s_andn2_saveexec_b64 s[40:41], s[40:41]
; %bb.1078:                             ;   in Loop: Header=BB4_944 Depth=4
	v_or_b32_e32 v0, 0x10000, v53
	v_cmp_eq_u32_sdwa vcc, v53, v2 src0_sel:WORD_0 src1_sel:DWORD
	v_cndmask_b32_e32 v0, v0, v53, vcc
; %bb.1079:                             ;   in Loop: Header=BB4_944 Depth=4
	s_or_b64 exec, exec, s[40:41]
	v_lshrrev_b32_e32 v34, 16, v34
	v_and_or_b32 v43, v52, s44, v34
	v_lshrrev_b32_e32 v34, 16, v50
	v_lshrrev_b32_e32 v48, 16, v51
	v_and_or_b32 v45, v30, s44, v34
	v_lshrrev_b32_e32 v30, 16, v31
	v_and_or_b32 v44, v35, s44, v48
	v_and_or_b32 v46, v0, s44, v30
	buffer_store_dword v44, off, s[0:3], s33 offset:68
	buffer_store_dword v43, off, s[0:3], s33 offset:64
	;; [unrolled: 1-line block ×4, first 2 shown]
	global_store_dwordx4 v[20:21], v[43:46], off glc slc
	v_add_co_u32_e32 v20, vcc, 0x400, v20
	v_sub_u32_e32 v26, v26, v59
	v_addc_co_u32_e32 v21, vcc, 0, v21, vcc
	s_and_saveexec_b64 s[40:41], s[30:31]
	s_cbranch_execz .LBB4_943
; %bb.1080:                             ;   in Loop: Header=BB4_944 Depth=4
	buffer_load_dword v0, off, s[0:3], s33 offset:128 ; 4-byte Folded Reload
	v_sub_u32_e32 v26, v26, v59
	s_waitcnt vmcnt(0)
	v_add_co_u32_e32 v27, vcc, v27, v0
	v_addc_co_u32_e32 v28, vcc, v28, v49, vcc
	v_add_co_u32_e32 v18, vcc, v18, v0
	v_addc_co_u32_e32 v19, vcc, v19, v49, vcc
	v_add_co_u32_e32 v20, vcc, v20, v0
	v_lshlrev_b32_e32 v0, 10, v59
	v_addc_co_u32_e32 v21, vcc, v21, v49, vcc
	v_sub_u32_e32 v11, v11, v0
	s_branch .LBB4_943
.LBB4_1081:                             ;   in Loop: Header=BB4_651 Depth=3
	s_or_b64 exec, exec, s[92:93]
	s_and_b64 s[92:93], s[94:95], exec
.LBB4_1082:                             ;   in Loop: Header=BB4_651 Depth=3
	s_or_b64 exec, exec, s[90:91]
	s_and_saveexec_b64 s[40:41], s[92:93]
	s_cbranch_execz .LBB4_1148
; %bb.1083:                             ;   in Loop: Header=BB4_651 Depth=3
	s_trap 2
	buffer_load_dword v27, off, s[0:3], s33 offset:96
	s_waitcnt lgkmcnt(0)
	buffer_load_dword v18, off, s[0:3], s33 offset:100
	buffer_load_dword v11, off, s[0:3], s33 offset:104
	;; [unrolled: 1-line block ×3, first 2 shown]
	s_waitcnt vmcnt(0)
	ds_read_b32 v19, v0
	s_waitcnt lgkmcnt(0)
	v_lshlrev_b32_e32 v31, 16, v19
	v_lshlrev_b32_e32 v19, 16, v27
	v_mul_f32_e32 v28, v31, v19
	v_and_b32_e32 v19, 0x7f800000, v28
	v_cmp_ne_u32_e32 vcc, s46, v19
                                        ; implicit-def: $vgpr19
	s_and_saveexec_b64 s[90:91], vcc
	s_xor_b64 s[90:91], exec, s[90:91]
; %bb.1084:                             ;   in Loop: Header=BB4_651 Depth=3
	v_bfe_u32 v19, v28, 16, 1
	v_add3_u32 v19, v28, v19, s47
                                        ; implicit-def: $vgpr28
; %bb.1085:                             ;   in Loop: Header=BB4_651 Depth=3
	s_andn2_saveexec_b64 s[90:91], s[90:91]
; %bb.1086:                             ;   in Loop: Header=BB4_651 Depth=3
	v_or_b32_e32 v19, 0x10000, v28
	v_cmp_eq_u32_sdwa vcc, v28, v2 src0_sel:WORD_0 src1_sel:DWORD
	v_cndmask_b32_e32 v19, v19, v28, vcc
; %bb.1087:                             ;   in Loop: Header=BB4_651 Depth=3
	s_or_b64 exec, exec, s[90:91]
	v_and_b32_e32 v27, 0xffff0000, v27
	v_mul_f32_e32 v27, v31, v27
	v_and_b32_e32 v28, 0x7f800000, v27
	v_cmp_ne_u32_e32 vcc, s46, v28
                                        ; implicit-def: $vgpr30
	s_and_saveexec_b64 s[90:91], vcc
	s_xor_b64 s[90:91], exec, s[90:91]
; %bb.1088:                             ;   in Loop: Header=BB4_651 Depth=3
	v_bfe_u32 v28, v27, 16, 1
	v_add3_u32 v30, v27, v28, s47
                                        ; implicit-def: $vgpr27
; %bb.1089:                             ;   in Loop: Header=BB4_651 Depth=3
	s_andn2_saveexec_b64 s[90:91], s[90:91]
; %bb.1090:                             ;   in Loop: Header=BB4_651 Depth=3
	v_or_b32_e32 v28, 0x10000, v27
	v_cmp_eq_u32_sdwa vcc, v27, v2 src0_sel:WORD_0 src1_sel:DWORD
	v_cndmask_b32_e32 v30, v28, v27, vcc
; %bb.1091:                             ;   in Loop: Header=BB4_651 Depth=3
	s_or_b64 exec, exec, s[90:91]
	v_lshlrev_b32_e32 v27, 16, v18
	v_mul_f32_e32 v27, v31, v27
	v_and_b32_e32 v28, 0x7f800000, v27
	v_cmp_ne_u32_e32 vcc, s46, v28
                                        ; implicit-def: $vgpr29
	s_and_saveexec_b64 s[90:91], vcc
	s_xor_b64 s[90:91], exec, s[90:91]
; %bb.1092:                             ;   in Loop: Header=BB4_651 Depth=3
	v_bfe_u32 v28, v27, 16, 1
	v_add3_u32 v29, v27, v28, s47
                                        ; implicit-def: $vgpr27
; %bb.1093:                             ;   in Loop: Header=BB4_651 Depth=3
	s_andn2_saveexec_b64 s[90:91], s[90:91]
; %bb.1094:                             ;   in Loop: Header=BB4_651 Depth=3
	v_or_b32_e32 v28, 0x10000, v27
	v_cmp_eq_u32_sdwa vcc, v27, v2 src0_sel:WORD_0 src1_sel:DWORD
	v_cndmask_b32_e32 v29, v28, v27, vcc
; %bb.1095:                             ;   in Loop: Header=BB4_651 Depth=3
	s_or_b64 exec, exec, s[90:91]
	v_and_b32_e32 v18, 0xffff0000, v18
	v_mul_f32_e32 v18, v31, v18
	v_and_b32_e32 v27, 0x7f800000, v18
	v_cmp_ne_u32_e32 vcc, s46, v27
                                        ; implicit-def: $vgpr27
	s_and_saveexec_b64 s[90:91], vcc
	s_xor_b64 s[90:91], exec, s[90:91]
; %bb.1096:                             ;   in Loop: Header=BB4_651 Depth=3
	v_bfe_u32 v27, v18, 16, 1
	v_add3_u32 v27, v18, v27, s47
                                        ; implicit-def: $vgpr18
; %bb.1097:                             ;   in Loop: Header=BB4_651 Depth=3
	s_andn2_saveexec_b64 s[90:91], s[90:91]
; %bb.1098:                             ;   in Loop: Header=BB4_651 Depth=3
	v_or_b32_e32 v27, 0x10000, v18
	v_cmp_eq_u32_sdwa vcc, v18, v2 src0_sel:WORD_0 src1_sel:DWORD
	v_cndmask_b32_e32 v27, v27, v18, vcc
; %bb.1099:                             ;   in Loop: Header=BB4_651 Depth=3
	s_or_b64 exec, exec, s[90:91]
	v_lshlrev_b32_e32 v18, 16, v11
	v_mul_f32_e32 v18, v31, v18
	v_and_b32_e32 v28, 0x7f800000, v18
	v_cmp_ne_u32_e32 vcc, s46, v28
                                        ; implicit-def: $vgpr28
	s_and_saveexec_b64 s[90:91], vcc
	s_xor_b64 s[90:91], exec, s[90:91]
; %bb.1100:                             ;   in Loop: Header=BB4_651 Depth=3
	v_bfe_u32 v28, v18, 16, 1
	v_add3_u32 v28, v18, v28, s47
                                        ; implicit-def: $vgpr18
; %bb.1101:                             ;   in Loop: Header=BB4_651 Depth=3
	s_andn2_saveexec_b64 s[90:91], s[90:91]
; %bb.1102:                             ;   in Loop: Header=BB4_651 Depth=3
	v_or_b32_e32 v28, 0x10000, v18
	v_cmp_eq_u32_sdwa vcc, v18, v2 src0_sel:WORD_0 src1_sel:DWORD
	v_cndmask_b32_e32 v28, v28, v18, vcc
; %bb.1103:                             ;   in Loop: Header=BB4_651 Depth=3
	s_or_b64 exec, exec, s[90:91]
	v_and_b32_e32 v11, 0xffff0000, v11
	v_mul_f32_e32 v18, v31, v11
	v_and_b32_e32 v11, 0x7f800000, v18
	v_cmp_ne_u32_e32 vcc, s46, v11
                                        ; implicit-def: $vgpr11
	s_and_saveexec_b64 s[90:91], vcc
	s_xor_b64 s[90:91], exec, s[90:91]
; %bb.1104:                             ;   in Loop: Header=BB4_651 Depth=3
	v_bfe_u32 v11, v18, 16, 1
	v_add3_u32 v11, v18, v11, s47
                                        ; implicit-def: $vgpr18
; %bb.1105:                             ;   in Loop: Header=BB4_651 Depth=3
	s_andn2_saveexec_b64 s[90:91], s[90:91]
; %bb.1106:                             ;   in Loop: Header=BB4_651 Depth=3
	v_or_b32_e32 v11, 0x10000, v18
	v_cmp_eq_u32_sdwa vcc, v18, v2 src0_sel:WORD_0 src1_sel:DWORD
	v_cndmask_b32_e32 v11, v11, v18, vcc
; %bb.1107:                             ;   in Loop: Header=BB4_651 Depth=3
	s_or_b64 exec, exec, s[90:91]
	v_lshlrev_b32_e32 v18, 16, v0
	v_mul_f32_e32 v34, v31, v18
	v_and_b32_e32 v18, 0x7f800000, v34
	v_cmp_ne_u32_e32 vcc, s46, v18
                                        ; implicit-def: $vgpr18
	s_and_saveexec_b64 s[90:91], vcc
	s_xor_b64 s[90:91], exec, s[90:91]
; %bb.1108:                             ;   in Loop: Header=BB4_651 Depth=3
	v_bfe_u32 v18, v34, 16, 1
	v_add3_u32 v18, v34, v18, s47
                                        ; implicit-def: $vgpr34
; %bb.1109:                             ;   in Loop: Header=BB4_651 Depth=3
	s_andn2_saveexec_b64 s[90:91], s[90:91]
; %bb.1110:                             ;   in Loop: Header=BB4_651 Depth=3
	v_or_b32_e32 v18, 0x10000, v34
	v_cmp_eq_u32_sdwa vcc, v34, v2 src0_sel:WORD_0 src1_sel:DWORD
	v_cndmask_b32_e32 v18, v18, v34, vcc
; %bb.1111:                             ;   in Loop: Header=BB4_651 Depth=3
	s_or_b64 exec, exec, s[90:91]
	v_and_b32_e32 v0, 0xffff0000, v0
	v_mul_f32_e32 v31, v31, v0
	v_and_b32_e32 v0, 0x7f800000, v31
	v_cmp_ne_u32_e32 vcc, s46, v0
                                        ; implicit-def: $vgpr0
	s_and_saveexec_b64 s[90:91], vcc
	s_xor_b64 s[90:91], exec, s[90:91]
; %bb.1112:                             ;   in Loop: Header=BB4_651 Depth=3
	v_bfe_u32 v0, v31, 16, 1
	v_add3_u32 v0, v31, v0, s47
                                        ; implicit-def: $vgpr31
; %bb.1113:                             ;   in Loop: Header=BB4_651 Depth=3
	s_andn2_saveexec_b64 s[90:91], s[90:91]
; %bb.1114:                             ;   in Loop: Header=BB4_651 Depth=3
	v_or_b32_e32 v0, 0x10000, v31
	v_cmp_eq_u32_sdwa vcc, v31, v2 src0_sel:WORD_0 src1_sel:DWORD
	v_cndmask_b32_e32 v0, v0, v31, vcc
; %bb.1115:                             ;   in Loop: Header=BB4_651 Depth=3
	s_or_b64 exec, exec, s[90:91]
	buffer_load_dword v50, off, s[0:3], s33 offset:112
	buffer_load_dword v35, off, s[0:3], s33 offset:116
	;; [unrolled: 1-line block ×4, first 2 shown]
	v_and_b32_e32 v19, 0xffff0000, v19
	s_waitcnt vmcnt(3)
	v_lshlrev_b32_e32 v48, 16, v50
	v_add_f32_e32 v51, v19, v48
	v_and_b32_e32 v19, 0x7f800000, v51
	v_cmp_ne_u32_e32 vcc, s46, v19
                                        ; implicit-def: $vgpr19
	s_and_saveexec_b64 s[90:91], vcc
	s_xor_b64 s[90:91], exec, s[90:91]
; %bb.1116:                             ;   in Loop: Header=BB4_651 Depth=3
	v_bfe_u32 v19, v51, 16, 1
	v_add3_u32 v19, v51, v19, s47
                                        ; implicit-def: $vgpr51
; %bb.1117:                             ;   in Loop: Header=BB4_651 Depth=3
	s_andn2_saveexec_b64 s[90:91], s[90:91]
; %bb.1118:                             ;   in Loop: Header=BB4_651 Depth=3
	v_or_b32_e32 v19, 0x10000, v51
	v_cmp_eq_u32_sdwa vcc, v51, v2 src0_sel:WORD_0 src1_sel:DWORD
	v_cndmask_b32_e32 v19, v19, v51, vcc
; %bb.1119:                             ;   in Loop: Header=BB4_651 Depth=3
	s_or_b64 exec, exec, s[90:91]
	v_and_b32_e32 v30, 0xffff0000, v30
	v_and_b32_e32 v48, 0xffff0000, v50
	v_add_f32_e32 v50, v30, v48
	v_and_b32_e32 v30, 0x7f800000, v50
	v_cmp_ne_u32_e32 vcc, s46, v30
                                        ; implicit-def: $vgpr30
	s_and_saveexec_b64 s[90:91], vcc
	s_xor_b64 s[90:91], exec, s[90:91]
; %bb.1120:                             ;   in Loop: Header=BB4_651 Depth=3
	v_bfe_u32 v30, v50, 16, 1
	v_add3_u32 v30, v50, v30, s47
                                        ; implicit-def: $vgpr50
; %bb.1121:                             ;   in Loop: Header=BB4_651 Depth=3
	s_andn2_saveexec_b64 s[90:91], s[90:91]
; %bb.1122:                             ;   in Loop: Header=BB4_651 Depth=3
	v_or_b32_e32 v30, 0x10000, v50
	v_cmp_eq_u32_sdwa vcc, v50, v2 src0_sel:WORD_0 src1_sel:DWORD
	v_cndmask_b32_e32 v30, v30, v50, vcc
; %bb.1123:                             ;   in Loop: Header=BB4_651 Depth=3
	s_or_b64 exec, exec, s[90:91]
	v_and_b32_e32 v29, 0xffff0000, v29
	s_waitcnt vmcnt(2)
	v_lshlrev_b32_e32 v48, 16, v35
	v_add_f32_e32 v50, v29, v48
	v_and_b32_e32 v29, 0x7f800000, v50
	v_cmp_ne_u32_e32 vcc, s46, v29
                                        ; implicit-def: $vgpr29
	s_and_saveexec_b64 s[90:91], vcc
	s_xor_b64 s[90:91], exec, s[90:91]
; %bb.1124:                             ;   in Loop: Header=BB4_651 Depth=3
	v_bfe_u32 v29, v50, 16, 1
	v_add3_u32 v29, v50, v29, s47
                                        ; implicit-def: $vgpr50
; %bb.1125:                             ;   in Loop: Header=BB4_651 Depth=3
	s_andn2_saveexec_b64 s[90:91], s[90:91]
; %bb.1126:                             ;   in Loop: Header=BB4_651 Depth=3
	v_or_b32_e32 v29, 0x10000, v50
	v_cmp_eq_u32_sdwa vcc, v50, v2 src0_sel:WORD_0 src1_sel:DWORD
	v_cndmask_b32_e32 v29, v29, v50, vcc
; %bb.1127:                             ;   in Loop: Header=BB4_651 Depth=3
	s_or_b64 exec, exec, s[90:91]
	v_and_b32_e32 v35, 0xffff0000, v35
	v_and_b32_e32 v27, 0xffff0000, v27
	v_add_f32_e32 v35, v27, v35
	v_and_b32_e32 v27, 0x7f800000, v35
	v_cmp_ne_u32_e32 vcc, s46, v27
                                        ; implicit-def: $vgpr27
	s_and_saveexec_b64 s[90:91], vcc
	s_xor_b64 s[90:91], exec, s[90:91]
; %bb.1128:                             ;   in Loop: Header=BB4_651 Depth=3
	v_bfe_u32 v27, v35, 16, 1
	v_add3_u32 v27, v35, v27, s47
                                        ; implicit-def: $vgpr35
; %bb.1129:                             ;   in Loop: Header=BB4_651 Depth=3
	s_andn2_saveexec_b64 s[90:91], s[90:91]
; %bb.1130:                             ;   in Loop: Header=BB4_651 Depth=3
	v_or_b32_e32 v27, 0x10000, v35
	v_cmp_eq_u32_sdwa vcc, v35, v2 src0_sel:WORD_0 src1_sel:DWORD
	v_cndmask_b32_e32 v27, v27, v35, vcc
; %bb.1131:                             ;   in Loop: Header=BB4_651 Depth=3
	s_or_b64 exec, exec, s[90:91]
	v_and_b32_e32 v28, 0xffff0000, v28
	s_waitcnt vmcnt(1)
	v_lshlrev_b32_e32 v35, 16, v34
	v_add_f32_e32 v35, v28, v35
	v_and_b32_e32 v28, 0x7f800000, v35
	v_cmp_ne_u32_e32 vcc, s46, v28
                                        ; implicit-def: $vgpr28
	s_and_saveexec_b64 s[90:91], vcc
	s_xor_b64 s[90:91], exec, s[90:91]
; %bb.1132:                             ;   in Loop: Header=BB4_651 Depth=3
	v_bfe_u32 v28, v35, 16, 1
	v_add3_u32 v28, v35, v28, s47
                                        ; implicit-def: $vgpr35
; %bb.1133:                             ;   in Loop: Header=BB4_651 Depth=3
	s_andn2_saveexec_b64 s[90:91], s[90:91]
; %bb.1134:                             ;   in Loop: Header=BB4_651 Depth=3
	v_or_b32_e32 v28, 0x10000, v35
	v_cmp_eq_u32_sdwa vcc, v35, v2 src0_sel:WORD_0 src1_sel:DWORD
	v_cndmask_b32_e32 v28, v28, v35, vcc
; %bb.1135:                             ;   in Loop: Header=BB4_651 Depth=3
	s_or_b64 exec, exec, s[90:91]
	v_and_b32_e32 v34, 0xffff0000, v34
	v_and_b32_e32 v11, 0xffff0000, v11
	v_add_f32_e32 v34, v11, v34
	v_and_b32_e32 v11, 0x7f800000, v34
	v_cmp_ne_u32_e32 vcc, s46, v11
                                        ; implicit-def: $vgpr11
	s_and_saveexec_b64 s[90:91], vcc
	s_xor_b64 s[90:91], exec, s[90:91]
; %bb.1136:                             ;   in Loop: Header=BB4_651 Depth=3
	v_bfe_u32 v11, v34, 16, 1
	v_add3_u32 v11, v34, v11, s47
                                        ; implicit-def: $vgpr34
; %bb.1137:                             ;   in Loop: Header=BB4_651 Depth=3
	s_andn2_saveexec_b64 s[90:91], s[90:91]
; %bb.1138:                             ;   in Loop: Header=BB4_651 Depth=3
	v_or_b32_e32 v11, 0x10000, v34
	v_cmp_eq_u32_sdwa vcc, v34, v2 src0_sel:WORD_0 src1_sel:DWORD
	v_cndmask_b32_e32 v11, v11, v34, vcc
; %bb.1139:                             ;   in Loop: Header=BB4_651 Depth=3
	s_or_b64 exec, exec, s[90:91]
	v_and_b32_e32 v18, 0xffff0000, v18
	s_waitcnt vmcnt(0)
	v_lshlrev_b32_e32 v34, 16, v31
	v_add_f32_e32 v34, v18, v34
	v_and_b32_e32 v18, 0x7f800000, v34
	v_cmp_ne_u32_e32 vcc, s46, v18
                                        ; implicit-def: $vgpr18
	s_and_saveexec_b64 s[90:91], vcc
	s_xor_b64 s[90:91], exec, s[90:91]
; %bb.1140:                             ;   in Loop: Header=BB4_651 Depth=3
	v_bfe_u32 v18, v34, 16, 1
	v_add3_u32 v18, v34, v18, s47
                                        ; implicit-def: $vgpr34
; %bb.1141:                             ;   in Loop: Header=BB4_651 Depth=3
	s_andn2_saveexec_b64 s[90:91], s[90:91]
; %bb.1142:                             ;   in Loop: Header=BB4_651 Depth=3
	v_or_b32_e32 v18, 0x10000, v34
	v_cmp_eq_u32_sdwa vcc, v34, v2 src0_sel:WORD_0 src1_sel:DWORD
	v_cndmask_b32_e32 v18, v18, v34, vcc
; %bb.1143:                             ;   in Loop: Header=BB4_651 Depth=3
	s_or_b64 exec, exec, s[90:91]
	v_and_b32_e32 v31, 0xffff0000, v31
	v_and_b32_e32 v0, 0xffff0000, v0
	v_add_f32_e32 v31, v0, v31
	v_and_b32_e32 v0, 0x7f800000, v31
	v_cmp_ne_u32_e32 vcc, s46, v0
                                        ; implicit-def: $vgpr0
	s_and_saveexec_b64 s[90:91], vcc
	s_xor_b64 s[90:91], exec, s[90:91]
; %bb.1144:                             ;   in Loop: Header=BB4_651 Depth=3
	v_bfe_u32 v0, v31, 16, 1
	v_add3_u32 v0, v31, v0, s47
                                        ; implicit-def: $vgpr31
; %bb.1145:                             ;   in Loop: Header=BB4_651 Depth=3
	s_andn2_saveexec_b64 s[90:91], s[90:91]
; %bb.1146:                             ;   in Loop: Header=BB4_651 Depth=3
	v_or_b32_e32 v0, 0x10000, v31
	v_cmp_eq_u32_sdwa vcc, v31, v2 src0_sel:WORD_0 src1_sel:DWORD
	v_cndmask_b32_e32 v0, v0, v31, vcc
; %bb.1147:                             ;   in Loop: Header=BB4_651 Depth=3
	s_or_b64 exec, exec, s[90:91]
	v_lshrrev_b32_e32 v19, 16, v19
	v_and_or_b32 v50, v30, s44, v19
	v_lshrrev_b32_e32 v19, 16, v28
	v_lshrrev_b32_e32 v29, 16, v29
	v_and_or_b32 v52, v11, s44, v19
	v_lshrrev_b32_e32 v11, 16, v18
	v_and_or_b32 v51, v27, s44, v29
	v_and_or_b32 v53, v0, s44, v11
	global_store_dwordx4 v[20:21], v[50:53], off glc slc
.LBB4_1148:                             ;   in Loop: Header=BB4_651 Depth=3
	s_or_b64 exec, exec, s[40:41]
	v_and_b32_e32 v3, 14, v3
	v_cndmask_b32_e64 v11, v25, v3, s[28:29]
	v_cmp_ne_u32_e32 vcc, 0, v11
	s_mov_b64 s[90:91], s[78:79]
                                        ; implicit-def: $vgpr27
                                        ; implicit-def: $vgpr0
                                        ; implicit-def: $vgpr28
	s_and_saveexec_b64 s[40:41], vcc
	s_cbranch_execz .LBB4_1150
; %bb.1149:                             ;   in Loop: Header=BB4_651 Depth=3
	v_sub_u32_e32 v0, v25, v3
	v_cndmask_b32_e64 v0, 0, v0, s[28:29]
	v_cmp_lt_i32_e32 vcc, 0, v26
	v_add3_u32 v27, v24, v4, v0
	v_cndmask_b32_e32 v0, 0, v59, vcc
	v_sub_u32_e32 v0, v0, v26
	v_lshl_add_u32 v0, v0, 6, v23
	v_ashrrev_i32_e32 v3, 31, v0
	v_lshrrev_b32_e32 v3, 26, v3
	v_add_u32_e32 v3, v0, v3
	v_and_b32_e32 v3, 0xffffffc0, v3
	v_sub_u32_e32 v28, v0, v3
	s_or_b64 s[90:91], s[78:79], exec
.LBB4_1150:                             ;   in Loop: Header=BB4_651 Depth=3
	s_or_b64 exec, exec, s[40:41]
	s_andn2_b64 s[28:29], s[78:79], exec
	s_and_b64 s[40:41], s[90:91], exec
	s_or_b64 s[78:79], s[28:29], s[40:41]
.LBB4_1151:                             ;   in Loop: Header=BB4_651 Depth=3
	s_or_b64 exec, exec, s[88:89]
	s_and_saveexec_b64 s[40:41], s[78:79]
	s_cbranch_execz .LBB4_1295
.LBB4_1152:                             ;   in Loop: Header=BB4_651 Depth=3
	s_waitcnt vmcnt(0)
	v_ashrrev_i32_e32 v3, 31, v0
	v_lshrrev_b32_e32 v3, 26, v3
	v_add_u32_e32 v0, v0, v3
	v_ashrrev_i32_e32 v0, 6, v0
	v_lshlrev_b32_e32 v3, 9, v0
	s_waitcnt vmcnt(0)
	v_lshlrev_b32_e32 v4, 1, v28
	v_add3_u32 v25, v27, v4, v3
	v_ashrrev_i32_e32 v3, 31, v11
	v_lshrrev_b32_e32 v3, 23, v3
	v_add_u32_e32 v3, v11, v3
	v_ashrrev_i32_e32 v23, 9, v3
	v_ashrrev_i32_e32 v26, 31, v25
	s_waitcnt lgkmcnt(0)
	v_add_co_u32_e32 v18, vcc, v16, v25
	v_sub_u32_e32 v24, v23, v0
	v_addc_co_u32_e32 v19, vcc, v17, v26, vcc
	v_cmp_lt_i32_e32 vcc, 0, v24
	v_mov_b32_e32 v35, 0
	s_mov_b64 s[78:79], 0
	v_mov_b32_e32 v34, 0
	v_mov_b32_e32 v31, 0
	;; [unrolled: 1-line block ×7, first 2 shown]
	s_and_saveexec_b64 s[28:29], vcc
	s_cbranch_execz .LBB4_1224
; %bb.1153:                             ;   in Loop: Header=BB4_651 Depth=3
	s_trap 2
	ds_read_b64 v[20:21], v0
	v_add_co_u32_e32 v3, vcc, v25, v14
	v_addc_co_u32_e32 v4, vcc, v26, v15, vcc
	s_waitcnt lgkmcnt(0)
	v_add_co_u32_e32 v20, vcc, v20, v25
	v_addc_co_u32_e32 v21, vcc, v21, v26, vcc
	s_mov_b64 s[90:91], 0
	s_mov_b64 s[88:89], 0
                                        ; implicit-def: $sgpr78_sgpr79
                                        ; implicit-def: $vgpr61
                                        ; implicit-def: $vgpr57
                                        ; implicit-def: $vgpr53
                                        ; implicit-def: $vgpr52
                                        ; implicit-def: $vgpr25
                                        ; implicit-def: $vgpr26
                                        ; implicit-def: $vgpr29
                                        ; implicit-def: $vgpr30
	s_branch .LBB4_1155
.LBB4_1154:                             ;   in Loop: Header=BB4_1155 Depth=4
	s_or_b64 exec, exec, s[92:93]
	flat_store_short_d16_hi v[18:19], v34 glc slc
	flat_store_short_d16_hi v[18:19], v51 offset:128 glc slc
	flat_store_short_d16_hi v[18:19], v35 offset:256 glc slc
	;; [unrolled: 1-line block ×3, first 2 shown]
	v_add_co_u32_e32 v0, vcc, v3, v54
	v_addc_co_u32_e32 v31, vcc, v4, v55, vcc
	v_add_co_u32_e32 v34, vcc, v20, v54
	v_mov_b32_e32 v50, 0x200
	v_addc_co_u32_e32 v35, vcc, v21, v55, vcc
	v_cndmask_b32_e64 v50, v50, v1, s[90:91]
	v_cndmask_b32_e64 v48, 0, v42, s[90:91]
	v_add_co_u32_e32 v18, vcc, v18, v50
	v_cndmask_b32_e64 v3, v3, v0, s[90:91]
	v_cndmask_b32_e64 v0, 0, v59, s[90:91]
	v_addc_co_u32_e32 v19, vcc, v19, v48, vcc
	v_sub_u32_e32 v24, v24, v0
	v_cmp_gt_i32_e32 vcc, 1, v24
	s_or_b64 s[88:89], vcc, s[88:89]
	s_andn2_b64 s[78:79], s[78:79], exec
	s_and_b64 s[92:93], s[90:91], exec
	v_cndmask_b32_e64 v4, v4, v31, s[90:91]
	v_cndmask_b32_e64 v21, v21, v35, s[90:91]
	;; [unrolled: 1-line block ×3, first 2 shown]
	s_or_b64 s[78:79], s[78:79], s[92:93]
	s_andn2_b64 exec, exec, s[88:89]
	s_cbranch_execz .LBB4_1223
.LBB4_1155:                             ;   Parent Loop BB4_47 Depth=1
                                        ;     Parent Loop BB4_648 Depth=2
                                        ;       Parent Loop BB4_651 Depth=3
                                        ; =>      This Inner Loop Header: Depth=4
	flat_load_ushort v34, v[3:4] glc slc
	flat_load_ushort v0, v[3:4] offset:128 glc slc
	flat_load_ushort v44, v[3:4] offset:256 glc slc
	;; [unrolled: 1-line block ×3, first 2 shown]
	flat_load_ushort v56, v[20:21] glc slc
	flat_load_ushort v51, v[20:21] offset:128 glc slc
	flat_load_ushort v50, v[20:21] offset:256 glc slc
	;; [unrolled: 1-line block ×3, first 2 shown]
	s_and_saveexec_b64 s[92:93], s[90:91]
	s_cbranch_execz .LBB4_1189
; %bb.1156:                             ;   in Loop: Header=BB4_1155 Depth=4
	s_trap 2
	s_waitcnt vmcnt(0) lgkmcnt(0)
	ds_read_b32 v35, v0
	s_waitcnt lgkmcnt(0)
	v_lshlrev_b32_e32 v58, 16, v35
	v_lshlrev_b32_e32 v35, 16, v61
	v_mul_f32_e32 v43, v35, v58
	v_and_b32_e32 v35, 0x7f800000, v43
	v_cmp_ne_u32_e32 vcc, s46, v35
                                        ; implicit-def: $vgpr35
	s_and_saveexec_b64 s[90:91], vcc
	s_xor_b64 s[90:91], exec, s[90:91]
; %bb.1157:                             ;   in Loop: Header=BB4_1155 Depth=4
	v_bfe_u32 v35, v43, 16, 1
	v_add3_u32 v35, v43, v35, s47
                                        ; implicit-def: $vgpr43
; %bb.1158:                             ;   in Loop: Header=BB4_1155 Depth=4
	s_andn2_saveexec_b64 s[90:91], s[90:91]
; %bb.1159:                             ;   in Loop: Header=BB4_1155 Depth=4
	v_or_b32_e32 v35, 0x10000, v43
	v_cmp_eq_u32_sdwa vcc, v43, v2 src0_sel:WORD_0 src1_sel:DWORD
	v_cndmask_b32_e32 v35, v35, v43, vcc
; %bb.1160:                             ;   in Loop: Header=BB4_1155 Depth=4
	s_or_b64 exec, exec, s[90:91]
	v_lshlrev_b32_e32 v48, 16, v57
	v_mul_f32_e32 v43, v48, v58
	v_and_b32_e32 v48, 0x7f800000, v43
	v_cmp_ne_u32_e32 vcc, s46, v48
                                        ; implicit-def: $vgpr57
	s_and_saveexec_b64 s[90:91], vcc
	s_xor_b64 s[90:91], exec, s[90:91]
; %bb.1161:                             ;   in Loop: Header=BB4_1155 Depth=4
	v_bfe_u32 v48, v43, 16, 1
	v_add3_u32 v57, v43, v48, s47
                                        ; implicit-def: $vgpr43
; %bb.1162:                             ;   in Loop: Header=BB4_1155 Depth=4
	s_andn2_saveexec_b64 s[90:91], s[90:91]
; %bb.1163:                             ;   in Loop: Header=BB4_1155 Depth=4
	v_or_b32_e32 v48, 0x10000, v43
	v_cmp_eq_u32_sdwa vcc, v43, v2 src0_sel:WORD_0 src1_sel:DWORD
	v_cndmask_b32_e32 v57, v48, v43, vcc
; %bb.1164:                             ;   in Loop: Header=BB4_1155 Depth=4
	s_or_b64 exec, exec, s[90:91]
	v_lshlrev_b32_e32 v48, 16, v53
	v_mul_f32_e32 v43, v48, v58
	v_and_b32_e32 v48, 0x7f800000, v43
	v_cmp_ne_u32_e32 vcc, s46, v48
                                        ; implicit-def: $vgpr53
	s_and_saveexec_b64 s[90:91], vcc
	s_xor_b64 s[90:91], exec, s[90:91]
; %bb.1165:                             ;   in Loop: Header=BB4_1155 Depth=4
	v_bfe_u32 v48, v43, 16, 1
	v_add3_u32 v53, v43, v48, s47
                                        ; implicit-def: $vgpr43
; %bb.1166:                             ;   in Loop: Header=BB4_1155 Depth=4
	s_andn2_saveexec_b64 s[90:91], s[90:91]
; %bb.1167:                             ;   in Loop: Header=BB4_1155 Depth=4
	v_or_b32_e32 v48, 0x10000, v43
	v_cmp_eq_u32_sdwa vcc, v43, v2 src0_sel:WORD_0 src1_sel:DWORD
	v_cndmask_b32_e32 v53, v48, v43, vcc
; %bb.1168:                             ;   in Loop: Header=BB4_1155 Depth=4
	s_or_b64 exec, exec, s[90:91]
	v_lshlrev_b32_e32 v48, 16, v52
	v_mul_f32_e32 v43, v48, v58
	v_and_b32_e32 v48, 0x7f800000, v43
	v_cmp_ne_u32_e32 vcc, s46, v48
                                        ; implicit-def: $vgpr52
	s_and_saveexec_b64 s[90:91], vcc
	s_xor_b64 s[90:91], exec, s[90:91]
; %bb.1169:                             ;   in Loop: Header=BB4_1155 Depth=4
	v_bfe_u32 v48, v43, 16, 1
	v_add3_u32 v52, v43, v48, s47
                                        ; implicit-def: $vgpr43
; %bb.1170:                             ;   in Loop: Header=BB4_1155 Depth=4
	s_andn2_saveexec_b64 s[90:91], s[90:91]
; %bb.1171:                             ;   in Loop: Header=BB4_1155 Depth=4
	v_or_b32_e32 v48, 0x10000, v43
	v_cmp_eq_u32_sdwa vcc, v43, v2 src0_sel:WORD_0 src1_sel:DWORD
	v_cndmask_b32_e32 v52, v48, v43, vcc
; %bb.1172:                             ;   in Loop: Header=BB4_1155 Depth=4
	s_or_b64 exec, exec, s[90:91]
	v_and_b32_e32 v35, 0xffff0000, v35
	v_lshlrev_b32_e32 v48, 16, v25
	v_add_f32_e32 v43, v48, v35
	v_and_b32_e32 v35, 0x7f800000, v43
	v_cmp_ne_u32_e32 vcc, s46, v35
                                        ; implicit-def: $vgpr35
	s_and_saveexec_b64 s[90:91], vcc
	s_xor_b64 s[90:91], exec, s[90:91]
; %bb.1173:                             ;   in Loop: Header=BB4_1155 Depth=4
	v_bfe_u32 v35, v43, 16, 1
	v_add3_u32 v35, v43, v35, s47
                                        ; implicit-def: $vgpr43
; %bb.1174:                             ;   in Loop: Header=BB4_1155 Depth=4
	s_andn2_saveexec_b64 s[90:91], s[90:91]
; %bb.1175:                             ;   in Loop: Header=BB4_1155 Depth=4
	v_or_b32_e32 v35, 0x10000, v43
	v_cmp_eq_u32_sdwa vcc, v43, v2 src0_sel:WORD_0 src1_sel:DWORD
	v_cndmask_b32_e32 v35, v35, v43, vcc
; %bb.1176:                             ;   in Loop: Header=BB4_1155 Depth=4
	s_or_b64 exec, exec, s[90:91]
	v_and_b32_e32 v48, 0xffff0000, v57
	v_lshlrev_b32_e32 v43, 16, v26
	v_add_f32_e32 v57, v43, v48
	v_and_b32_e32 v48, 0x7f800000, v57
	v_cmp_ne_u32_e32 vcc, s46, v48
                                        ; implicit-def: $vgpr43
	s_and_saveexec_b64 s[90:91], vcc
	s_xor_b64 s[90:91], exec, s[90:91]
; %bb.1177:                             ;   in Loop: Header=BB4_1155 Depth=4
	v_bfe_u32 v48, v57, 16, 1
	v_add3_u32 v43, v57, v48, s47
                                        ; implicit-def: $vgpr57
; %bb.1178:                             ;   in Loop: Header=BB4_1155 Depth=4
	s_andn2_saveexec_b64 s[90:91], s[90:91]
; %bb.1179:                             ;   in Loop: Header=BB4_1155 Depth=4
	v_or_b32_e32 v48, 0x10000, v57
	v_cmp_eq_u32_sdwa vcc, v57, v2 src0_sel:WORD_0 src1_sel:DWORD
	v_cndmask_b32_e32 v43, v48, v57, vcc
; %bb.1180:                             ;   in Loop: Header=BB4_1155 Depth=4
	s_or_b64 exec, exec, s[90:91]
	v_and_b32_e32 v48, 0xffff0000, v53
	v_lshlrev_b32_e32 v53, 16, v29
	v_add_f32_e32 v57, v53, v48
	v_and_b32_e32 v48, 0x7f800000, v57
	v_cmp_ne_u32_e32 vcc, s46, v48
                                        ; implicit-def: $vgpr53
	s_and_saveexec_b64 s[90:91], vcc
	s_xor_b64 s[90:91], exec, s[90:91]
; %bb.1181:                             ;   in Loop: Header=BB4_1155 Depth=4
	v_bfe_u32 v48, v57, 16, 1
	v_add3_u32 v53, v57, v48, s47
                                        ; implicit-def: $vgpr57
; %bb.1182:                             ;   in Loop: Header=BB4_1155 Depth=4
	s_andn2_saveexec_b64 s[90:91], s[90:91]
; %bb.1183:                             ;   in Loop: Header=BB4_1155 Depth=4
	v_or_b32_e32 v48, 0x10000, v57
	v_cmp_eq_u32_sdwa vcc, v57, v2 src0_sel:WORD_0 src1_sel:DWORD
	v_cndmask_b32_e32 v53, v48, v57, vcc
; %bb.1184:                             ;   in Loop: Header=BB4_1155 Depth=4
	s_or_b64 exec, exec, s[90:91]
	v_and_b32_e32 v48, 0xffff0000, v52
	v_lshlrev_b32_e32 v52, 16, v30
	v_add_f32_e32 v57, v52, v48
	v_and_b32_e32 v48, 0x7f800000, v57
	v_cmp_ne_u32_e32 vcc, s46, v48
                                        ; implicit-def: $vgpr52
	s_and_saveexec_b64 s[90:91], vcc
	s_xor_b64 s[90:91], exec, s[90:91]
; %bb.1185:                             ;   in Loop: Header=BB4_1155 Depth=4
	v_bfe_u32 v48, v57, 16, 1
	v_add3_u32 v52, v57, v48, s47
                                        ; implicit-def: $vgpr57
; %bb.1186:                             ;   in Loop: Header=BB4_1155 Depth=4
	s_andn2_saveexec_b64 s[90:91], s[90:91]
; %bb.1187:                             ;   in Loop: Header=BB4_1155 Depth=4
	v_or_b32_e32 v48, 0x10000, v57
	v_cmp_eq_u32_sdwa vcc, v57, v2 src0_sel:WORD_0 src1_sel:DWORD
	v_cndmask_b32_e32 v52, v48, v57, vcc
; %bb.1188:                             ;   in Loop: Header=BB4_1155 Depth=4
	s_or_b64 exec, exec, s[90:91]
	v_lshrrev_b32_e32 v61, 16, v35
	v_lshrrev_b32_e32 v53, 16, v53
	;; [unrolled: 1-line block ×4, first 2 shown]
	flat_store_short v[18:19], v61 glc slc
	flat_store_short v[18:19], v57 offset:128 glc slc
	flat_store_short v[18:19], v53 offset:256 glc slc
	;; [unrolled: 1-line block ×3, first 2 shown]
	v_add_co_u32_e32 v18, vcc, v18, v1
	v_addc_co_u32_e32 v19, vcc, v19, v42, vcc
.LBB4_1189:                             ;   in Loop: Header=BB4_1155 Depth=4
	s_or_b64 exec, exec, s[92:93]
	v_add_co_u32_e32 v3, vcc, v3, v1
	v_addc_co_u32_e32 v4, vcc, v4, v42, vcc
	v_add_co_u32_e32 v20, vcc, v20, v1
	v_sub_u32_e32 v24, v24, v59
	v_addc_co_u32_e32 v21, vcc, v21, v42, vcc
	v_cmp_lt_i32_e64 s[90:91], 0, v24
	s_and_saveexec_b64 s[92:93], s[90:91]
	s_cbranch_execz .LBB4_1191
; %bb.1190:                             ;   in Loop: Header=BB4_1155 Depth=4
	flat_load_ushort v61, v[3:4] glc slc
	flat_load_ushort v57, v[3:4] offset:128 glc slc
	flat_load_ushort v53, v[3:4] offset:256 glc slc
	;; [unrolled: 1-line block ×3, first 2 shown]
	flat_load_ushort v25, v[20:21] glc slc
	flat_load_ushort v26, v[20:21] offset:128 glc slc
	flat_load_ushort v29, v[20:21] offset:256 glc slc
	;; [unrolled: 1-line block ×3, first 2 shown]
	v_add_co_u32_e32 v3, vcc, 0x200, v3
	v_addc_co_u32_e32 v4, vcc, 0, v4, vcc
	v_add_co_u32_e32 v20, vcc, 0x200, v20
	v_addc_co_u32_e32 v21, vcc, 0, v21, vcc
.LBB4_1191:                             ;   in Loop: Header=BB4_1155 Depth=4
	s_or_b64 exec, exec, s[92:93]
	s_trap 2
	s_waitcnt vmcnt(0) lgkmcnt(0)
	ds_read_b32 v35, v0
	v_lshlrev_b32_e32 v34, 16, v34
	s_waitcnt lgkmcnt(0)
	v_lshlrev_b32_e32 v43, 16, v35
	v_mul_f32_e32 v35, v34, v43
	v_and_b32_e32 v34, 0x7f800000, v35
	v_cmp_ne_u32_e32 vcc, s46, v34
                                        ; implicit-def: $vgpr34
	s_and_saveexec_b64 s[92:93], vcc
	s_xor_b64 s[92:93], exec, s[92:93]
; %bb.1192:                             ;   in Loop: Header=BB4_1155 Depth=4
	v_bfe_u32 v34, v35, 16, 1
	v_add3_u32 v34, v35, v34, s47
                                        ; implicit-def: $vgpr35
; %bb.1193:                             ;   in Loop: Header=BB4_1155 Depth=4
	s_andn2_saveexec_b64 s[92:93], s[92:93]
; %bb.1194:                             ;   in Loop: Header=BB4_1155 Depth=4
	v_or_b32_e32 v34, 0x10000, v35
	v_cmp_eq_u32_sdwa vcc, v35, v2 src0_sel:WORD_0 src1_sel:DWORD
	v_cndmask_b32_e32 v34, v34, v35, vcc
; %bb.1195:                             ;   in Loop: Header=BB4_1155 Depth=4
	s_or_b64 exec, exec, s[92:93]
	v_lshlrev_b32_e32 v0, 16, v0
	v_mul_f32_e32 v0, v0, v43
	v_and_b32_e32 v35, 0x7f800000, v0
	v_cmp_ne_u32_e32 vcc, s46, v35
                                        ; implicit-def: $vgpr58
	s_and_saveexec_b64 s[92:93], vcc
	s_xor_b64 s[92:93], exec, s[92:93]
; %bb.1196:                             ;   in Loop: Header=BB4_1155 Depth=4
	v_bfe_u32 v35, v0, 16, 1
	v_add3_u32 v58, v0, v35, s47
                                        ; implicit-def: $vgpr0
; %bb.1197:                             ;   in Loop: Header=BB4_1155 Depth=4
	s_andn2_saveexec_b64 s[92:93], s[92:93]
; %bb.1198:                             ;   in Loop: Header=BB4_1155 Depth=4
	v_or_b32_e32 v35, 0x10000, v0
	v_cmp_eq_u32_sdwa vcc, v0, v2 src0_sel:WORD_0 src1_sel:DWORD
	v_cndmask_b32_e32 v58, v35, v0, vcc
; %bb.1199:                             ;   in Loop: Header=BB4_1155 Depth=4
	s_or_b64 exec, exec, s[92:93]
	v_lshlrev_b32_e32 v0, 16, v44
	v_mul_f32_e32 v0, v0, v43
	v_and_b32_e32 v35, 0x7f800000, v0
	v_cmp_ne_u32_e32 vcc, s46, v35
                                        ; implicit-def: $vgpr35
	s_and_saveexec_b64 s[92:93], vcc
	s_xor_b64 s[92:93], exec, s[92:93]
; %bb.1200:                             ;   in Loop: Header=BB4_1155 Depth=4
	v_bfe_u32 v35, v0, 16, 1
	v_add3_u32 v35, v0, v35, s47
                                        ; implicit-def: $vgpr0
; %bb.1201:                             ;   in Loop: Header=BB4_1155 Depth=4
	s_andn2_saveexec_b64 s[92:93], s[92:93]
; %bb.1202:                             ;   in Loop: Header=BB4_1155 Depth=4
	v_or_b32_e32 v35, 0x10000, v0
	v_cmp_eq_u32_sdwa vcc, v0, v2 src0_sel:WORD_0 src1_sel:DWORD
	v_cndmask_b32_e32 v35, v35, v0, vcc
; %bb.1203:                             ;   in Loop: Header=BB4_1155 Depth=4
	s_or_b64 exec, exec, s[92:93]
	v_lshlrev_b32_e32 v0, 16, v60
	v_mul_f32_e32 v43, v0, v43
	v_and_b32_e32 v0, 0x7f800000, v43
	v_cmp_ne_u32_e32 vcc, s46, v0
                                        ; implicit-def: $vgpr0
	s_and_saveexec_b64 s[92:93], vcc
	s_xor_b64 s[92:93], exec, s[92:93]
; %bb.1204:                             ;   in Loop: Header=BB4_1155 Depth=4
	v_bfe_u32 v0, v43, 16, 1
	v_add3_u32 v0, v43, v0, s47
                                        ; implicit-def: $vgpr43
; %bb.1205:                             ;   in Loop: Header=BB4_1155 Depth=4
	s_andn2_saveexec_b64 s[92:93], s[92:93]
; %bb.1206:                             ;   in Loop: Header=BB4_1155 Depth=4
	v_or_b32_e32 v0, 0x10000, v43
	v_cmp_eq_u32_sdwa vcc, v43, v2 src0_sel:WORD_0 src1_sel:DWORD
	v_cndmask_b32_e32 v0, v0, v43, vcc
; %bb.1207:                             ;   in Loop: Header=BB4_1155 Depth=4
	s_or_b64 exec, exec, s[92:93]
	v_and_b32_e32 v34, 0xffff0000, v34
	v_lshlrev_b32_e32 v48, 16, v56
	v_add_f32_e32 v43, v48, v34
	v_and_b32_e32 v34, 0x7f800000, v43
	v_cmp_ne_u32_e32 vcc, s46, v34
                                        ; implicit-def: $vgpr34
	s_and_saveexec_b64 s[92:93], vcc
	s_xor_b64 s[92:93], exec, s[92:93]
; %bb.1208:                             ;   in Loop: Header=BB4_1155 Depth=4
	v_bfe_u32 v34, v43, 16, 1
	v_add3_u32 v34, v43, v34, s47
                                        ; implicit-def: $vgpr43
; %bb.1209:                             ;   in Loop: Header=BB4_1155 Depth=4
	s_andn2_saveexec_b64 s[92:93], s[92:93]
; %bb.1210:                             ;   in Loop: Header=BB4_1155 Depth=4
	v_or_b32_e32 v34, 0x10000, v43
	v_cmp_eq_u32_sdwa vcc, v43, v2 src0_sel:WORD_0 src1_sel:DWORD
	v_cndmask_b32_e32 v34, v34, v43, vcc
; %bb.1211:                             ;   in Loop: Header=BB4_1155 Depth=4
	s_or_b64 exec, exec, s[92:93]
	v_and_b32_e32 v48, 0xffff0000, v58
	v_lshlrev_b32_e32 v51, 16, v51
	v_add_f32_e32 v43, v51, v48
	v_and_b32_e32 v48, 0x7f800000, v43
	v_cmp_ne_u32_e32 vcc, s46, v48
                                        ; implicit-def: $vgpr51
	s_and_saveexec_b64 s[92:93], vcc
	s_xor_b64 s[92:93], exec, s[92:93]
; %bb.1212:                             ;   in Loop: Header=BB4_1155 Depth=4
	v_bfe_u32 v48, v43, 16, 1
	v_add3_u32 v51, v43, v48, s47
                                        ; implicit-def: $vgpr43
; %bb.1213:                             ;   in Loop: Header=BB4_1155 Depth=4
	s_andn2_saveexec_b64 s[92:93], s[92:93]
; %bb.1214:                             ;   in Loop: Header=BB4_1155 Depth=4
	v_or_b32_e32 v48, 0x10000, v43
	v_cmp_eq_u32_sdwa vcc, v43, v2 src0_sel:WORD_0 src1_sel:DWORD
	v_cndmask_b32_e32 v51, v48, v43, vcc
; %bb.1215:                             ;   in Loop: Header=BB4_1155 Depth=4
	s_or_b64 exec, exec, s[92:93]
	v_and_b32_e32 v35, 0xffff0000, v35
	v_lshlrev_b32_e32 v48, 16, v50
	v_add_f32_e32 v50, v48, v35
	v_and_b32_e32 v35, 0x7f800000, v50
	v_cmp_ne_u32_e32 vcc, s46, v35
                                        ; implicit-def: $vgpr35
	s_and_saveexec_b64 s[92:93], vcc
	s_xor_b64 s[92:93], exec, s[92:93]
; %bb.1216:                             ;   in Loop: Header=BB4_1155 Depth=4
	v_bfe_u32 v35, v50, 16, 1
	v_add3_u32 v35, v50, v35, s47
                                        ; implicit-def: $vgpr50
; %bb.1217:                             ;   in Loop: Header=BB4_1155 Depth=4
	s_andn2_saveexec_b64 s[92:93], s[92:93]
; %bb.1218:                             ;   in Loop: Header=BB4_1155 Depth=4
	v_or_b32_e32 v35, 0x10000, v50
	v_cmp_eq_u32_sdwa vcc, v50, v2 src0_sel:WORD_0 src1_sel:DWORD
	v_cndmask_b32_e32 v35, v35, v50, vcc
; %bb.1219:                             ;   in Loop: Header=BB4_1155 Depth=4
	s_or_b64 exec, exec, s[92:93]
	v_and_b32_e32 v0, 0xffff0000, v0
	v_lshlrev_b32_e32 v31, 16, v31
	v_add_f32_e32 v31, v31, v0
	v_and_b32_e32 v0, 0x7f800000, v31
	v_cmp_ne_u32_e32 vcc, s46, v0
                                        ; implicit-def: $vgpr0
	s_and_saveexec_b64 s[92:93], vcc
	s_xor_b64 s[92:93], exec, s[92:93]
; %bb.1220:                             ;   in Loop: Header=BB4_1155 Depth=4
	v_bfe_u32 v0, v31, 16, 1
	v_add3_u32 v0, v31, v0, s47
                                        ; implicit-def: $vgpr31
; %bb.1221:                             ;   in Loop: Header=BB4_1155 Depth=4
	s_andn2_saveexec_b64 s[92:93], s[92:93]
	s_cbranch_execz .LBB4_1154
; %bb.1222:                             ;   in Loop: Header=BB4_1155 Depth=4
	v_or_b32_e32 v0, 0x10000, v31
	v_cmp_eq_u32_sdwa vcc, v31, v2 src0_sel:WORD_0 src1_sel:DWORD
	v_cndmask_b32_e32 v0, v0, v31, vcc
	s_branch .LBB4_1154
.LBB4_1223:                             ;   in Loop: Header=BB4_651 Depth=3
	s_or_b64 exec, exec, s[88:89]
	v_lshlrev_b32_e32 v35, 16, v61
	v_lshlrev_b32_e32 v34, 16, v57
	;; [unrolled: 1-line block ×8, first 2 shown]
	s_and_b64 s[78:79], s[78:79], exec
.LBB4_1224:                             ;   in Loop: Header=BB4_651 Depth=3
	s_or_b64 exec, exec, s[28:29]
	s_and_saveexec_b64 s[28:29], s[78:79]
	s_cbranch_execz .LBB4_1258
; %bb.1225:                             ;   in Loop: Header=BB4_651 Depth=3
	s_trap 2
	ds_read_b32 v25, v0
	s_waitcnt lgkmcnt(0)
	v_lshlrev_b32_e32 v30, 16, v25
	v_mul_f32_e32 v25, v35, v30
	v_and_b32_e32 v26, 0x7f800000, v25
	v_cmp_ne_u32_e32 vcc, s46, v26
                                        ; implicit-def: $vgpr26
	s_and_saveexec_b64 s[78:79], vcc
	s_xor_b64 s[78:79], exec, s[78:79]
; %bb.1226:                             ;   in Loop: Header=BB4_651 Depth=3
	v_bfe_u32 v26, v25, 16, 1
	v_add3_u32 v26, v25, v26, s47
                                        ; implicit-def: $vgpr25
; %bb.1227:                             ;   in Loop: Header=BB4_651 Depth=3
	s_andn2_saveexec_b64 s[78:79], s[78:79]
; %bb.1228:                             ;   in Loop: Header=BB4_651 Depth=3
	v_or_b32_e32 v26, 0x10000, v25
	v_cmp_eq_u32_sdwa vcc, v25, v2 src0_sel:WORD_0 src1_sel:DWORD
	v_cndmask_b32_e32 v26, v26, v25, vcc
; %bb.1229:                             ;   in Loop: Header=BB4_651 Depth=3
	s_or_b64 exec, exec, s[78:79]
	v_mul_f32_e32 v25, v34, v30
	v_and_b32_e32 v29, 0x7f800000, v25
	v_cmp_ne_u32_e32 vcc, s46, v29
                                        ; implicit-def: $vgpr29
	s_and_saveexec_b64 s[78:79], vcc
	s_xor_b64 s[78:79], exec, s[78:79]
; %bb.1230:                             ;   in Loop: Header=BB4_651 Depth=3
	v_bfe_u32 v29, v25, 16, 1
	v_add3_u32 v29, v25, v29, s47
                                        ; implicit-def: $vgpr25
; %bb.1231:                             ;   in Loop: Header=BB4_651 Depth=3
	s_andn2_saveexec_b64 s[78:79], s[78:79]
; %bb.1232:                             ;   in Loop: Header=BB4_651 Depth=3
	v_or_b32_e32 v29, 0x10000, v25
	v_cmp_eq_u32_sdwa vcc, v25, v2 src0_sel:WORD_0 src1_sel:DWORD
	v_cndmask_b32_e32 v29, v29, v25, vcc
; %bb.1233:                             ;   in Loop: Header=BB4_651 Depth=3
	s_or_b64 exec, exec, s[78:79]
	v_mul_f32_e32 v31, v31, v30
	v_and_b32_e32 v25, 0x7f800000, v31
	v_cmp_ne_u32_e32 vcc, s46, v25
                                        ; implicit-def: $vgpr25
	s_and_saveexec_b64 s[78:79], vcc
	s_xor_b64 s[78:79], exec, s[78:79]
; %bb.1234:                             ;   in Loop: Header=BB4_651 Depth=3
	v_bfe_u32 v25, v31, 16, 1
	v_add3_u32 v25, v31, v25, s47
                                        ; implicit-def: $vgpr31
; %bb.1235:                             ;   in Loop: Header=BB4_651 Depth=3
	s_andn2_saveexec_b64 s[78:79], s[78:79]
; %bb.1236:                             ;   in Loop: Header=BB4_651 Depth=3
	v_or_b32_e32 v25, 0x10000, v31
	v_cmp_eq_u32_sdwa vcc, v31, v2 src0_sel:WORD_0 src1_sel:DWORD
	v_cndmask_b32_e32 v25, v25, v31, vcc
; %bb.1237:                             ;   in Loop: Header=BB4_651 Depth=3
	s_or_b64 exec, exec, s[78:79]
	v_mul_f32_e32 v30, v21, v30
	v_and_b32_e32 v21, 0x7f800000, v30
	v_cmp_ne_u32_e32 vcc, s46, v21
                                        ; implicit-def: $vgpr21
	s_and_saveexec_b64 s[78:79], vcc
	s_xor_b64 s[78:79], exec, s[78:79]
; %bb.1238:                             ;   in Loop: Header=BB4_651 Depth=3
	v_bfe_u32 v21, v30, 16, 1
	v_add3_u32 v21, v30, v21, s47
                                        ; implicit-def: $vgpr30
; %bb.1239:                             ;   in Loop: Header=BB4_651 Depth=3
	s_andn2_saveexec_b64 s[78:79], s[78:79]
; %bb.1240:                             ;   in Loop: Header=BB4_651 Depth=3
	v_or_b32_e32 v21, 0x10000, v30
	v_cmp_eq_u32_sdwa vcc, v30, v2 src0_sel:WORD_0 src1_sel:DWORD
	v_cndmask_b32_e32 v21, v21, v30, vcc
; %bb.1241:                             ;   in Loop: Header=BB4_651 Depth=3
	s_or_b64 exec, exec, s[78:79]
	v_and_b32_e32 v26, 0xffff0000, v26
	v_add_f32_e32 v26, v20, v26
	v_and_b32_e32 v20, 0x7f800000, v26
	v_cmp_ne_u32_e32 vcc, s46, v20
                                        ; implicit-def: $vgpr20
	s_and_saveexec_b64 s[78:79], vcc
	s_xor_b64 s[78:79], exec, s[78:79]
; %bb.1242:                             ;   in Loop: Header=BB4_651 Depth=3
	v_bfe_u32 v20, v26, 16, 1
	v_add3_u32 v20, v26, v20, s47
                                        ; implicit-def: $vgpr26
; %bb.1243:                             ;   in Loop: Header=BB4_651 Depth=3
	s_andn2_saveexec_b64 s[78:79], s[78:79]
; %bb.1244:                             ;   in Loop: Header=BB4_651 Depth=3
	v_or_b32_e32 v20, 0x10000, v26
	v_cmp_eq_u32_sdwa vcc, v26, v2 src0_sel:WORD_0 src1_sel:DWORD
	v_cndmask_b32_e32 v20, v20, v26, vcc
; %bb.1245:                             ;   in Loop: Header=BB4_651 Depth=3
	s_or_b64 exec, exec, s[78:79]
	v_and_b32_e32 v26, 0xffff0000, v29
	v_add_f32_e32 v26, v4, v26
	v_and_b32_e32 v4, 0x7f800000, v26
	v_cmp_ne_u32_e32 vcc, s46, v4
                                        ; implicit-def: $vgpr4
	s_and_saveexec_b64 s[78:79], vcc
	s_xor_b64 s[78:79], exec, s[78:79]
; %bb.1246:                             ;   in Loop: Header=BB4_651 Depth=3
	v_bfe_u32 v4, v26, 16, 1
	v_add3_u32 v4, v26, v4, s47
                                        ; implicit-def: $vgpr26
; %bb.1247:                             ;   in Loop: Header=BB4_651 Depth=3
	s_andn2_saveexec_b64 s[78:79], s[78:79]
; %bb.1248:                             ;   in Loop: Header=BB4_651 Depth=3
	v_or_b32_e32 v4, 0x10000, v26
	v_cmp_eq_u32_sdwa vcc, v26, v2 src0_sel:WORD_0 src1_sel:DWORD
	v_cndmask_b32_e32 v4, v4, v26, vcc
; %bb.1249:                             ;   in Loop: Header=BB4_651 Depth=3
	s_or_b64 exec, exec, s[78:79]
	v_and_b32_e32 v25, 0xffff0000, v25
	v_add_f32_e32 v25, v3, v25
	v_and_b32_e32 v3, 0x7f800000, v25
	v_cmp_ne_u32_e32 vcc, s46, v3
                                        ; implicit-def: $vgpr3
	s_and_saveexec_b64 s[78:79], vcc
	s_xor_b64 s[78:79], exec, s[78:79]
; %bb.1250:                             ;   in Loop: Header=BB4_651 Depth=3
	v_bfe_u32 v3, v25, 16, 1
	v_add3_u32 v3, v25, v3, s47
                                        ; implicit-def: $vgpr25
; %bb.1251:                             ;   in Loop: Header=BB4_651 Depth=3
	s_andn2_saveexec_b64 s[78:79], s[78:79]
; %bb.1252:                             ;   in Loop: Header=BB4_651 Depth=3
	v_or_b32_e32 v3, 0x10000, v25
	v_cmp_eq_u32_sdwa vcc, v25, v2 src0_sel:WORD_0 src1_sel:DWORD
	v_cndmask_b32_e32 v3, v3, v25, vcc
; %bb.1253:                             ;   in Loop: Header=BB4_651 Depth=3
	s_or_b64 exec, exec, s[78:79]
	v_and_b32_e32 v21, 0xffff0000, v21
	v_add_f32_e32 v21, v0, v21
	v_and_b32_e32 v0, 0x7f800000, v21
	v_cmp_ne_u32_e32 vcc, s46, v0
                                        ; implicit-def: $vgpr0
	s_and_saveexec_b64 s[78:79], vcc
	s_xor_b64 s[78:79], exec, s[78:79]
; %bb.1254:                             ;   in Loop: Header=BB4_651 Depth=3
	v_bfe_u32 v0, v21, 16, 1
	v_add3_u32 v0, v21, v0, s47
                                        ; implicit-def: $vgpr21
; %bb.1255:                             ;   in Loop: Header=BB4_651 Depth=3
	s_andn2_saveexec_b64 s[78:79], s[78:79]
; %bb.1256:                             ;   in Loop: Header=BB4_651 Depth=3
	v_or_b32_e32 v0, 0x10000, v21
	v_cmp_eq_u32_sdwa vcc, v21, v2 src0_sel:WORD_0 src1_sel:DWORD
	v_cndmask_b32_e32 v0, v0, v21, vcc
; %bb.1257:                             ;   in Loop: Header=BB4_651 Depth=3
	s_or_b64 exec, exec, s[78:79]
	flat_store_short_d16_hi v[18:19], v20 glc slc
	flat_store_short_d16_hi v[18:19], v4 offset:128 glc slc
	flat_store_short_d16_hi v[18:19], v3 offset:256 glc slc
	;; [unrolled: 1-line block ×3, first 2 shown]
.LBB4_1258:                             ;   in Loop: Header=BB4_651 Depth=3
	s_or_b64 exec, exec, s[28:29]
	v_lshlrev_b32_e32 v0, 9, v23
	v_cmp_ne_u32_e32 vcc, v11, v0
	s_and_b64 exec, exec, vcc
	s_cbranch_execz .LBB4_1295
; %bb.1259:                             ;   in Loop: Header=BB4_651 Depth=3
	v_lshlrev_b32_e32 v3, 6, v24
	v_sub_u32_e32 v3, v28, v3
	v_ashrrev_i32_e32 v4, 31, v3
	v_lshrrev_b32_e32 v4, 26, v4
	v_add_u32_e32 v4, v3, v4
	v_and_b32_e32 v18, 0x7fffffc0, v4
	v_sub_u32_e32 v3, v3, v18
	v_lshlrev_b32_e32 v4, 1, v4
	v_and_b32_e32 v4, 0xffffff80, v4
	v_lshlrev_b32_e32 v3, 1, v3
	v_add3_u32 v3, v4, v3, v0
	v_sub_u32_e32 v0, v11, v3
	v_cmp_lt_i32_e32 vcc, 1, v0
	s_and_b64 exec, exec, vcc
	s_cbranch_execz .LBB4_1295
; %bb.1260:                             ;   in Loop: Header=BB4_651 Depth=3
	s_trap 2
	ds_read_b64 v[18:19], v0
	v_add_u32_e32 v11, v3, v27
	v_ashrrev_i32_e32 v20, 31, v11
	v_add_co_u32_e32 v3, vcc, v16, v11
	v_addc_co_u32_e32 v4, vcc, v17, v20, vcc
	v_add_co_u32_e32 v16, vcc, v11, v14
	v_addc_co_u32_e32 v15, vcc, v20, v15, vcc
	s_waitcnt lgkmcnt(0)
	v_add_co_u32_e32 v14, vcc, v18, v11
	v_addc_co_u32_e32 v11, vcc, v19, v20, vcc
	s_mov_b64 s[90:91], 0
	s_mov_b64 s[78:79], 0
                                        ; implicit-def: $sgpr88_sgpr89
	s_branch .LBB4_1262
.LBB4_1261:                             ;   in Loop: Header=BB4_1262 Depth=4
	s_or_b64 exec, exec, s[28:29]
	buffer_load_dword v21, off, s[0:3], s33 offset:144 ; 4-byte Folded Reload
	buffer_load_dword v23, off, s[0:3], s33 offset:140 ; 4-byte Folded Reload
	v_lshrrev_b32_e32 v17, 16, v18
	buffer_store_short v17, off, s[0:3], s33 offset:64
	flat_store_short v[3:4], v17 glc slc
	v_add_co_u32_e32 v17, vcc, v16, v40
	v_addc_co_u32_e32 v18, vcc, v15, v41, vcc
	v_add_co_u32_e32 v19, vcc, v14, v40
	v_mov_b32_e32 v24, 0x80
	v_addc_co_u32_e32 v20, vcc, v11, v41, vcc
	v_cndmask_b32_e64 v16, v16, v17, s[90:91]
	v_lshlrev_b32_e32 v17, 7, v59
	v_cndmask_b32_e64 v17, 0, v17, s[90:91]
	v_sub_u32_e32 v0, v0, v17
	v_cndmask_b32_e64 v11, v11, v20, s[90:91]
	v_cndmask_b32_e64 v14, v14, v19, s[90:91]
	;; [unrolled: 1-line block ×3, first 2 shown]
	s_waitcnt vmcnt(0)
	v_cndmask_b32_e64 v21, 0, v21, s[90:91]
	v_cndmask_b32_e64 v23, v24, v23, s[90:91]
	v_add_co_u32_e32 v3, vcc, v3, v23
	v_addc_co_u32_e32 v4, vcc, v4, v21, vcc
	v_cmp_gt_i32_e32 vcc, 2, v0
	s_or_b64 s[78:79], vcc, s[78:79]
	s_andn2_b64 s[28:29], s[88:89], exec
	s_and_b64 s[88:89], s[90:91], exec
	s_or_b64 s[88:89], s[28:29], s[88:89]
	s_andn2_b64 exec, exec, s[78:79]
	s_cbranch_execz .LBB4_1285
.LBB4_1262:                             ;   Parent Loop BB4_47 Depth=1
                                        ;     Parent Loop BB4_648 Depth=2
                                        ;       Parent Loop BB4_651 Depth=3
                                        ; =>      This Loop Header: Depth=4
                                        ;           Child Loop BB4_1263 Depth 5
                                        ;           Child Loop BB4_1276 Depth 5
	s_lshr_b32 s8, s33, 6
	s_add_i32 s8, s8, 64
	s_mov_b64 s[92:93], -1
	s_mov_b64 s[94:95], 0
.LBB4_1263:                             ;   Parent Loop BB4_47 Depth=1
                                        ;     Parent Loop BB4_648 Depth=2
                                        ;       Parent Loop BB4_651 Depth=3
                                        ;         Parent Loop BB4_1262 Depth=4
                                        ; =>        This Inner Loop Header: Depth=5
	s_cmp_eq_u32 s94, 1
	s_cselect_b64 s[28:29], -1, 0
	v_cndmask_b32_e64 v18, v15, v11, s[28:29]
	v_cndmask_b32_e64 v17, v16, v14, s[28:29]
	flat_load_ushort v19, v[17:18] glc slc
	v_add_co_u32_e32 v17, vcc, 0x80, v17
	v_addc_co_u32_e32 v18, vcc, 0, v18, vcc
	s_cmp_eq_u32 s94, 0
	v_mov_b32_e32 v20, s8
	s_cselect_b64 vcc, -1, 0
	s_lshr_b32 s8, s33, 6
	s_addk_i32 s8, 0x60
	v_cndmask_b32_e64 v11, v11, v18, s[28:29]
	v_cndmask_b32_e64 v14, v14, v17, s[28:29]
	v_cndmask_b32_e32 v15, v15, v18, vcc
	v_cndmask_b32_e32 v16, v16, v17, vcc
	s_mov_b64 s[94:95], 1
	s_and_b64 vcc, exec, s[92:93]
	s_mov_b64 s[92:93], 0
	s_waitcnt vmcnt(0) lgkmcnt(0)
	buffer_store_short v19, v20, s[0:3], 0 offen
	s_cbranch_vccnz .LBB4_1263
; %bb.1264:                             ;   in Loop: Header=BB4_1262 Depth=4
	s_and_saveexec_b64 s[28:29], s[90:91]
	s_cbranch_execz .LBB4_1274
; %bb.1265:                             ;   in Loop: Header=BB4_1262 Depth=4
	s_trap 2
	buffer_load_ushort v17, off, s[0:3], s33 offset:56
	ds_read_b32 v18, v0
	s_waitcnt lgkmcnt(0)
	v_lshlrev_b32_e32 v18, 16, v18
	s_waitcnt vmcnt(0)
	v_lshlrev_b32_e32 v17, 16, v17
	v_mul_f32_e32 v18, v18, v17
	v_and_b32_e32 v17, 0x7f800000, v18
	v_cmp_ne_u32_e32 vcc, s46, v17
                                        ; implicit-def: $vgpr17
	s_and_saveexec_b64 s[90:91], vcc
	s_xor_b64 s[90:91], exec, s[90:91]
; %bb.1266:                             ;   in Loop: Header=BB4_1262 Depth=4
	v_bfe_u32 v17, v18, 16, 1
	v_add3_u32 v17, v18, v17, s47
                                        ; implicit-def: $vgpr18
; %bb.1267:                             ;   in Loop: Header=BB4_1262 Depth=4
	s_andn2_saveexec_b64 s[90:91], s[90:91]
; %bb.1268:                             ;   in Loop: Header=BB4_1262 Depth=4
	v_or_b32_e32 v17, 0x10000, v18
	v_cmp_eq_u32_sdwa vcc, v18, v2 src0_sel:WORD_0 src1_sel:DWORD
	v_cndmask_b32_e32 v17, v17, v18, vcc
; %bb.1269:                             ;   in Loop: Header=BB4_1262 Depth=4
	s_or_b64 exec, exec, s[90:91]
	buffer_load_ushort v18, off, s[0:3], s33 offset:58
	v_and_b32_e32 v17, 0xffff0000, v17
	s_waitcnt vmcnt(0)
	v_lshlrev_b32_e32 v18, 16, v18
	v_add_f32_e32 v17, v17, v18
	v_and_b32_e32 v18, 0x7f800000, v17
	v_cmp_ne_u32_e32 vcc, s46, v18
                                        ; implicit-def: $vgpr18
	s_and_saveexec_b64 s[90:91], vcc
	s_xor_b64 s[90:91], exec, s[90:91]
; %bb.1270:                             ;   in Loop: Header=BB4_1262 Depth=4
	v_bfe_u32 v18, v17, 16, 1
	v_add3_u32 v18, v17, v18, s47
                                        ; implicit-def: $vgpr17
; %bb.1271:                             ;   in Loop: Header=BB4_1262 Depth=4
	s_andn2_saveexec_b64 s[90:91], s[90:91]
; %bb.1272:                             ;   in Loop: Header=BB4_1262 Depth=4
	v_or_b32_e32 v18, 0x10000, v17
	v_cmp_eq_u32_sdwa vcc, v17, v2 src0_sel:WORD_0 src1_sel:DWORD
	v_cndmask_b32_e32 v18, v18, v17, vcc
; %bb.1273:                             ;   in Loop: Header=BB4_1262 Depth=4
	s_or_b64 exec, exec, s[90:91]
	v_lshrrev_b32_e32 v17, 16, v18
	buffer_store_short v17, off, s[0:3], s33 offset:56
	flat_store_short v[3:4], v17 glc slc
	buffer_load_dword v17, off, s[0:3], s33 offset:140 ; 4-byte Folded Reload
	s_waitcnt vmcnt(0)
	v_add_co_u32_e32 v3, vcc, v3, v17
	buffer_load_dword v17, off, s[0:3], s33 offset:144 ; 4-byte Folded Reload
	s_waitcnt vmcnt(0)
	v_addc_co_u32_e32 v4, vcc, v4, v17, vcc
.LBB4_1274:                             ;   in Loop: Header=BB4_1262 Depth=4
	s_or_b64 exec, exec, s[28:29]
	v_add_co_u32_e32 v16, vcc, v16, v40
	v_addc_co_u32_e32 v15, vcc, v15, v41, vcc
	v_lshlrev_b32_e32 v17, 7, v59
	v_add_co_u32_e32 v14, vcc, v14, v40
	v_sub_u32_e32 v0, v0, v17
	v_addc_co_u32_e32 v11, vcc, v11, v41, vcc
	v_cmp_lt_i32_e64 s[90:91], 1, v0
	s_and_saveexec_b64 s[92:93], s[90:91]
	s_cbranch_execz .LBB4_1277
; %bb.1275:                             ;   in Loop: Header=BB4_1262 Depth=4
	s_lshr_b32 s8, s33, 6
	s_add_i32 s8, s8, 56
	s_mov_b64 s[30:31], 0
	s_mov_b64 s[94:95], -1
.LBB4_1276:                             ;   Parent Loop BB4_47 Depth=1
                                        ;     Parent Loop BB4_648 Depth=2
                                        ;       Parent Loop BB4_651 Depth=3
                                        ;         Parent Loop BB4_1262 Depth=4
                                        ; =>        This Inner Loop Header: Depth=5
	s_cmp_eq_u32 s30, 1
	s_cselect_b64 s[28:29], -1, 0
	v_cndmask_b32_e64 v18, v15, v11, s[28:29]
	v_cndmask_b32_e64 v17, v16, v14, s[28:29]
	flat_load_ushort v19, v[17:18] glc slc
	v_add_co_u32_e32 v17, vcc, 0x80, v17
	v_addc_co_u32_e32 v18, vcc, 0, v18, vcc
	s_cmp_eq_u32 s30, 0
	v_mov_b32_e32 v20, s8
	s_cselect_b64 vcc, -1, 0
	s_lshr_b32 s8, s33, 6
	s_add_i32 s8, s8, 58
	v_cndmask_b32_e32 v15, v15, v18, vcc
	v_cndmask_b32_e32 v16, v16, v17, vcc
	v_cndmask_b32_e64 v11, v11, v18, s[28:29]
	v_cndmask_b32_e64 v14, v14, v17, s[28:29]
	s_mov_b64 s[30:31], 1
	s_and_b64 vcc, exec, s[94:95]
	s_mov_b64 s[94:95], 0
	s_waitcnt vmcnt(0) lgkmcnt(0)
	buffer_store_short v19, v20, s[0:3], 0 offen
	s_cbranch_vccnz .LBB4_1276
.LBB4_1277:                             ;   in Loop: Header=BB4_1262 Depth=4
	s_or_b64 exec, exec, s[92:93]
	s_trap 2
	buffer_load_ushort v17, off, s[0:3], s33 offset:64
	ds_read_b32 v18, v0
	s_waitcnt lgkmcnt(0)
	v_lshlrev_b32_e32 v18, 16, v18
	s_waitcnt vmcnt(0)
	v_lshlrev_b32_e32 v17, 16, v17
	v_mul_f32_e32 v17, v18, v17
	v_and_b32_e32 v18, 0x7f800000, v17
	v_cmp_ne_u32_e32 vcc, s46, v18
                                        ; implicit-def: $vgpr18
	s_and_saveexec_b64 s[28:29], vcc
	s_xor_b64 s[28:29], exec, s[28:29]
; %bb.1278:                             ;   in Loop: Header=BB4_1262 Depth=4
	v_bfe_u32 v18, v17, 16, 1
	v_add3_u32 v18, v17, v18, s47
                                        ; implicit-def: $vgpr17
; %bb.1279:                             ;   in Loop: Header=BB4_1262 Depth=4
	s_andn2_saveexec_b64 s[28:29], s[28:29]
; %bb.1280:                             ;   in Loop: Header=BB4_1262 Depth=4
	v_or_b32_e32 v18, 0x10000, v17
	v_cmp_eq_u32_sdwa vcc, v17, v2 src0_sel:WORD_0 src1_sel:DWORD
	v_cndmask_b32_e32 v18, v18, v17, vcc
; %bb.1281:                             ;   in Loop: Header=BB4_1262 Depth=4
	s_or_b64 exec, exec, s[28:29]
	buffer_load_ushort v17, off, s[0:3], s33 offset:96
	v_and_b32_e32 v18, 0xffff0000, v18
	s_waitcnt vmcnt(0)
	v_lshlrev_b32_e32 v17, 16, v17
	v_add_f32_e32 v17, v18, v17
	v_and_b32_e32 v18, 0x7f800000, v17
	v_cmp_ne_u32_e32 vcc, s46, v18
                                        ; implicit-def: $vgpr18
	s_and_saveexec_b64 s[28:29], vcc
	s_xor_b64 s[28:29], exec, s[28:29]
; %bb.1282:                             ;   in Loop: Header=BB4_1262 Depth=4
	v_bfe_u32 v18, v17, 16, 1
	v_add3_u32 v18, v17, v18, s47
                                        ; implicit-def: $vgpr17
; %bb.1283:                             ;   in Loop: Header=BB4_1262 Depth=4
	s_andn2_saveexec_b64 s[28:29], s[28:29]
	s_cbranch_execz .LBB4_1261
; %bb.1284:                             ;   in Loop: Header=BB4_1262 Depth=4
	v_or_b32_e32 v18, 0x10000, v17
	v_cmp_eq_u32_sdwa vcc, v17, v2 src0_sel:WORD_0 src1_sel:DWORD
	v_cndmask_b32_e32 v18, v18, v17, vcc
	s_branch .LBB4_1261
.LBB4_1285:                             ;   in Loop: Header=BB4_651 Depth=3
	s_or_b64 exec, exec, s[78:79]
	s_and_b64 exec, exec, s[88:89]
	s_cbranch_execz .LBB4_1295
; %bb.1286:                             ;   in Loop: Header=BB4_651 Depth=3
	s_trap 2
	buffer_load_ushort v0, off, s[0:3], s33 offset:56
	s_waitcnt vmcnt(0)
	ds_read_b32 v11, v0
	v_lshlrev_b32_e32 v0, 16, v0
	s_waitcnt lgkmcnt(0)
	v_lshlrev_b32_e32 v11, 16, v11
	v_mul_f32_e32 v11, v11, v0
	v_and_b32_e32 v0, 0x7f800000, v11
	v_cmp_ne_u32_e32 vcc, s46, v0
                                        ; implicit-def: $vgpr0
	s_and_saveexec_b64 s[28:29], vcc
	s_xor_b64 s[28:29], exec, s[28:29]
; %bb.1287:                             ;   in Loop: Header=BB4_651 Depth=3
	v_bfe_u32 v0, v11, 16, 1
	v_add3_u32 v0, v11, v0, s47
                                        ; implicit-def: $vgpr11
; %bb.1288:                             ;   in Loop: Header=BB4_651 Depth=3
	s_andn2_saveexec_b64 s[28:29], s[28:29]
; %bb.1289:                             ;   in Loop: Header=BB4_651 Depth=3
	v_or_b32_e32 v0, 0x10000, v11
	v_cmp_eq_u32_sdwa vcc, v11, v2 src0_sel:WORD_0 src1_sel:DWORD
	v_cndmask_b32_e32 v0, v0, v11, vcc
; %bb.1290:                             ;   in Loop: Header=BB4_651 Depth=3
	s_or_b64 exec, exec, s[28:29]
	buffer_load_ushort v11, off, s[0:3], s33 offset:58
	v_and_b32_e32 v0, 0xffff0000, v0
	s_waitcnt vmcnt(0)
	v_lshlrev_b32_e32 v11, 16, v11
	v_add_f32_e32 v0, v0, v11
	v_and_b32_e32 v11, 0x7f800000, v0
	v_cmp_ne_u32_e32 vcc, s46, v11
                                        ; implicit-def: $vgpr11
	s_and_saveexec_b64 s[28:29], vcc
	s_xor_b64 s[28:29], exec, s[28:29]
; %bb.1291:                             ;   in Loop: Header=BB4_651 Depth=3
	v_bfe_u32 v11, v0, 16, 1
	v_add3_u32 v11, v0, v11, s47
                                        ; implicit-def: $vgpr0
; %bb.1292:                             ;   in Loop: Header=BB4_651 Depth=3
	s_andn2_saveexec_b64 s[28:29], s[28:29]
; %bb.1293:                             ;   in Loop: Header=BB4_651 Depth=3
	v_or_b32_e32 v11, 0x10000, v0
	v_cmp_eq_u32_sdwa vcc, v0, v2 src0_sel:WORD_0 src1_sel:DWORD
	v_cndmask_b32_e32 v11, v11, v0, vcc
; %bb.1294:                             ;   in Loop: Header=BB4_651 Depth=3
	s_or_b64 exec, exec, s[28:29]
	flat_store_short_d16_hi v[3:4], v11 glc slc
.LBB4_1295:                             ;   in Loop: Header=BB4_651 Depth=3
	s_or_b64 exec, exec, s[40:41]
	v_cmp_lt_i32_e64 s[28:29], 0, v9
	s_and_saveexec_b64 s[40:41], s[10:11]
	s_cbranch_execz .LBB4_726
.LBB4_1296:                             ;   in Loop: Header=BB4_651 Depth=3
	s_and_saveexec_b64 s[78:79], s[56:57]
	s_xor_b64 s[78:79], exec, s[78:79]
	s_cbranch_execz .LBB4_1311
; %bb.1297:                             ;   in Loop: Header=BB4_651 Depth=3
	s_and_saveexec_b64 s[88:89], s[16:17]
	s_cbranch_execz .LBB4_1310
; %bb.1298:                             ;   in Loop: Header=BB4_651 Depth=3
	s_mov_b64 s[92:93], exec
	s_waitcnt vmcnt(0)
	v_mbcnt_lo_u32_b32 v0, s92, 0
	v_mbcnt_hi_u32_b32 v0, s93, v0
	v_cmp_eq_u32_e32 vcc, 0, v0
	s_waitcnt lgkmcnt(0)
	buffer_wbinvl1_vol
	s_and_saveexec_b64 s[90:91], vcc
	s_cbranch_execz .LBB4_1300
; %bb.1299:                             ;   in Loop: Header=BB4_651 Depth=3
	s_bcnt1_i32_b64 s8, s[92:93]
	v_mov_b32_e32 v3, s8
	v_mov_b32_e32 v4, v2
	ds_add_u64 v0, v[3:4]
	s_trap 2
.LBB4_1300:                             ;   in Loop: Header=BB4_651 Depth=3
	s_or_b64 exec, exec, s[90:91]
	s_trap 2
	ds_read_b64 v[3:4], v0
	s_waitcnt lgkmcnt(0)
	v_add_co_u32_e32 v36, vcc, v36, v59
	v_addc_co_u32_e32 v37, vcc, 0, v37, vcc
	v_cmp_lt_u64_e32 vcc, v[3:4], v[36:37]
	s_and_saveexec_b64 s[90:91], vcc
	s_cbranch_execz .LBB4_1309
; %bb.1301:                             ;   in Loop: Header=BB4_651 Depth=3
	s_mov_b32 s8, 0
	s_mov_b64 s[92:93], 0
                                        ; implicit-def: $sgpr94_sgpr95
                                        ; implicit-def: $sgpr30_sgpr31
	s_branch .LBB4_1303
.LBB4_1302:                             ;   in Loop: Header=BB4_1303 Depth=4
	s_or_b64 exec, exec, s[36:37]
	s_and_b64 vcc, exec, vcc
	s_or_b64 s[92:93], vcc, s[92:93]
	s_andn2_b64 s[94:95], s[94:95], exec
	s_and_b64 vcc, s[30:31], exec
	s_or_b64 s[94:95], s[94:95], vcc
	s_andn2_b64 exec, exec, s[92:93]
	s_cbranch_execz .LBB4_1307
.LBB4_1303:                             ;   Parent Loop BB4_47 Depth=1
                                        ;     Parent Loop BB4_648 Depth=2
                                        ;       Parent Loop BB4_651 Depth=3
                                        ; =>      This Inner Loop Header: Depth=4
	s_add_i32 s8, s8, 1
	s_cmpk_lg_i32 s8, 0x2710
	s_cselect_b64 s[34:35], -1, 0
	s_and_b64 vcc, exec, s[34:35]
	s_cbranch_vccz .LBB4_1305
; %bb.1304:                             ;   in Loop: Header=BB4_1303 Depth=4
	s_mov_b64 vcc, -1
	s_or_b64 s[30:31], s[30:31], exec
	s_and_saveexec_b64 s[36:37], s[34:35]
	s_cbranch_execz .LBB4_1302
	s_branch .LBB4_1306
.LBB4_1305:                             ;   in Loop: Header=BB4_1303 Depth=4
	s_trap 2
	ds_read_b64 v[3:4], v0
	s_andn2_b64 s[34:35], s[34:35], exec
	s_mov_b32 s8, 0
	s_waitcnt lgkmcnt(0)
	flat_load_dword v0, v[3:4] glc
	s_waitcnt vmcnt(0) lgkmcnt(0)
	buffer_wbinvl1_vol
	v_cmp_eq_u32_e32 vcc, 0, v0
	s_and_b64 vcc, vcc, exec
	s_or_b64 s[34:35], s[34:35], vcc
	s_mov_b64 vcc, -1
	s_or_b64 s[30:31], s[30:31], exec
	s_and_saveexec_b64 s[36:37], s[34:35]
	s_cbranch_execz .LBB4_1302
.LBB4_1306:                             ;   in Loop: Header=BB4_1303 Depth=4
	s_sleep 1
	s_trap 2
	ds_read_b64 v[3:4], v0
	s_waitcnt lgkmcnt(0)
	s_andn2_b64 s[30:31], s[30:31], exec
	v_cmp_ge_u64_e32 vcc, v[3:4], v[36:37]
	s_orn2_b64 vcc, vcc, exec
	s_branch .LBB4_1302
.LBB4_1307:                             ;   in Loop: Header=BB4_651 Depth=3
	s_or_b64 exec, exec, s[92:93]
	s_and_saveexec_b64 s[92:93], s[94:95]
	s_xor_b64 s[92:93], exec, s[92:93]
	s_cbranch_execz .LBB4_1309
; %bb.1308:                             ;   in Loop: Header=BB4_651 Depth=3
	v_mov_b32_e32 v0, 1
	ds_write_b32 v0, v0
	s_trap 2
.LBB4_1309:                             ;   in Loop: Header=BB4_651 Depth=3
	s_or_b64 exec, exec, s[90:91]
	;;#ASMSTART
	s_wakeup
	;;#ASMEND
.LBB4_1310:                             ;   in Loop: Header=BB4_651 Depth=3
	s_or_b64 exec, exec, s[88:89]
.LBB4_1311:                             ;   in Loop: Header=BB4_651 Depth=3
	s_andn2_saveexec_b64 s[78:79], s[78:79]
	s_cbranch_execz .LBB4_1313
; %bb.1312:                             ;   in Loop: Header=BB4_651 Depth=3
	s_waitcnt vmcnt(0) lgkmcnt(0)
	buffer_wbinvl1_vol
	s_barrier
.LBB4_1313:                             ;   in Loop: Header=BB4_651 Depth=3
	s_or_b64 exec, exec, s[78:79]
	s_or_b64 exec, exec, s[40:41]
                                        ; implicit-def: $vgpr0
	s_and_saveexec_b64 s[40:41], s[24:25]
	s_xor_b64 s[40:41], exec, s[40:41]
	s_cbranch_execnz .LBB4_727
.LBB4_1314:                             ;   in Loop: Header=BB4_651 Depth=3
	s_andn2_saveexec_b64 s[28:29], s[40:41]
	s_cbranch_execz .LBB4_1333
.LBB4_1315:                             ;   in Loop: Header=BB4_651 Depth=3
	s_and_saveexec_b64 s[40:41], s[56:57]
	s_xor_b64 s[40:41], exec, s[40:41]
	s_cbranch_execz .LBB4_1330
; %bb.1316:                             ;   in Loop: Header=BB4_651 Depth=3
	s_and_saveexec_b64 s[78:79], s[16:17]
	s_cbranch_execz .LBB4_1329
; %bb.1317:                             ;   in Loop: Header=BB4_651 Depth=3
	s_mov_b64 s[90:91], exec
	s_waitcnt vmcnt(0)
	v_mbcnt_lo_u32_b32 v0, s90, 0
	v_mbcnt_hi_u32_b32 v0, s91, v0
	v_cmp_eq_u32_e32 vcc, 0, v0
	;;#ASMSTART
	s_waitcnt lgkmcnt(0) vmcnt(0)
	;;#ASMEND
	s_and_saveexec_b64 s[88:89], vcc
	s_cbranch_execz .LBB4_1319
; %bb.1318:                             ;   in Loop: Header=BB4_651 Depth=3
	s_bcnt1_i32_b64 s8, s[90:91]
	v_mov_b32_e32 v3, s8
	v_mov_b32_e32 v4, v2
	s_waitcnt lgkmcnt(0)
	ds_add_u64 v0, v[3:4]
	s_trap 2
.LBB4_1319:                             ;   in Loop: Header=BB4_651 Depth=3
	s_or_b64 exec, exec, s[88:89]
	s_trap 2
	ds_read_b64 v[3:4], v0
	s_waitcnt lgkmcnt(0)
	v_add_co_u32_e32 v36, vcc, v36, v59
	v_addc_co_u32_e32 v37, vcc, 0, v37, vcc
	v_cmp_lt_u64_e32 vcc, v[3:4], v[36:37]
	s_and_saveexec_b64 s[88:89], vcc
	s_cbranch_execz .LBB4_1328
; %bb.1320:                             ;   in Loop: Header=BB4_651 Depth=3
	s_mov_b32 s8, 0
	s_mov_b64 s[90:91], 0
                                        ; implicit-def: $sgpr92_sgpr93
                                        ; implicit-def: $sgpr94_sgpr95
	s_branch .LBB4_1322
.LBB4_1321:                             ;   in Loop: Header=BB4_1322 Depth=4
	s_or_b64 exec, exec, s[34:35]
	s_and_b64 vcc, exec, vcc
	s_or_b64 s[90:91], vcc, s[90:91]
	s_andn2_b64 s[92:93], s[92:93], exec
	s_and_b64 vcc, s[94:95], exec
	s_or_b64 s[92:93], s[92:93], vcc
	s_andn2_b64 exec, exec, s[90:91]
	s_cbranch_execz .LBB4_1326
.LBB4_1322:                             ;   Parent Loop BB4_47 Depth=1
                                        ;     Parent Loop BB4_648 Depth=2
                                        ;       Parent Loop BB4_651 Depth=3
                                        ; =>      This Inner Loop Header: Depth=4
	s_add_i32 s8, s8, 1
	s_cmpk_lg_i32 s8, 0x2710
	s_cselect_b64 s[30:31], -1, 0
	s_and_b64 vcc, exec, s[30:31]
	s_cbranch_vccz .LBB4_1324
; %bb.1323:                             ;   in Loop: Header=BB4_1322 Depth=4
	s_mov_b64 vcc, -1
	s_or_b64 s[94:95], s[94:95], exec
	s_and_saveexec_b64 s[34:35], s[30:31]
	s_cbranch_execz .LBB4_1321
	s_branch .LBB4_1325
.LBB4_1324:                             ;   in Loop: Header=BB4_1322 Depth=4
	s_trap 2
	ds_read_b64 v[3:4], v0
	s_andn2_b64 s[30:31], s[30:31], exec
	s_mov_b32 s8, 0
	s_waitcnt lgkmcnt(0)
	flat_load_dword v0, v[3:4] glc
	s_waitcnt vmcnt(0) lgkmcnt(0)
	buffer_wbinvl1_vol
	v_cmp_eq_u32_e32 vcc, 0, v0
	s_and_b64 vcc, vcc, exec
	s_or_b64 s[30:31], s[30:31], vcc
	s_mov_b64 vcc, -1
	s_or_b64 s[94:95], s[94:95], exec
	s_and_saveexec_b64 s[34:35], s[30:31]
	s_cbranch_execz .LBB4_1321
.LBB4_1325:                             ;   in Loop: Header=BB4_1322 Depth=4
	s_sleep 1
	s_trap 2
	ds_read_b64 v[3:4], v0
	s_waitcnt lgkmcnt(0)
	s_andn2_b64 s[94:95], s[94:95], exec
	v_cmp_ge_u64_e32 vcc, v[3:4], v[36:37]
	s_orn2_b64 vcc, vcc, exec
	s_branch .LBB4_1321
.LBB4_1326:                             ;   in Loop: Header=BB4_651 Depth=3
	s_or_b64 exec, exec, s[90:91]
	s_and_saveexec_b64 s[90:91], s[92:93]
	s_xor_b64 s[90:91], exec, s[90:91]
	s_cbranch_execz .LBB4_1328
; %bb.1327:                             ;   in Loop: Header=BB4_651 Depth=3
	v_mov_b32_e32 v0, 1
	ds_write_b32 v0, v0
	s_trap 2
.LBB4_1328:                             ;   in Loop: Header=BB4_651 Depth=3
	s_or_b64 exec, exec, s[88:89]
	;;#ASMSTART
	s_wakeup
	;;#ASMEND
.LBB4_1329:                             ;   in Loop: Header=BB4_651 Depth=3
	s_or_b64 exec, exec, s[78:79]
.LBB4_1330:                             ;   in Loop: Header=BB4_651 Depth=3
	s_andn2_saveexec_b64 s[40:41], s[40:41]
	s_cbranch_execz .LBB4_1332
; %bb.1331:                             ;   in Loop: Header=BB4_651 Depth=3
	;;#ASMSTART
	s_waitcnt lgkmcnt(0) vmcnt(0)
	;;#ASMEND
	s_waitcnt vmcnt(0) lgkmcnt(0)
	s_barrier
.LBB4_1332:                             ;   in Loop: Header=BB4_651 Depth=3
	s_or_b64 exec, exec, s[40:41]
	s_waitcnt vmcnt(0)
	v_and_b32_e32 v0, 16, v5
.LBB4_1333:                             ;   in Loop: Header=BB4_651 Depth=3
	s_or_b64 exec, exec, s[28:29]
	s_waitcnt vmcnt(0)
	v_cmp_ne_u32_e32 vcc, 0, v0
	s_xor_b64 s[28:29], s[12:13], -1
	s_and_b64 s[40:41], vcc, s[28:29]
	s_and_saveexec_b64 s[28:29], s[40:41]
	s_cbranch_execz .LBB4_1335
; %bb.1334:                             ;   in Loop: Header=BB4_651 Depth=3
	buffer_load_dword v3, off, s[0:3], s33 offset:176 ; 4-byte Folded Reload
	buffer_load_dword v4, off, s[0:3], s33 offset:180 ; 4-byte Folded Reload
	v_mov_b32_e32 v0, 1
	s_waitcnt vmcnt(0)
	flat_store_dword v[3:4], v0
.LBB4_1335:                             ;   in Loop: Header=BB4_651 Depth=3
	s_or_b64 exec, exec, s[28:29]
	v_and_b32_e32 v0, 48, v5
	v_cmp_ne_u32_e32 vcc, 0, v0
	s_and_saveexec_b64 s[28:29], vcc
	s_cbranch_execz .LBB4_650
; %bb.1336:                             ;   in Loop: Header=BB4_651 Depth=3
	v_add_co_u32_e32 v6, vcc, 2, v6
	v_addc_co_u32_e32 v7, vcc, 0, v7, vcc
	flat_store_dwordx2 v[32:33], v[6:7]
	s_branch .LBB4_650
.LBB4_1337:                             ;   in Loop: Header=BB4_648 Depth=2
	s_or_b64 exec, exec, s[74:75]
.LBB4_1338:                             ;   in Loop: Header=BB4_648 Depth=2
	s_or_b64 exec, exec, s[42:43]
	v_cmp_gt_i32_e32 vcc, 2, v0
	s_and_saveexec_b64 s[40:41], vcc
	s_cbranch_execz .LBB4_647
; %bb.1339:                             ;   in Loop: Header=BB4_648 Depth=2
	v_cmp_eq_u32_e64 s[74:75], 0, v0
	s_mov_b64 s[42:43], 0
	s_branch .LBB4_1341
.LBB4_1340:                             ;   in Loop: Header=BB4_1341 Depth=3
	s_or_b64 exec, exec, s[28:29]
	v_add_u32_e32 v10, v8, v10
	s_mov_b64 s[74:75], 0
	s_andn2_b64 exec, exec, s[42:43]
	s_cbranch_execz .LBB4_646
.LBB4_1341:                             ;   Parent Loop BB4_47 Depth=1
                                        ;     Parent Loop BB4_648 Depth=2
                                        ; =>    This Loop Header: Depth=3
                                        ;         Child Loop BB4_1347 Depth 4
                                        ;         Child Loop BB4_1375 Depth 4
	;; [unrolled: 1-line block ×3, first 2 shown]
	v_sub_u32_e32 v0, v22, v10
	v_min_i32_e32 v8, v8, v0
	v_and_b32_e32 v0, 12, v5
	v_cmp_ne_u32_e32 vcc, 0, v0
	s_and_saveexec_b64 s[76:77], vcc
	s_cbranch_execz .LBB4_1367
; %bb.1342:                             ;   in Loop: Header=BB4_1341 Depth=3
	v_and_b32_e32 v0, 8, v5
	s_waitcnt lgkmcnt(0)
	v_add_co_u32_e32 v11, vcc, v38, v0
	v_addc_co_u32_e32 v12, vcc, 0, v39, vcc
	v_add_co_u32_e32 v3, vcc, 2, v6
	v_addc_co_u32_e32 v4, vcc, 0, v7, vcc
	v_cmp_lt_u64_e32 vcc, v[11:12], v[3:4]
	s_and_saveexec_b64 s[78:79], vcc
	s_cbranch_execz .LBB4_1354
; %bb.1343:                             ;   in Loop: Header=BB4_1341 Depth=3
	v_and_b32_e32 v7, 64, v5
	s_mov_b32 s8, 0
	v_cmp_eq_u32_e32 vcc, 0, v7
	s_mov_b64 s[88:89], 0
                                        ; implicit-def: $sgpr90_sgpr91
                                        ; implicit-def: $sgpr92_sgpr93
                                        ; implicit-def: $sgpr94_sgpr95
	s_branch .LBB4_1347
.LBB4_1344:                             ;   in Loop: Header=BB4_1347 Depth=4
	s_waitcnt vmcnt(0) lgkmcnt(0)
	v_add_co_u32_e64 v11, s[28:29], v38, v0
	v_addc_co_u32_e64 v12, s[28:29], 0, v39, s[28:29]
	v_cmp_ge_u64_e64 s[28:29], v[11:12], v[3:4]
	s_or_b64 s[36:37], s[36:37], exec
	s_orn2_b64 s[34:35], s[28:29], exec
.LBB4_1345:                             ;   in Loop: Header=BB4_1347 Depth=4
	s_or_b64 exec, exec, s[48:49]
	s_andn2_b64 s[28:29], s[94:95], exec
	s_and_b64 s[94:95], s[36:37], exec
	s_or_b64 s[94:95], s[28:29], s[94:95]
	s_andn2_b64 s[28:29], s[92:93], exec
	s_and_b64 s[92:93], s[34:35], exec
	s_or_b64 s[92:93], s[28:29], s[92:93]
.LBB4_1346:                             ;   in Loop: Header=BB4_1347 Depth=4
	s_or_b64 exec, exec, s[30:31]
	s_and_b64 s[28:29], exec, s[92:93]
	s_or_b64 s[88:89], s[28:29], s[88:89]
	s_andn2_b64 s[28:29], s[90:91], exec
	s_and_b64 s[90:91], s[94:95], exec
	s_or_b64 s[90:91], s[28:29], s[90:91]
	s_andn2_b64 exec, exec, s[88:89]
	s_cbranch_execz .LBB4_1351
.LBB4_1347:                             ;   Parent Loop BB4_47 Depth=1
                                        ;     Parent Loop BB4_648 Depth=2
                                        ;       Parent Loop BB4_1341 Depth=3
                                        ; =>      This Inner Loop Header: Depth=4
	s_sleep 1
	s_waitcnt vmcnt(0) lgkmcnt(0)
	flat_load_dwordx2 v[38:39], v[32:33] glc
	s_or_b64 s[94:95], s[94:95], exec
	s_or_b64 s[92:93], s[92:93], exec
                                        ; implicit-def: $vgpr9
	s_and_saveexec_b64 s[30:31], vcc
	s_cbranch_execz .LBB4_1346
; %bb.1348:                             ;   in Loop: Header=BB4_1347 Depth=4
	s_cmpk_lt_i32 s8, 0x270f
	s_cselect_b64 s[38:39], -1, 0
	s_cmpk_gt_i32 s8, 0x270e
	s_mov_b64 s[34:35], -1
	s_cbranch_scc0 .LBB4_1350
; %bb.1349:                             ;   in Loop: Header=BB4_1347 Depth=4
	s_trap 2
	ds_read_b64 v[11:12], v0
	s_andn2_b64 s[38:39], s[38:39], exec
	s_mov_b32 s8, 0
	s_mov_b64 s[36:37], 0
	s_waitcnt vmcnt(0) lgkmcnt(0)
	flat_load_dword v9, v[11:12] glc
	s_waitcnt vmcnt(0) lgkmcnt(0)
	buffer_wbinvl1_vol
	v_cmp_eq_u32_e64 s[28:29], 0, v9
	s_and_b64 s[28:29], s[28:29], exec
	s_or_b64 s[38:39], s[38:39], s[28:29]
	s_and_saveexec_b64 s[48:49], s[38:39]
	s_cbranch_execz .LBB4_1345
	s_branch .LBB4_1344
.LBB4_1350:                             ;   in Loop: Header=BB4_1347 Depth=4
	s_add_i32 s8, s8, 1
	s_mov_b64 s[36:37], -1
                                        ; implicit-def: $vgpr9
	s_and_saveexec_b64 s[48:49], s[38:39]
	s_cbranch_execz .LBB4_1345
	s_branch .LBB4_1344
.LBB4_1351:                             ;   in Loop: Header=BB4_1341 Depth=3
	s_or_b64 exec, exec, s[88:89]
	s_xor_b64 s[28:29], s[90:91], -1
	s_and_saveexec_b64 s[88:89], s[28:29]
	s_xor_b64 s[28:29], exec, s[88:89]
	s_cbranch_execz .LBB4_1353
; %bb.1352:                             ;   in Loop: Header=BB4_1341 Depth=3
	v_or_b32_e32 v5, 64, v5
	s_waitcnt lgkmcnt(0)
	ds_write_b32 v0, v9
	s_trap 2
.LBB4_1353:                             ;   in Loop: Header=BB4_1341 Depth=3
	s_or_b64 exec, exec, s[28:29]
.LBB4_1354:                             ;   in Loop: Header=BB4_1341 Depth=3
	s_or_b64 exec, exec, s[78:79]
	v_and_b32_e32 v7, 0x108, v5
	v_cmp_ne_u32_e32 vcc, s45, v7
	;;#ASMSTART
	s_wakeup
	;;#ASMEND
                                        ; implicit-def: $vgpr11_vgpr12
	s_and_saveexec_b64 s[28:29], vcc
	s_xor_b64 s[28:29], exec, s[28:29]
; %bb.1355:                             ;   in Loop: Header=BB4_1341 Depth=3
	v_and_b32_e32 v11, 7, v6
	v_mov_b32_e32 v12, v2
                                        ; implicit-def: $vgpr6_vgpr7
; %bb.1356:                             ;   in Loop: Header=BB4_1341 Depth=3
	s_andn2_saveexec_b64 s[28:29], s[28:29]
	s_cbranch_execz .LBB4_1358
; %bb.1357:                             ;   in Loop: Header=BB4_1341 Depth=3
	buffer_load_dword v12, off, s[0:3], s33 offset:160 ; 4-byte Folded Reload
	buffer_load_dword v13, off, s[0:3], s33 offset:164 ; 4-byte Folded Reload
	;; [unrolled: 1-line block ×4, first 2 shown]
	v_and_b32_e32 v11, 7, v6
	v_ashrrev_i32_e32 v9, 31, v8
	s_waitcnt vmcnt(0)
	v_mad_u64_u32 v[6:7], s[78:79], v11, 24, v[12:13]
	v_lshlrev_b64 v[13:14], 1, v[8:9]
	v_mov_b32_e32 v12, v2
	flat_store_dwordx2 v[6:7], v[13:14] offset:8
.LBB4_1358:                             ;   in Loop: Header=BB4_1341 Depth=3
	s_or_b64 exec, exec, s[28:29]
	v_and_b32_e32 v6, 0x100, v5
	v_cmp_ne_u32_e32 vcc, 0, v6
	s_mov_b64 s[28:29], -1
                                        ; implicit-def: $vgpr13_vgpr14
	s_and_saveexec_b64 s[78:79], vcc
	s_cbranch_execz .LBB4_1362
; %bb.1359:                             ;   in Loop: Header=BB4_1341 Depth=3
	buffer_load_dword v13, off, s[0:3], s33 offset:160 ; 4-byte Folded Reload
	buffer_load_dword v14, off, s[0:3], s33 offset:164 ; 4-byte Folded Reload
	;; [unrolled: 1-line block ×4, first 2 shown]
	s_waitcnt vmcnt(0)
	v_mad_u64_u32 v[15:16], s[28:29], v11, 24, v[13:14]
                                        ; implicit-def: $vgpr13_vgpr14
	v_mov_b32_e32 v6, v16
	v_mad_u64_u32 v[6:7], s[28:29], v12, 24, v[6:7]
	v_mov_b32_e32 v16, v6
	flat_load_dword v6, v[15:16]
	s_waitcnt vmcnt(0) lgkmcnt(0)
	v_cmp_ne_u32_e32 vcc, 1, v6
	v_cmp_eq_u32_e64 s[28:29], 1, v6
	s_and_saveexec_b64 s[88:89], s[28:29]
	s_cbranch_execz .LBB4_1361
; %bb.1360:                             ;   in Loop: Header=BB4_1341 Depth=3
	flat_load_dword v6, v[15:16] offset:4 glc
	s_waitcnt vmcnt(0) lgkmcnt(0)
	v_ashrrev_i32_e32 v7, 31, v6
	v_lshrrev_b64 v[13:14], 1, v[6:7]
.LBB4_1361:                             ;   in Loop: Header=BB4_1341 Depth=3
	s_or_b64 exec, exec, s[88:89]
	s_orn2_b64 s[28:29], vcc, exec
.LBB4_1362:                             ;   in Loop: Header=BB4_1341 Depth=3
	s_or_b64 exec, exec, s[78:79]
	s_and_saveexec_b64 s[78:79], s[28:29]
	s_cbranch_execz .LBB4_1364
; %bb.1363:                             ;   in Loop: Header=BB4_1341 Depth=3
	buffer_load_dword v9, off, s[0:3], s33 offset:184 ; 4-byte Folded Reload
	buffer_load_dword v7, off, s[0:3], s33 offset:196 ; 4-byte Folded Reload
	s_waitcnt vmcnt(0)
	v_mul_lo_u32 v6, v12, v9
	v_mul_lo_u32 v7, v11, v7
	v_mad_u64_u32 v[13:14], s[28:29], v11, v9, 0
	v_add3_u32 v14, v14, v7, v6
.LBB4_1364:                             ;   in Loop: Header=BB4_1341 Depth=3
	s_or_b64 exec, exec, s[78:79]
	buffer_load_dword v11, off, s[0:3], s33 offset:152 ; 4-byte Folded Reload
	buffer_load_dword v12, off, s[0:3], s33 offset:156 ; 4-byte Folded Reload
	v_cmp_eq_u32_e32 vcc, 0, v0
	v_mov_b32_e32 v0, 0xc8
	v_mov_b32_e32 v6, 0x90
	v_cndmask_b32_e32 v0, v0, v6, vcc
	v_lshlrev_b64 v[6:7], 1, v[13:14]
	v_add_u32_e32 v0, v0, v0
	s_waitcnt vmcnt(0)
	v_add_co_u32_e32 v6, vcc, v11, v6
	v_addc_co_u32_e32 v7, vcc, v12, v7, vcc
	ds_write_b64 v0, v[6:7] offset:584
	v_and_b32_e32 v0, 0x2000, v5
	v_cmp_ne_u32_e32 vcc, 0, v0
	s_and_saveexec_b64 s[28:29], vcc
	s_cbranch_execz .LBB4_1366
; %bb.1365:                             ;   in Loop: Header=BB4_1341 Depth=3
	ds_read_b64 v[6:7], v0 offset:872
	s_waitcnt lgkmcnt(0)
	v_add_co_u32_e32 v6, vcc, 1, v6
	v_addc_co_u32_e32 v7, vcc, 0, v7, vcc
	ds_write_b64 v0, v[6:7] offset:872
.LBB4_1366:                             ;   in Loop: Header=BB4_1341 Depth=3
	s_or_b64 exec, exec, s[28:29]
	v_mov_b32_e32 v7, v4
	v_mov_b32_e32 v6, v3
.LBB4_1367:                             ;   in Loop: Header=BB4_1341 Depth=3
	s_or_b64 exec, exec, s[76:77]
	s_xor_b64 s[28:29], s[74:75], -1
	s_and_b64 s[28:29], exec, s[28:29]
	s_or_b64 s[42:43], s[28:29], s[42:43]
	s_and_saveexec_b64 s[28:29], s[10:11]
	s_cbranch_execz .LBB4_1386
; %bb.1368:                             ;   in Loop: Header=BB4_1341 Depth=3
	s_and_saveexec_b64 s[74:75], s[56:57]
	s_xor_b64 s[74:75], exec, s[74:75]
	s_cbranch_execz .LBB4_1383
; %bb.1369:                             ;   in Loop: Header=BB4_1341 Depth=3
	s_and_saveexec_b64 s[76:77], s[16:17]
	s_cbranch_execz .LBB4_1382
; %bb.1370:                             ;   in Loop: Header=BB4_1341 Depth=3
	s_mov_b64 s[88:89], exec
	v_mbcnt_lo_u32_b32 v0, s88, 0
	v_mbcnt_hi_u32_b32 v0, s89, v0
	v_cmp_eq_u32_e32 vcc, 0, v0
	s_waitcnt vmcnt(0) lgkmcnt(0)
	buffer_wbinvl1_vol
	s_and_saveexec_b64 s[78:79], vcc
	s_cbranch_execz .LBB4_1372
; %bb.1371:                             ;   in Loop: Header=BB4_1341 Depth=3
	s_bcnt1_i32_b64 s8, s[88:89]
	v_mov_b32_e32 v3, s8
	v_mov_b32_e32 v4, v2
	ds_add_u64 v0, v[3:4]
	s_trap 2
.LBB4_1372:                             ;   in Loop: Header=BB4_1341 Depth=3
	s_or_b64 exec, exec, s[78:79]
	s_trap 2
	ds_read_b64 v[3:4], v0
	s_waitcnt lgkmcnt(0)
	v_add_co_u32_e32 v36, vcc, v36, v59
	v_addc_co_u32_e32 v37, vcc, 0, v37, vcc
	v_cmp_lt_u64_e32 vcc, v[3:4], v[36:37]
	s_and_saveexec_b64 s[78:79], vcc
	s_cbranch_execz .LBB4_1381
; %bb.1373:                             ;   in Loop: Header=BB4_1341 Depth=3
	s_mov_b32 s8, 0
	s_mov_b64 s[88:89], 0
                                        ; implicit-def: $sgpr90_sgpr91
                                        ; implicit-def: $sgpr92_sgpr93
	s_branch .LBB4_1375
.LBB4_1374:                             ;   in Loop: Header=BB4_1375 Depth=4
	s_or_b64 exec, exec, s[30:31]
	s_and_b64 s[94:95], exec, vcc
	s_or_b64 s[88:89], s[94:95], s[88:89]
	s_andn2_b64 s[90:91], s[90:91], exec
	s_and_b64 s[94:95], s[92:93], exec
	s_or_b64 s[90:91], s[90:91], s[94:95]
	s_andn2_b64 exec, exec, s[88:89]
	s_cbranch_execz .LBB4_1379
.LBB4_1375:                             ;   Parent Loop BB4_47 Depth=1
                                        ;     Parent Loop BB4_648 Depth=2
                                        ;       Parent Loop BB4_1341 Depth=3
                                        ; =>      This Inner Loop Header: Depth=4
	s_add_i32 s8, s8, 1
	s_cmpk_lg_i32 s8, 0x2710
	s_cselect_b64 s[94:95], -1, 0
	s_and_b64 vcc, exec, s[94:95]
	s_cbranch_vccz .LBB4_1377
; %bb.1376:                             ;   in Loop: Header=BB4_1375 Depth=4
	s_mov_b64 vcc, -1
	s_or_b64 s[92:93], s[92:93], exec
	s_and_saveexec_b64 s[30:31], s[94:95]
	s_cbranch_execz .LBB4_1374
	s_branch .LBB4_1378
.LBB4_1377:                             ;   in Loop: Header=BB4_1375 Depth=4
	s_trap 2
	ds_read_b64 v[3:4], v0
	s_andn2_b64 s[94:95], s[94:95], exec
	s_mov_b32 s8, 0
	s_waitcnt lgkmcnt(0)
	flat_load_dword v0, v[3:4] glc
	s_waitcnt vmcnt(0) lgkmcnt(0)
	buffer_wbinvl1_vol
	v_cmp_eq_u32_e32 vcc, 0, v0
	s_and_b64 vcc, vcc, exec
	s_or_b64 s[94:95], s[94:95], vcc
	s_mov_b64 vcc, -1
	s_or_b64 s[92:93], s[92:93], exec
	s_and_saveexec_b64 s[30:31], s[94:95]
	s_cbranch_execz .LBB4_1374
.LBB4_1378:                             ;   in Loop: Header=BB4_1375 Depth=4
	s_sleep 1
	s_trap 2
	ds_read_b64 v[3:4], v0
	s_waitcnt lgkmcnt(0)
	s_andn2_b64 s[92:93], s[92:93], exec
	v_cmp_ge_u64_e32 vcc, v[3:4], v[36:37]
	s_orn2_b64 vcc, vcc, exec
	s_branch .LBB4_1374
.LBB4_1379:                             ;   in Loop: Header=BB4_1341 Depth=3
	s_or_b64 exec, exec, s[88:89]
	s_and_saveexec_b64 s[88:89], s[90:91]
	s_xor_b64 s[88:89], exec, s[88:89]
	s_cbranch_execz .LBB4_1381
; %bb.1380:                             ;   in Loop: Header=BB4_1341 Depth=3
	v_mov_b32_e32 v0, 1
	ds_write_b32 v0, v0
	s_trap 2
.LBB4_1381:                             ;   in Loop: Header=BB4_1341 Depth=3
	s_or_b64 exec, exec, s[78:79]
	;;#ASMSTART
	s_wakeup
	;;#ASMEND
.LBB4_1382:                             ;   in Loop: Header=BB4_1341 Depth=3
	s_or_b64 exec, exec, s[76:77]
.LBB4_1383:                             ;   in Loop: Header=BB4_1341 Depth=3
	s_andn2_saveexec_b64 s[74:75], s[74:75]
	s_cbranch_execz .LBB4_1385
; %bb.1384:                             ;   in Loop: Header=BB4_1341 Depth=3
	s_waitcnt vmcnt(0) lgkmcnt(0)
	buffer_wbinvl1_vol
	s_barrier
.LBB4_1385:                             ;   in Loop: Header=BB4_1341 Depth=3
	s_or_b64 exec, exec, s[74:75]
.LBB4_1386:                             ;   in Loop: Header=BB4_1341 Depth=3
	s_or_b64 exec, exec, s[28:29]
                                        ; implicit-def: $vgpr0
	s_and_saveexec_b64 s[28:29], s[62:63]
	s_xor_b64 s[28:29], exec, s[28:29]
	s_cbranch_execz .LBB4_1398
; %bb.1387:                             ;   in Loop: Header=BB4_1341 Depth=3
	s_and_saveexec_b64 s[74:75], s[56:57]
	s_xor_b64 s[74:75], exec, s[74:75]
	s_cbranch_execz .LBB4_1403
; %bb.1388:                             ;   in Loop: Header=BB4_1341 Depth=3
	s_and_saveexec_b64 s[76:77], s[16:17]
	s_cbranch_execz .LBB4_1402
; %bb.1389:                             ;   in Loop: Header=BB4_1341 Depth=3
	s_mov_b64 s[88:89], exec
	v_mbcnt_lo_u32_b32 v0, s88, 0
	v_mbcnt_hi_u32_b32 v0, s89, v0
	v_cmp_eq_u32_e32 vcc, 0, v0
	;;#ASMSTART
	s_waitcnt lgkmcnt(0) vmcnt(0)
	;;#ASMEND
	s_and_saveexec_b64 s[78:79], vcc
	s_cbranch_execz .LBB4_1391
; %bb.1390:                             ;   in Loop: Header=BB4_1341 Depth=3
	s_bcnt1_i32_b64 s8, s[88:89]
	v_mov_b32_e32 v3, s8
	v_mov_b32_e32 v4, v2
	s_waitcnt lgkmcnt(0)
	ds_add_u64 v0, v[3:4]
	s_trap 2
.LBB4_1391:                             ;   in Loop: Header=BB4_1341 Depth=3
	s_or_b64 exec, exec, s[78:79]
	s_trap 2
	ds_read_b64 v[3:4], v0
	s_waitcnt lgkmcnt(0)
	v_add_co_u32_e32 v36, vcc, v36, v59
	v_addc_co_u32_e32 v37, vcc, 0, v37, vcc
	v_cmp_lt_u64_e32 vcc, v[3:4], v[36:37]
	s_and_saveexec_b64 s[78:79], vcc
	s_cbranch_execz .LBB4_1401
; %bb.1392:                             ;   in Loop: Header=BB4_1341 Depth=3
	s_mov_b32 s8, 0
	s_mov_b64 s[88:89], 0
                                        ; implicit-def: $sgpr90_sgpr91
                                        ; implicit-def: $sgpr92_sgpr93
	s_branch .LBB4_1394
.LBB4_1393:                             ;   in Loop: Header=BB4_1394 Depth=4
	s_or_b64 exec, exec, s[30:31]
	s_and_b64 s[94:95], exec, vcc
	s_or_b64 s[88:89], s[94:95], s[88:89]
	s_andn2_b64 s[90:91], s[90:91], exec
	s_and_b64 s[94:95], s[92:93], exec
	s_or_b64 s[90:91], s[90:91], s[94:95]
	s_andn2_b64 exec, exec, s[88:89]
	s_cbranch_execz .LBB4_1399
.LBB4_1394:                             ;   Parent Loop BB4_47 Depth=1
                                        ;     Parent Loop BB4_648 Depth=2
                                        ;       Parent Loop BB4_1341 Depth=3
                                        ; =>      This Inner Loop Header: Depth=4
	s_add_i32 s8, s8, 1
	s_cmpk_lg_i32 s8, 0x2710
	s_cselect_b64 s[94:95], -1, 0
	s_and_b64 vcc, exec, s[94:95]
	s_cbranch_vccz .LBB4_1396
; %bb.1395:                             ;   in Loop: Header=BB4_1394 Depth=4
	s_mov_b64 vcc, -1
	s_or_b64 s[92:93], s[92:93], exec
	s_and_saveexec_b64 s[30:31], s[94:95]
	s_cbranch_execz .LBB4_1393
	s_branch .LBB4_1397
.LBB4_1396:                             ;   in Loop: Header=BB4_1394 Depth=4
	s_trap 2
	ds_read_b64 v[3:4], v0
	s_andn2_b64 s[94:95], s[94:95], exec
	s_mov_b32 s8, 0
	s_waitcnt vmcnt(0) lgkmcnt(0)
	flat_load_dword v0, v[3:4] glc
	s_waitcnt vmcnt(0) lgkmcnt(0)
	buffer_wbinvl1_vol
	v_cmp_eq_u32_e32 vcc, 0, v0
	s_and_b64 vcc, vcc, exec
	s_or_b64 s[94:95], s[94:95], vcc
	s_mov_b64 vcc, -1
	s_or_b64 s[92:93], s[92:93], exec
	s_and_saveexec_b64 s[30:31], s[94:95]
	s_cbranch_execz .LBB4_1393
.LBB4_1397:                             ;   in Loop: Header=BB4_1394 Depth=4
	s_sleep 1
	s_trap 2
	ds_read_b64 v[3:4], v0
	s_waitcnt lgkmcnt(0)
	s_andn2_b64 s[92:93], s[92:93], exec
	v_cmp_ge_u64_e32 vcc, v[3:4], v[36:37]
	s_orn2_b64 vcc, vcc, exec
	s_branch .LBB4_1393
.LBB4_1398:                             ;   in Loop: Header=BB4_1341 Depth=3
	s_andn2_saveexec_b64 s[28:29], s[28:29]
	s_cbranch_execnz .LBB4_1406
	s_branch .LBB4_1409
.LBB4_1399:                             ;   in Loop: Header=BB4_1341 Depth=3
	s_or_b64 exec, exec, s[88:89]
	s_and_saveexec_b64 s[88:89], s[90:91]
	s_xor_b64 s[88:89], exec, s[88:89]
	s_cbranch_execz .LBB4_1401
; %bb.1400:                             ;   in Loop: Header=BB4_1341 Depth=3
	v_mov_b32_e32 v0, 1
	ds_write_b32 v0, v0
	s_trap 2
.LBB4_1401:                             ;   in Loop: Header=BB4_1341 Depth=3
	s_or_b64 exec, exec, s[78:79]
	;;#ASMSTART
	s_wakeup
	;;#ASMEND
.LBB4_1402:                             ;   in Loop: Header=BB4_1341 Depth=3
	s_or_b64 exec, exec, s[76:77]
.LBB4_1403:                             ;   in Loop: Header=BB4_1341 Depth=3
	s_andn2_saveexec_b64 s[74:75], s[74:75]
	s_cbranch_execz .LBB4_1405
; %bb.1404:                             ;   in Loop: Header=BB4_1341 Depth=3
	;;#ASMSTART
	s_waitcnt lgkmcnt(0) vmcnt(0)
	;;#ASMEND
	s_waitcnt vmcnt(0) lgkmcnt(0)
	s_barrier
.LBB4_1405:                             ;   in Loop: Header=BB4_1341 Depth=3
	s_or_b64 exec, exec, s[74:75]
	v_and_b32_e32 v0, 16, v5
	s_andn2_saveexec_b64 s[28:29], s[28:29]
	s_cbranch_execz .LBB4_1409
.LBB4_1406:                             ;   in Loop: Header=BB4_1341 Depth=3
	s_trap 2
	ds_read_b32 v0, v0
	v_cmp_lt_i32_e32 vcc, 0, v8
	v_and_b32_e32 v3, 16, v5
	s_waitcnt lgkmcnt(0)
	v_readfirstlane_b32 s8, v0
	s_cmp_eq_u32 s8, 0
	s_cselect_b64 s[74:75], -1, 0
	s_and_b64 s[74:75], vcc, s[74:75]
	v_cmp_ne_u32_e32 vcc, 0, v3
	v_and_b32_e32 v0, 16, v5
	s_and_b64 s[76:77], vcc, s[74:75]
	s_and_saveexec_b64 s[74:75], s[76:77]
	s_cbranch_execz .LBB4_1408
; %bb.1407:                             ;   in Loop: Header=BB4_1341 Depth=3
	v_mov_b32_e32 v0, 1
	s_waitcnt vmcnt(0)
	buffer_wbinvl1_vol
.LBB4_1408:                             ;   in Loop: Header=BB4_1341 Depth=3
	s_or_b64 exec, exec, s[74:75]
.LBB4_1409:                             ;   in Loop: Header=BB4_1341 Depth=3
	s_or_b64 exec, exec, s[28:29]
	v_cmp_ne_u32_e32 vcc, 0, v0
	s_xor_b64 s[28:29], s[12:13], -1
	s_and_b64 s[74:75], vcc, s[28:29]
	s_and_saveexec_b64 s[28:29], s[74:75]
	s_cbranch_execz .LBB4_1411
; %bb.1410:                             ;   in Loop: Header=BB4_1341 Depth=3
	buffer_load_dword v3, off, s[0:3], s33 offset:176 ; 4-byte Folded Reload
	buffer_load_dword v4, off, s[0:3], s33 offset:180 ; 4-byte Folded Reload
	v_mov_b32_e32 v0, 1
	s_waitcnt vmcnt(0)
	flat_store_dword v[3:4], v0
.LBB4_1411:                             ;   in Loop: Header=BB4_1341 Depth=3
	s_or_b64 exec, exec, s[28:29]
	v_and_b32_e32 v0, 48, v5
	v_cmp_ne_u32_e32 vcc, 0, v0
	s_and_saveexec_b64 s[28:29], vcc
	s_cbranch_execz .LBB4_1340
; %bb.1412:                             ;   in Loop: Header=BB4_1341 Depth=3
	v_add_co_u32_e32 v6, vcc, 2, v6
	v_addc_co_u32_e32 v7, vcc, 0, v7, vcc
	flat_store_dwordx2 v[32:33], v[6:7]
	s_branch .LBB4_1340
.LBB4_1413:                             ;   in Loop: Header=BB4_47 Depth=1
	buffer_load_dword v10, off, s[0:3], s33 offset:236 ; 4-byte Folded Reload
	buffer_load_dword v11, off, s[0:3], s33 offset:240 ; 4-byte Folded Reload
	v_mov_b32_e32 v14, 0
	s_waitcnt vmcnt(0)
	v_mul_lo_u32 v8, v10, s51
	v_mul_lo_u32 v0, v11, s50
	v_mad_u64_u32 v[3:4], s[8:9], v10, s50, 0
	v_add3_u32 v4, v4, v8, v0
	buffer_load_dword v8, off, s[0:3], s33 offset:228 ; 4-byte Folded Reload
	buffer_load_dword v9, off, s[0:3], s33 offset:232 ; 4-byte Folded Reload
	v_mov_b32_e32 v0, 0
	s_waitcnt vmcnt(0)
	v_sub_co_u32_e32 v8, vcc, v8, v3
	v_subb_co_u32_e32 v9, vcc, v9, v4, vcc
	v_cmp_lt_i64_e32 vcc, v[10:11], v[8:9]
	v_cndmask_b32_e32 v8, v8, v10, vcc
	v_max_i32_e32 v43, 0, v8
	v_add_u32_e32 v9, 31, v43
	v_lshrrev_b32_e32 v9, 1, v9
	v_and_b32_e32 v9, 0x3ffffff0, v9
	v_cmp_lt_i32_e32 vcc, 0, v8
	v_max_i32_e32 v12, s66, v9
	s_and_b64 s[8:9], s[72:73], vcc
	s_and_saveexec_b64 s[74:75], s[8:9]
	s_cbranch_execz .LBB4_2694
; %bb.1414:                             ;   in Loop: Header=BB4_47 Depth=1
	buffer_load_dword v8, off, s[0:3], s33 offset:204 ; 4-byte Folded Reload
	buffer_load_dword v9, off, s[0:3], s33 offset:208 ; 4-byte Folded Reload
	s_mov_b32 s53, 1
	s_mov_b64 s[78:79], -1
	v_mov_b32_e32 v14, 0
	s_mov_b64 s[76:77], 0
	s_waitcnt vmcnt(0)
	v_add_co_u32_e32 v3, vcc, v3, v8
	v_addc_co_u32_e32 v4, vcc, v4, v9, vcc
	v_lshlrev_b64 v[45:46], 1, v[3:4]
	s_branch .LBB4_1416
.LBB4_1415:                             ;   in Loop: Header=BB4_1416 Depth=2
	s_or_b64 exec, exec, s[28:29]
	v_add_u32_e32 v14, v12, v14
	v_cmp_ge_i32_e32 vcc, v14, v43
	s_xor_b64 s[8:9], s[78:79], -1
	s_or_b64 s[8:9], s[8:9], vcc
	s_and_b64 s[8:9], exec, s[8:9]
	s_or_b64 s[76:77], s[8:9], s[76:77]
	s_mov_b64 s[78:79], 0
	v_mov_b32_e32 v0, s53
	s_mov_b32 s53, 2
	s_andn2_b64 exec, exec, s[76:77]
	s_cbranch_execz .LBB4_2769
.LBB4_1416:                             ;   Parent Loop BB4_47 Depth=1
                                        ; =>  This Loop Header: Depth=2
                                        ;       Child Loop BB4_1424 Depth 3
                                        ;       Child Loop BB4_1452 Depth 3
	;; [unrolled: 1-line block ×4, first 2 shown]
                                        ;         Child Loop BB4_1495 Depth 4
                                        ;         Child Loop BB4_1562 Depth 4
	;; [unrolled: 1-line block ×4, first 2 shown]
                                        ;       Child Loop BB4_1705 Depth 3
                                        ;       Child Loop BB4_1710 Depth 3
                                        ;         Child Loop BB4_1711 Depth 4
                                        ;         Child Loop BB4_1778 Depth 4
	;; [unrolled: 1-line block ×4, first 2 shown]
                                        ;       Child Loop BB4_1918 Depth 3
                                        ;       Child Loop BB4_1926 Depth 3
	;; [unrolled: 1-line block ×3, first 2 shown]
                                        ;         Child Loop BB4_2036 Depth 4
                                        ;         Child Loop BB4_2047 Depth 4
	;; [unrolled: 1-line block ×4, first 2 shown]
                                        ;       Child Loop BB4_2074 Depth 3
                                        ;       Child Loop BB4_2086 Depth 3
                                        ;         Child Loop BB4_2087 Depth 4
                                        ;         Child Loop BB4_2156 Depth 4
                                        ;       Child Loop BB4_2297 Depth 3
                                        ;         Child Loop BB4_2298 Depth 4
                                        ;         Child Loop BB4_2367 Depth 4
                                        ;       Child Loop BB4_2508 Depth 3
                                        ;       Child Loop BB4_2615 Depth 3
                                        ;         Child Loop BB4_2616 Depth 4
                                        ;         Child Loop BB4_2629 Depth 4
                                        ;       Child Loop BB4_2656 Depth 3
                                        ;       Child Loop BB4_2679 Depth 3
	s_and_saveexec_b64 s[28:29], s[4:5]
	s_cbranch_execz .LBB4_1418
; %bb.1417:                             ;   in Loop: Header=BB4_1416 Depth=2
	s_trap 2
	s_waitcnt lgkmcnt(0)
	ds_read2_b64 v[8:11], v0 offset1:1
	v_ashrrev_i32_e32 v15, 31, v14
	v_lshlrev_b64 v[3:4], 1, v[14:15]
	s_waitcnt lgkmcnt(0)
	v_add_co_u32_e32 v0, vcc, v8, v45
	v_addc_co_u32_e32 v9, vcc, v9, v46, vcc
	v_add_co_u32_e32 v8, vcc, v0, v3
	v_addc_co_u32_e32 v9, vcc, v9, v4, vcc
	ds_write_b64 v0, v[8:9]
	v_add_co_u32_e32 v0, vcc, v10, v45
	v_addc_co_u32_e32 v9, vcc, v11, v46, vcc
	v_add_co_u32_e32 v8, vcc, v0, v3
	v_addc_co_u32_e32 v9, vcc, v9, v4, vcc
	ds_write_b64 v0, v[8:9]
	ds_read_b64 v[8:9], v0
	s_waitcnt lgkmcnt(0)
	v_add_co_u32_e32 v0, vcc, v8, v45
	v_addc_co_u32_e32 v10, vcc, v9, v46, vcc
	v_add_co_u32_e32 v0, vcc, v0, v3
	v_addc_co_u32_e32 v3, vcc, v10, v4, vcc
	v_cmp_ne_u64_e32 vcc, 0, v[8:9]
	v_cndmask_b32_e32 v4, 0, v3, vcc
	v_cndmask_b32_e32 v3, 0, v0, vcc
	ds_write_b64 v0, v[3:4]
.LBB4_1418:                             ;   in Loop: Header=BB4_1416 Depth=2
	s_or_b64 exec, exec, s[28:29]
	v_sub_u32_e32 v0, v43, v14
	v_min_i32_e32 v12, v12, v0
	v_and_b32_e32 v0, 12, v5
	v_cmp_ne_u32_e32 vcc, 0, v0
	s_and_saveexec_b64 s[40:41], vcc
	s_cbranch_execz .LBB4_1444
; %bb.1419:                             ;   in Loop: Header=BB4_1416 Depth=2
	v_and_b32_e32 v0, 8, v5
	s_waitcnt lgkmcnt(0)
	v_add_co_u32_e32 v8, vcc, v38, v0
	v_addc_co_u32_e32 v9, vcc, 0, v39, vcc
	v_add_co_u32_e32 v3, vcc, 2, v6
	v_addc_co_u32_e32 v4, vcc, 0, v7, vcc
	v_cmp_lt_u64_e32 vcc, v[8:9], v[3:4]
	s_and_saveexec_b64 s[42:43], vcc
	s_cbranch_execz .LBB4_1431
; %bb.1420:                             ;   in Loop: Header=BB4_1416 Depth=2
	v_and_b32_e32 v7, 64, v5
	s_mov_b32 s9, 0
	v_cmp_eq_u32_e32 vcc, 0, v7
	s_mov_b64 s[88:89], 0
                                        ; implicit-def: $sgpr90_sgpr91
                                        ; implicit-def: $sgpr92_sgpr93
                                        ; implicit-def: $sgpr94_sgpr95
	s_branch .LBB4_1424
.LBB4_1421:                             ;   in Loop: Header=BB4_1424 Depth=3
	s_waitcnt vmcnt(0) lgkmcnt(0)
	v_add_co_u32_e64 v9, s[28:29], v38, v0
	v_addc_co_u32_e64 v10, s[28:29], 0, v39, s[28:29]
	v_cmp_ge_u64_e64 s[28:29], v[9:10], v[3:4]
	s_or_b64 s[36:37], s[36:37], exec
	s_orn2_b64 s[34:35], s[28:29], exec
.LBB4_1422:                             ;   in Loop: Header=BB4_1424 Depth=3
	s_or_b64 exec, exec, s[48:49]
	s_andn2_b64 s[28:29], s[94:95], exec
	s_and_b64 s[94:95], s[36:37], exec
	s_or_b64 s[94:95], s[28:29], s[94:95]
	s_andn2_b64 s[28:29], s[92:93], exec
	s_and_b64 s[92:93], s[34:35], exec
	s_or_b64 s[92:93], s[28:29], s[92:93]
.LBB4_1423:                             ;   in Loop: Header=BB4_1424 Depth=3
	s_or_b64 exec, exec, s[30:31]
	s_and_b64 s[28:29], exec, s[92:93]
	s_or_b64 s[88:89], s[28:29], s[88:89]
	s_andn2_b64 s[28:29], s[90:91], exec
	s_and_b64 s[90:91], s[94:95], exec
	s_or_b64 s[90:91], s[28:29], s[90:91]
	s_andn2_b64 exec, exec, s[88:89]
	s_cbranch_execz .LBB4_1428
.LBB4_1424:                             ;   Parent Loop BB4_47 Depth=1
                                        ;     Parent Loop BB4_1416 Depth=2
                                        ; =>    This Inner Loop Header: Depth=3
	s_sleep 1
	s_waitcnt vmcnt(0) lgkmcnt(0)
	flat_load_dwordx2 v[38:39], v[32:33] glc
	s_or_b64 s[94:95], s[94:95], exec
	s_or_b64 s[92:93], s[92:93], exec
                                        ; implicit-def: $vgpr8
	s_and_saveexec_b64 s[30:31], vcc
	s_cbranch_execz .LBB4_1423
; %bb.1425:                             ;   in Loop: Header=BB4_1424 Depth=3
	s_cmpk_lt_i32 s9, 0x270f
	s_cselect_b64 s[38:39], -1, 0
	s_cmpk_gt_i32 s9, 0x270e
	s_mov_b64 s[34:35], -1
	s_cbranch_scc0 .LBB4_1427
; %bb.1426:                             ;   in Loop: Header=BB4_1424 Depth=3
	s_trap 2
	ds_read_b64 v[7:8], v0
	s_andn2_b64 s[38:39], s[38:39], exec
	s_mov_b32 s9, 0
	s_mov_b64 s[36:37], 0
	s_waitcnt vmcnt(0) lgkmcnt(0)
	flat_load_dword v8, v[7:8] glc
	s_waitcnt vmcnt(0) lgkmcnt(0)
	buffer_wbinvl1_vol
	v_cmp_eq_u32_e64 s[28:29], 0, v8
	s_and_b64 s[28:29], s[28:29], exec
	s_or_b64 s[38:39], s[38:39], s[28:29]
	s_and_saveexec_b64 s[48:49], s[38:39]
	s_cbranch_execz .LBB4_1422
	s_branch .LBB4_1421
.LBB4_1427:                             ;   in Loop: Header=BB4_1424 Depth=3
	s_add_i32 s9, s9, 1
	s_mov_b64 s[36:37], -1
                                        ; implicit-def: $vgpr8
	s_and_saveexec_b64 s[48:49], s[38:39]
	s_cbranch_execz .LBB4_1422
	s_branch .LBB4_1421
.LBB4_1428:                             ;   in Loop: Header=BB4_1416 Depth=2
	s_or_b64 exec, exec, s[88:89]
	s_xor_b64 s[8:9], s[90:91], -1
	s_and_saveexec_b64 s[28:29], s[8:9]
	s_xor_b64 s[28:29], exec, s[28:29]
	s_cbranch_execz .LBB4_1430
; %bb.1429:                             ;   in Loop: Header=BB4_1416 Depth=2
	v_or_b32_e32 v5, 64, v5
	s_waitcnt lgkmcnt(0)
	ds_write_b32 v0, v8
	s_trap 2
.LBB4_1430:                             ;   in Loop: Header=BB4_1416 Depth=2
	s_or_b64 exec, exec, s[28:29]
.LBB4_1431:                             ;   in Loop: Header=BB4_1416 Depth=2
	s_or_b64 exec, exec, s[42:43]
	v_and_b32_e32 v7, 0x108, v5
	v_cmp_ne_u32_e32 vcc, s45, v7
	;;#ASMSTART
	s_wakeup
	;;#ASMEND
                                        ; implicit-def: $vgpr8_vgpr9
	s_and_saveexec_b64 s[8:9], vcc
	s_xor_b64 s[28:29], exec, s[8:9]
; %bb.1432:                             ;   in Loop: Header=BB4_1416 Depth=2
	v_and_b32_e32 v8, 7, v6
	v_mov_b32_e32 v9, v2
                                        ; implicit-def: $vgpr6_vgpr7
; %bb.1433:                             ;   in Loop: Header=BB4_1416 Depth=2
	s_andn2_saveexec_b64 s[28:29], s[28:29]
	s_cbranch_execz .LBB4_1435
; %bb.1434:                             ;   in Loop: Header=BB4_1416 Depth=2
	buffer_load_dword v15, off, s[0:3], s33 offset:160 ; 4-byte Folded Reload
	buffer_load_dword v16, off, s[0:3], s33 offset:164 ; 4-byte Folded Reload
	;; [unrolled: 1-line block ×4, first 2 shown]
	v_and_b32_e32 v8, 7, v6
	v_ashrrev_i32_e32 v13, 31, v12
	v_lshlrev_b64 v[10:11], 1, v[12:13]
	v_mov_b32_e32 v9, v2
	s_waitcnt vmcnt(0)
	v_mad_u64_u32 v[6:7], s[8:9], v8, 24, v[15:16]
	flat_store_dwordx2 v[6:7], v[10:11] offset:8
.LBB4_1435:                             ;   in Loop: Header=BB4_1416 Depth=2
	s_or_b64 exec, exec, s[28:29]
	v_and_b32_e32 v6, 0x100, v5
	v_cmp_ne_u32_e32 vcc, 0, v6
	s_mov_b64 s[28:29], -1
                                        ; implicit-def: $vgpr10_vgpr11
	s_and_saveexec_b64 s[42:43], vcc
	s_cbranch_execz .LBB4_1439
; %bb.1436:                             ;   in Loop: Header=BB4_1416 Depth=2
	buffer_load_dword v15, off, s[0:3], s33 offset:160 ; 4-byte Folded Reload
	buffer_load_dword v16, off, s[0:3], s33 offset:164 ; 4-byte Folded Reload
	;; [unrolled: 1-line block ×4, first 2 shown]
                                        ; implicit-def: $vgpr10_vgpr11
	s_waitcnt vmcnt(0)
	v_mad_u64_u32 v[18:19], s[8:9], v8, 24, v[15:16]
	v_mov_b32_e32 v6, v19
	v_mad_u64_u32 v[6:7], s[8:9], v9, 24, v[6:7]
	v_mov_b32_e32 v19, v6
	flat_load_dword v6, v[18:19]
	s_waitcnt vmcnt(0) lgkmcnt(0)
	v_cmp_ne_u32_e32 vcc, 1, v6
	v_cmp_eq_u32_e64 s[28:29], 1, v6
	s_and_saveexec_b64 s[88:89], s[28:29]
	s_cbranch_execz .LBB4_1438
; %bb.1437:                             ;   in Loop: Header=BB4_1416 Depth=2
	flat_load_dword v6, v[18:19] offset:4 glc
	s_waitcnt vmcnt(0) lgkmcnt(0)
	v_ashrrev_i32_e32 v7, 31, v6
	v_lshrrev_b64 v[10:11], 1, v[6:7]
.LBB4_1438:                             ;   in Loop: Header=BB4_1416 Depth=2
	s_or_b64 exec, exec, s[88:89]
	s_orn2_b64 s[28:29], vcc, exec
.LBB4_1439:                             ;   in Loop: Header=BB4_1416 Depth=2
	s_or_b64 exec, exec, s[42:43]
	s_and_saveexec_b64 s[42:43], s[28:29]
	s_cbranch_execz .LBB4_1441
; %bb.1440:                             ;   in Loop: Header=BB4_1416 Depth=2
	buffer_load_dword v10, off, s[0:3], s33 offset:184 ; 4-byte Folded Reload
	buffer_load_dword v7, off, s[0:3], s33 offset:196 ; 4-byte Folded Reload
	s_waitcnt vmcnt(0)
	v_mul_lo_u32 v6, v9, v10
	v_mul_lo_u32 v7, v8, v7
	v_mad_u64_u32 v[10:11], s[8:9], v8, v10, 0
	v_add3_u32 v11, v11, v7, v6
.LBB4_1441:                             ;   in Loop: Header=BB4_1416 Depth=2
	s_or_b64 exec, exec, s[42:43]
	buffer_load_dword v8, off, s[0:3], s33 offset:152 ; 4-byte Folded Reload
	buffer_load_dword v9, off, s[0:3], s33 offset:156 ; 4-byte Folded Reload
	v_cmp_eq_u32_e32 vcc, 0, v0
	v_mov_b32_e32 v0, 0x90
	v_mov_b32_e32 v6, 0xd0
	v_cndmask_b32_e32 v0, v6, v0, vcc
	v_lshlrev_b64 v[6:7], 1, v[10:11]
	v_add_u32_e32 v0, v0, v0
	s_waitcnt vmcnt(0)
	v_add_co_u32_e32 v6, vcc, v8, v6
	v_addc_co_u32_e32 v7, vcc, v9, v7, vcc
	ds_write_b64 v0, v[6:7] offset:584
	v_and_b32_e32 v0, 0x2000, v5
	v_cmp_ne_u32_e32 vcc, 0, v0
	s_and_saveexec_b64 s[28:29], vcc
	s_cbranch_execz .LBB4_1443
; %bb.1442:                             ;   in Loop: Header=BB4_1416 Depth=2
	ds_read_b64 v[6:7], v0 offset:872
	s_waitcnt lgkmcnt(0)
	v_add_co_u32_e32 v6, vcc, 1, v6
	v_addc_co_u32_e32 v7, vcc, 0, v7, vcc
	ds_write_b64 v0, v[6:7] offset:872
.LBB4_1443:                             ;   in Loop: Header=BB4_1416 Depth=2
	s_or_b64 exec, exec, s[28:29]
	v_mov_b32_e32 v7, v4
	v_mov_b32_e32 v6, v3
.LBB4_1444:                             ;   in Loop: Header=BB4_1416 Depth=2
	s_or_b64 exec, exec, s[40:41]
	s_and_saveexec_b64 s[28:29], s[10:11]
	s_cbranch_execz .LBB4_1463
; %bb.1445:                             ;   in Loop: Header=BB4_1416 Depth=2
	s_and_saveexec_b64 s[8:9], s[56:57]
	s_xor_b64 s[40:41], exec, s[8:9]
	s_cbranch_execz .LBB4_1460
; %bb.1446:                             ;   in Loop: Header=BB4_1416 Depth=2
	s_and_saveexec_b64 s[42:43], s[16:17]
	s_cbranch_execz .LBB4_1459
; %bb.1447:                             ;   in Loop: Header=BB4_1416 Depth=2
	s_mov_b64 s[90:91], exec
	v_mbcnt_lo_u32_b32 v0, s90, 0
	v_mbcnt_hi_u32_b32 v0, s91, v0
	v_cmp_eq_u32_e32 vcc, 0, v0
	s_waitcnt vmcnt(0) lgkmcnt(0)
	buffer_wbinvl1_vol
	s_and_saveexec_b64 s[88:89], vcc
	s_cbranch_execz .LBB4_1449
; %bb.1448:                             ;   in Loop: Header=BB4_1416 Depth=2
	s_bcnt1_i32_b64 s8, s[90:91]
	v_mov_b32_e32 v3, s8
	v_mov_b32_e32 v4, v2
	ds_add_u64 v0, v[3:4]
	s_trap 2
.LBB4_1449:                             ;   in Loop: Header=BB4_1416 Depth=2
	s_or_b64 exec, exec, s[88:89]
	s_trap 2
	ds_read_b64 v[3:4], v0
	s_waitcnt lgkmcnt(0)
	v_add_co_u32_e32 v36, vcc, v36, v59
	v_addc_co_u32_e32 v37, vcc, 0, v37, vcc
	v_cmp_lt_u64_e32 vcc, v[3:4], v[36:37]
	s_and_saveexec_b64 s[88:89], vcc
	s_cbranch_execz .LBB4_1458
; %bb.1450:                             ;   in Loop: Header=BB4_1416 Depth=2
	s_mov_b32 s8, 0
	s_mov_b64 s[90:91], 0
                                        ; implicit-def: $sgpr92_sgpr93
                                        ; implicit-def: $sgpr94_sgpr95
	s_branch .LBB4_1452
.LBB4_1451:                             ;   in Loop: Header=BB4_1452 Depth=3
	s_or_b64 exec, exec, s[34:35]
	s_and_b64 vcc, exec, vcc
	s_or_b64 s[90:91], vcc, s[90:91]
	s_andn2_b64 s[92:93], s[92:93], exec
	s_and_b64 vcc, s[94:95], exec
	s_or_b64 s[92:93], s[92:93], vcc
	s_andn2_b64 exec, exec, s[90:91]
	s_cbranch_execz .LBB4_1456
.LBB4_1452:                             ;   Parent Loop BB4_47 Depth=1
                                        ;     Parent Loop BB4_1416 Depth=2
                                        ; =>    This Inner Loop Header: Depth=3
	s_add_i32 s8, s8, 1
	s_cmpk_lg_i32 s8, 0x2710
	s_cselect_b64 s[30:31], -1, 0
	s_and_b64 vcc, exec, s[30:31]
	s_cbranch_vccz .LBB4_1454
; %bb.1453:                             ;   in Loop: Header=BB4_1452 Depth=3
	s_mov_b64 vcc, -1
	s_or_b64 s[94:95], s[94:95], exec
	s_and_saveexec_b64 s[34:35], s[30:31]
	s_cbranch_execz .LBB4_1451
	s_branch .LBB4_1455
.LBB4_1454:                             ;   in Loop: Header=BB4_1452 Depth=3
	s_trap 2
	ds_read_b64 v[3:4], v0
	s_andn2_b64 s[30:31], s[30:31], exec
	s_mov_b32 s8, 0
	s_waitcnt lgkmcnt(0)
	flat_load_dword v0, v[3:4] glc
	s_waitcnt vmcnt(0) lgkmcnt(0)
	buffer_wbinvl1_vol
	v_cmp_eq_u32_e32 vcc, 0, v0
	s_and_b64 vcc, vcc, exec
	s_or_b64 s[30:31], s[30:31], vcc
	s_mov_b64 vcc, -1
	s_or_b64 s[94:95], s[94:95], exec
	s_and_saveexec_b64 s[34:35], s[30:31]
	s_cbranch_execz .LBB4_1451
.LBB4_1455:                             ;   in Loop: Header=BB4_1452 Depth=3
	s_sleep 1
	s_trap 2
	ds_read_b64 v[3:4], v0
	s_waitcnt lgkmcnt(0)
	s_andn2_b64 s[94:95], s[94:95], exec
	v_cmp_ge_u64_e32 vcc, v[3:4], v[36:37]
	s_orn2_b64 vcc, vcc, exec
	s_branch .LBB4_1451
.LBB4_1456:                             ;   in Loop: Header=BB4_1416 Depth=2
	s_or_b64 exec, exec, s[90:91]
	s_and_saveexec_b64 s[8:9], s[92:93]
	s_xor_b64 s[8:9], exec, s[8:9]
	s_cbranch_execz .LBB4_1458
; %bb.1457:                             ;   in Loop: Header=BB4_1416 Depth=2
	v_mov_b32_e32 v0, 1
	ds_write_b32 v0, v0
	s_trap 2
.LBB4_1458:                             ;   in Loop: Header=BB4_1416 Depth=2
	s_or_b64 exec, exec, s[88:89]
	;;#ASMSTART
	s_wakeup
	;;#ASMEND
.LBB4_1459:                             ;   in Loop: Header=BB4_1416 Depth=2
	s_or_b64 exec, exec, s[42:43]
.LBB4_1460:                             ;   in Loop: Header=BB4_1416 Depth=2
	s_andn2_saveexec_b64 s[40:41], s[40:41]
	s_cbranch_execz .LBB4_1462
; %bb.1461:                             ;   in Loop: Header=BB4_1416 Depth=2
	s_waitcnt vmcnt(0) lgkmcnt(0)
	buffer_wbinvl1_vol
	s_barrier
.LBB4_1462:                             ;   in Loop: Header=BB4_1416 Depth=2
	s_or_b64 exec, exec, s[40:41]
.LBB4_1463:                             ;   in Loop: Header=BB4_1416 Depth=2
	s_or_b64 exec, exec, s[28:29]
	s_trap 2
	ds_read_b32 v0, v0
	v_and_b32_e32 v3, 0x4000, v5
	v_cmp_ne_u32_e32 vcc, 0, v3
	s_xor_b64 s[8:9], s[6:7], -1
	s_and_b64 s[8:9], s[8:9], vcc
	s_and_saveexec_b64 s[28:29], s[8:9]
	s_cbranch_execz .LBB4_1482
; %bb.1464:                             ;   in Loop: Header=BB4_1416 Depth=2
	s_and_saveexec_b64 s[8:9], s[56:57]
	s_xor_b64 s[40:41], exec, s[8:9]
	s_cbranch_execz .LBB4_1479
; %bb.1465:                             ;   in Loop: Header=BB4_1416 Depth=2
	s_and_saveexec_b64 s[42:43], s[16:17]
	s_cbranch_execz .LBB4_1478
; %bb.1466:                             ;   in Loop: Header=BB4_1416 Depth=2
	s_mov_b64 s[90:91], exec
	v_mbcnt_lo_u32_b32 v3, s90, 0
	v_mbcnt_hi_u32_b32 v3, s91, v3
	v_cmp_eq_u32_e32 vcc, 0, v3
	s_waitcnt vmcnt(0) lgkmcnt(0)
	buffer_wbinvl1_vol
	s_and_saveexec_b64 s[88:89], vcc
	s_cbranch_execz .LBB4_1468
; %bb.1467:                             ;   in Loop: Header=BB4_1416 Depth=2
	s_bcnt1_i32_b64 s8, s[90:91]
	v_mov_b32_e32 v3, s8
	v_mov_b32_e32 v4, v2
	ds_add_u64 v0, v[3:4]
	s_trap 2
.LBB4_1468:                             ;   in Loop: Header=BB4_1416 Depth=2
	s_or_b64 exec, exec, s[88:89]
	s_trap 2
	ds_read_b64 v[3:4], v0
	s_waitcnt lgkmcnt(0)
	v_add_co_u32_e32 v36, vcc, v36, v59
	v_addc_co_u32_e32 v37, vcc, 0, v37, vcc
	v_cmp_lt_u64_e32 vcc, v[3:4], v[36:37]
	s_and_saveexec_b64 s[88:89], vcc
	s_cbranch_execz .LBB4_1477
; %bb.1469:                             ;   in Loop: Header=BB4_1416 Depth=2
	s_mov_b32 s8, 0
	s_mov_b64 s[90:91], 0
                                        ; implicit-def: $sgpr92_sgpr93
                                        ; implicit-def: $sgpr94_sgpr95
	s_branch .LBB4_1471
.LBB4_1470:                             ;   in Loop: Header=BB4_1471 Depth=3
	s_or_b64 exec, exec, s[34:35]
	s_and_b64 vcc, exec, vcc
	s_or_b64 s[90:91], vcc, s[90:91]
	s_andn2_b64 s[92:93], s[92:93], exec
	s_and_b64 vcc, s[94:95], exec
	s_or_b64 s[92:93], s[92:93], vcc
	s_andn2_b64 exec, exec, s[90:91]
	s_cbranch_execz .LBB4_1475
.LBB4_1471:                             ;   Parent Loop BB4_47 Depth=1
                                        ;     Parent Loop BB4_1416 Depth=2
                                        ; =>    This Inner Loop Header: Depth=3
	s_add_i32 s8, s8, 1
	s_cmpk_lg_i32 s8, 0x2710
	s_cselect_b64 s[30:31], -1, 0
	s_and_b64 vcc, exec, s[30:31]
	s_cbranch_vccz .LBB4_1473
; %bb.1472:                             ;   in Loop: Header=BB4_1471 Depth=3
	s_mov_b64 vcc, -1
	s_or_b64 s[94:95], s[94:95], exec
	s_and_saveexec_b64 s[34:35], s[30:31]
	s_cbranch_execz .LBB4_1470
	s_branch .LBB4_1474
.LBB4_1473:                             ;   in Loop: Header=BB4_1471 Depth=3
	s_trap 2
	ds_read_b64 v[3:4], v0
	s_andn2_b64 s[30:31], s[30:31], exec
	s_mov_b32 s8, 0
	s_waitcnt lgkmcnt(0)
	flat_load_dword v3, v[3:4] glc
	s_waitcnt vmcnt(0) lgkmcnt(0)
	buffer_wbinvl1_vol
	v_cmp_eq_u32_e32 vcc, 0, v3
	s_and_b64 vcc, vcc, exec
	s_or_b64 s[30:31], s[30:31], vcc
	s_mov_b64 vcc, -1
	s_or_b64 s[94:95], s[94:95], exec
	s_and_saveexec_b64 s[34:35], s[30:31]
	s_cbranch_execz .LBB4_1470
.LBB4_1474:                             ;   in Loop: Header=BB4_1471 Depth=3
	s_sleep 1
	s_trap 2
	ds_read_b64 v[3:4], v0
	s_waitcnt lgkmcnt(0)
	s_andn2_b64 s[94:95], s[94:95], exec
	v_cmp_ge_u64_e32 vcc, v[3:4], v[36:37]
	s_orn2_b64 vcc, vcc, exec
	s_branch .LBB4_1470
.LBB4_1475:                             ;   in Loop: Header=BB4_1416 Depth=2
	s_or_b64 exec, exec, s[90:91]
	s_and_saveexec_b64 s[8:9], s[92:93]
	s_xor_b64 s[8:9], exec, s[8:9]
	s_cbranch_execz .LBB4_1477
; %bb.1476:                             ;   in Loop: Header=BB4_1416 Depth=2
	v_mov_b32_e32 v3, 1
	ds_write_b32 v0, v3
	s_trap 2
.LBB4_1477:                             ;   in Loop: Header=BB4_1416 Depth=2
	s_or_b64 exec, exec, s[88:89]
	;;#ASMSTART
	s_wakeup
	;;#ASMEND
.LBB4_1478:                             ;   in Loop: Header=BB4_1416 Depth=2
	s_or_b64 exec, exec, s[42:43]
.LBB4_1479:                             ;   in Loop: Header=BB4_1416 Depth=2
	s_andn2_saveexec_b64 s[40:41], s[40:41]
	s_cbranch_execz .LBB4_1481
; %bb.1480:                             ;   in Loop: Header=BB4_1416 Depth=2
	s_waitcnt vmcnt(0) lgkmcnt(0)
	buffer_wbinvl1_vol
	s_barrier
.LBB4_1481:                             ;   in Loop: Header=BB4_1416 Depth=2
	s_or_b64 exec, exec, s[40:41]
.LBB4_1482:                             ;   in Loop: Header=BB4_1416 Depth=2
	s_or_b64 exec, exec, s[28:29]
	s_trap 2
	s_waitcnt lgkmcnt(0)
	ds_read_b64 v[18:19], v0
	s_waitcnt lgkmcnt(0)
	v_cmp_eq_u64_e32 vcc, 0, v[18:19]
	s_cbranch_vccnz .LBB4_1635
; %bb.1483:                             ;   in Loop: Header=BB4_1416 Depth=2
	s_trap 2
	ds_read_b64 v[3:4], v0
	s_waitcnt lgkmcnt(0)
	buffer_store_dword v3, off, s[0:3], s33 offset:244 ; 4-byte Folded Spill
	s_nop 0
	buffer_store_dword v4, off, s[0:3], s33 offset:248 ; 4-byte Folded Spill
	v_cmp_eq_u64_e32 vcc, 0, v[3:4]
	s_cbranch_vccnz .LBB4_1635
; %bb.1484:                             ;   in Loop: Header=BB4_1416 Depth=2
	s_trap 2
	ds_read_b64 v[22:23], v0
	v_cmp_eq_u32_e32 vcc, 0, v0
	v_cndmask_b32_e32 v58, 0, v12, vcc
	v_lshlrev_b32_e32 v60, 1, v58
	s_mov_b64 s[28:29], -1
	s_waitcnt lgkmcnt(0)
	v_cmp_ne_u64_e32 vcc, 0, v[22:23]
	s_cbranch_vccz .LBB4_2076
; %bb.1485:                             ;   in Loop: Header=BB4_1416 Depth=2
	s_and_saveexec_b64 s[40:41], s[22:23]
	s_cbranch_execz .LBB4_1487
; %bb.1486:                             ;   in Loop: Header=BB4_1416 Depth=2
	ds_read_b32 v0, v0 offset:720
	s_waitcnt lgkmcnt(0)
	v_and_b32_e32 v0, 15, v0
	v_cmp_eq_u32_e32 vcc, 0, v0
	s_orn2_b64 s[28:29], vcc, exec
.LBB4_1487:                             ;   in Loop: Header=BB4_1416 Depth=2
	s_or_b64 exec, exec, s[40:41]
	s_and_saveexec_b64 s[40:41], s[22:23]
	s_cbranch_execz .LBB4_1489
; %bb.1488:                             ;   in Loop: Header=BB4_1416 Depth=2
	ds_read_b32 v0, v0 offset:784
	s_waitcnt lgkmcnt(0)
	v_and_b32_e32 v0, 15, v0
	v_cmp_eq_u32_e32 vcc, 0, v0
	s_and_b64 s[8:9], s[28:29], vcc
	s_andn2_b64 s[28:29], s[28:29], exec
	s_and_b64 s[8:9], s[8:9], exec
	s_or_b64 s[28:29], s[28:29], s[8:9]
.LBB4_1489:                             ;   in Loop: Header=BB4_1416 Depth=2
	s_or_b64 exec, exec, s[40:41]
	s_xor_b64 s[8:9], s[28:29], -1
	v_cndmask_b32_e64 v0, 0, 1, s[8:9]
	s_mov_b64 s[40:41], -1
	v_cmp_ne_u32_e32 vcc, 0, v0
	s_cbranch_vccz .LBB4_1636
; %bb.1490:                             ;   in Loop: Header=BB4_1416 Depth=2
	s_mov_b64 s[88:89], -1
	v_mov_b32_e32 v31, 0
	s_cbranch_execnz .LBB4_1637
.LBB4_1491:                             ;   in Loop: Header=BB4_1416 Depth=2
	v_ashrrev_i32_e32 v0, 31, v60
	v_lshrrev_b32_e32 v0, 22, v0
	buffer_load_dword v9, off, s[0:3], s33 offset:212 ; 4-byte Folded Reload
	v_add_u32_e32 v0, v60, v0
	s_trap 2
	ds_read_b64 v[24:25], v0
	buffer_load_dword v10, off, s[0:3], s33 offset:244 ; 4-byte Folded Reload
	buffer_load_dword v11, off, s[0:3], s33 offset:248 ; 4-byte Folded Reload
	v_ashrrev_i32_e32 v8, 10, v0
	v_and_b32_e32 v4, 0xfffffc00, v0
	buffer_load_dword v0, off, s[0:3], s33 offset:220 ; 4-byte Folded Reload
	v_sub_u32_e32 v26, v60, v4
	v_cmp_lt_i32_e64 s[28:29], 15, v26
	s_mov_b64 s[40:41], 0
	s_waitcnt vmcnt(0)
	v_sub_u32_e32 v50, v60, v9
	s_waitcnt vmcnt(2)
	v_add_co_u32_e32 v3, vcc, v10, v9
	s_waitcnt vmcnt(1)
	v_addc_co_u32_e32 v29, vcc, 0, v11, vcc
	v_add_co_u32_e32 v30, vcc, v22, v9
	s_waitcnt vmcnt(0)
	v_sub_u32_e32 v0, v8, v0
	v_addc_co_u32_e32 v31, vcc, 0, v23, vcc
	v_addc_co_u32_e64 v27, vcc, 0, v0, s[28:29]
	v_cmp_lt_i32_e32 vcc, 15, v50
	s_and_saveexec_b64 s[90:91], vcc
	s_cbranch_execz .LBB4_1639
; %bb.1492:                             ;   in Loop: Header=BB4_1416 Depth=2
	buffer_load_dword v8, off, s[0:3], s33 offset:212 ; 4-byte Folded Reload
	s_trap 2
	ds_read_b32 v0, v0
	s_mov_b64 s[30:31], 0
	s_mov_b64 s[92:93], 0
                                        ; implicit-def: $sgpr94_sgpr95
	s_waitcnt lgkmcnt(0)
	v_lshlrev_b32_e32 v57, 16, v0
	s_waitcnt vmcnt(0)
	v_add_co_u32_e32 v51, vcc, v18, v8
	v_addc_co_u32_e32 v52, vcc, 0, v19, vcc
	v_add_co_u32_e32 v53, vcc, v24, v8
	v_addc_co_u32_e32 v56, vcc, 0, v25, vcc
	s_branch .LBB4_1494
.LBB4_1493:                             ;   in Loop: Header=BB4_1494 Depth=3
	s_or_b64 exec, exec, s[40:41]
	v_cmp_gt_i32_e32 vcc, 16, v50
	s_or_b64 s[92:93], vcc, s[92:93]
	s_andn2_b64 s[8:9], s[94:95], exec
	s_and_b64 s[40:41], s[30:31], exec
	s_or_b64 s[94:95], s[8:9], s[40:41]
	s_andn2_b64 exec, exec, s[92:93]
	s_cbranch_execz .LBB4_1638
.LBB4_1494:                             ;   Parent Loop BB4_47 Depth=1
                                        ;     Parent Loop BB4_1416 Depth=2
                                        ; =>    This Loop Header: Depth=3
                                        ;         Child Loop BB4_1495 Depth 4
                                        ;         Child Loop BB4_1562 Depth 4
	;; [unrolled: 1-line block ×4, first 2 shown]
	s_lshr_b32 s8, s33, 6
	s_add_i32 s8, s8, 64
	s_mov_b64 s[42:43], -1
	s_mov_b64 s[34:35], 0
.LBB4_1495:                             ;   Parent Loop BB4_47 Depth=1
                                        ;     Parent Loop BB4_1416 Depth=2
                                        ;       Parent Loop BB4_1494 Depth=3
                                        ; =>      This Inner Loop Header: Depth=4
	s_cmp_eq_u32 s34, 1
	s_cselect_b64 s[40:41], -1, 0
	v_cndmask_b32_e64 v16, v52, v56, s[40:41]
	v_cndmask_b32_e64 v15, v51, v53, s[40:41]
	global_load_dwordx4 v[8:11], v[15:16], off glc slc
	v_mov_b32_e32 v0, s8
	s_cmp_eq_u32 s34, 0
	s_mov_b64 s[34:35], 1
	s_mov_b32 s8, s80
	s_waitcnt vmcnt(0)
	buffer_store_dword v9, v0, s[0:3], 0 offen offset:4
	buffer_store_dword v8, v0, s[0:3], 0 offen
	buffer_store_dword v11, v0, s[0:3], 0 offen offset:12
	buffer_store_dword v10, v0, s[0:3], 0 offen offset:8
	v_add_co_u32_e32 v0, vcc, s52, v15
	v_addc_co_u32_e32 v8, vcc, 0, v16, vcc
	s_cselect_b64 vcc, -1, 0
	v_cndmask_b32_e32 v52, v52, v8, vcc
	v_cndmask_b32_e32 v51, v51, v0, vcc
	v_cndmask_b32_e64 v56, v56, v8, s[40:41]
	v_cndmask_b32_e64 v53, v53, v0, s[40:41]
	s_and_b64 vcc, exec, s[42:43]
	s_mov_b64 s[42:43], 0
	s_cbranch_vccnz .LBB4_1495
; %bb.1496:                             ;   in Loop: Header=BB4_1494 Depth=3
	s_and_saveexec_b64 s[34:35], s[30:31]
	s_cbranch_execz .LBB4_1564
; %bb.1497:                             ;   in Loop: Header=BB4_1494 Depth=3
	buffer_load_dword v11, off, s[0:3], s33 offset:96
	buffer_load_dword v9, off, s[0:3], s33 offset:100
	;; [unrolled: 1-line block ×4, first 2 shown]
	s_waitcnt vmcnt(3)
	v_lshlrev_b32_e32 v10, 16, v11
	v_mul_f32_e32 v13, v57, v10
	v_and_b32_e32 v10, 0x7f800000, v13
	v_cmp_ne_u32_e32 vcc, s46, v10
                                        ; implicit-def: $vgpr10
	s_and_saveexec_b64 s[8:9], vcc
	s_xor_b64 s[40:41], exec, s[8:9]
; %bb.1498:                             ;   in Loop: Header=BB4_1494 Depth=3
	v_bfe_u32 v10, v13, 16, 1
	v_add3_u32 v10, v13, v10, s47
                                        ; implicit-def: $vgpr13
; %bb.1499:                             ;   in Loop: Header=BB4_1494 Depth=3
	s_andn2_saveexec_b64 s[40:41], s[40:41]
; %bb.1500:                             ;   in Loop: Header=BB4_1494 Depth=3
	v_or_b32_e32 v10, 0x10000, v13
	v_cmp_eq_u32_sdwa vcc, v13, v2 src0_sel:WORD_0 src1_sel:DWORD
	v_cndmask_b32_e32 v10, v10, v13, vcc
; %bb.1501:                             ;   in Loop: Header=BB4_1494 Depth=3
	s_or_b64 exec, exec, s[40:41]
	v_and_b32_e32 v11, 0xffff0000, v11
	v_mul_f32_e32 v11, v57, v11
	v_and_b32_e32 v13, 0x7f800000, v11
	v_cmp_ne_u32_e32 vcc, s46, v13
                                        ; implicit-def: $vgpr20
	s_and_saveexec_b64 s[8:9], vcc
	s_xor_b64 s[40:41], exec, s[8:9]
; %bb.1502:                             ;   in Loop: Header=BB4_1494 Depth=3
	v_bfe_u32 v13, v11, 16, 1
	v_add3_u32 v20, v11, v13, s47
                                        ; implicit-def: $vgpr11
; %bb.1503:                             ;   in Loop: Header=BB4_1494 Depth=3
	s_andn2_saveexec_b64 s[40:41], s[40:41]
; %bb.1504:                             ;   in Loop: Header=BB4_1494 Depth=3
	v_or_b32_e32 v13, 0x10000, v11
	v_cmp_eq_u32_sdwa vcc, v11, v2 src0_sel:WORD_0 src1_sel:DWORD
	v_cndmask_b32_e32 v20, v13, v11, vcc
; %bb.1505:                             ;   in Loop: Header=BB4_1494 Depth=3
	s_or_b64 exec, exec, s[40:41]
	s_waitcnt vmcnt(2)
	v_lshlrev_b32_e32 v11, 16, v9
	v_mul_f32_e32 v11, v57, v11
	v_and_b32_e32 v13, 0x7f800000, v11
	v_cmp_ne_u32_e32 vcc, s46, v13
                                        ; implicit-def: $vgpr15
	s_and_saveexec_b64 s[8:9], vcc
	s_xor_b64 s[40:41], exec, s[8:9]
; %bb.1506:                             ;   in Loop: Header=BB4_1494 Depth=3
	v_bfe_u32 v13, v11, 16, 1
	v_add3_u32 v15, v11, v13, s47
                                        ; implicit-def: $vgpr11
; %bb.1507:                             ;   in Loop: Header=BB4_1494 Depth=3
	s_andn2_saveexec_b64 s[40:41], s[40:41]
; %bb.1508:                             ;   in Loop: Header=BB4_1494 Depth=3
	v_or_b32_e32 v13, 0x10000, v11
	v_cmp_eq_u32_sdwa vcc, v11, v2 src0_sel:WORD_0 src1_sel:DWORD
	v_cndmask_b32_e32 v15, v13, v11, vcc
; %bb.1509:                             ;   in Loop: Header=BB4_1494 Depth=3
	s_or_b64 exec, exec, s[40:41]
	v_and_b32_e32 v9, 0xffff0000, v9
	v_mul_f32_e32 v9, v57, v9
	v_and_b32_e32 v11, 0x7f800000, v9
	v_cmp_ne_u32_e32 vcc, s46, v11
                                        ; implicit-def: $vgpr11
	s_and_saveexec_b64 s[8:9], vcc
	s_xor_b64 s[40:41], exec, s[8:9]
; %bb.1510:                             ;   in Loop: Header=BB4_1494 Depth=3
	v_bfe_u32 v11, v9, 16, 1
	v_add3_u32 v11, v9, v11, s47
                                        ; implicit-def: $vgpr9
; %bb.1511:                             ;   in Loop: Header=BB4_1494 Depth=3
	s_andn2_saveexec_b64 s[40:41], s[40:41]
; %bb.1512:                             ;   in Loop: Header=BB4_1494 Depth=3
	v_or_b32_e32 v11, 0x10000, v9
	v_cmp_eq_u32_sdwa vcc, v9, v2 src0_sel:WORD_0 src1_sel:DWORD
	v_cndmask_b32_e32 v11, v11, v9, vcc
; %bb.1513:                             ;   in Loop: Header=BB4_1494 Depth=3
	s_or_b64 exec, exec, s[40:41]
	s_waitcnt vmcnt(1)
	v_lshlrev_b32_e32 v9, 16, v8
	v_mul_f32_e32 v9, v57, v9
	v_and_b32_e32 v13, 0x7f800000, v9
	v_cmp_ne_u32_e32 vcc, s46, v13
                                        ; implicit-def: $vgpr13
	s_and_saveexec_b64 s[8:9], vcc
	s_xor_b64 s[40:41], exec, s[8:9]
; %bb.1514:                             ;   in Loop: Header=BB4_1494 Depth=3
	v_bfe_u32 v13, v9, 16, 1
	v_add3_u32 v13, v9, v13, s47
                                        ; implicit-def: $vgpr9
; %bb.1515:                             ;   in Loop: Header=BB4_1494 Depth=3
	s_andn2_saveexec_b64 s[40:41], s[40:41]
; %bb.1516:                             ;   in Loop: Header=BB4_1494 Depth=3
	v_or_b32_e32 v13, 0x10000, v9
	v_cmp_eq_u32_sdwa vcc, v9, v2 src0_sel:WORD_0 src1_sel:DWORD
	v_cndmask_b32_e32 v13, v13, v9, vcc
; %bb.1517:                             ;   in Loop: Header=BB4_1494 Depth=3
	s_or_b64 exec, exec, s[40:41]
	v_and_b32_e32 v8, 0xffff0000, v8
	v_mul_f32_e32 v9, v57, v8
	v_and_b32_e32 v8, 0x7f800000, v9
	v_cmp_ne_u32_e32 vcc, s46, v8
                                        ; implicit-def: $vgpr8
	s_and_saveexec_b64 s[8:9], vcc
	s_xor_b64 s[40:41], exec, s[8:9]
; %bb.1518:                             ;   in Loop: Header=BB4_1494 Depth=3
	v_bfe_u32 v8, v9, 16, 1
	v_add3_u32 v8, v9, v8, s47
                                        ; implicit-def: $vgpr9
; %bb.1519:                             ;   in Loop: Header=BB4_1494 Depth=3
	s_andn2_saveexec_b64 s[40:41], s[40:41]
; %bb.1520:                             ;   in Loop: Header=BB4_1494 Depth=3
	v_or_b32_e32 v8, 0x10000, v9
	v_cmp_eq_u32_sdwa vcc, v9, v2 src0_sel:WORD_0 src1_sel:DWORD
	v_cndmask_b32_e32 v8, v8, v9, vcc
; %bb.1521:                             ;   in Loop: Header=BB4_1494 Depth=3
	s_or_b64 exec, exec, s[40:41]
	s_waitcnt vmcnt(0)
	v_lshlrev_b32_e32 v9, 16, v0
	v_mul_f32_e32 v16, v57, v9
	v_and_b32_e32 v9, 0x7f800000, v16
	v_cmp_ne_u32_e32 vcc, s46, v9
                                        ; implicit-def: $vgpr9
	s_and_saveexec_b64 s[8:9], vcc
	s_xor_b64 s[40:41], exec, s[8:9]
; %bb.1522:                             ;   in Loop: Header=BB4_1494 Depth=3
	v_bfe_u32 v9, v16, 16, 1
	v_add3_u32 v9, v16, v9, s47
                                        ; implicit-def: $vgpr16
; %bb.1523:                             ;   in Loop: Header=BB4_1494 Depth=3
	s_andn2_saveexec_b64 s[40:41], s[40:41]
; %bb.1524:                             ;   in Loop: Header=BB4_1494 Depth=3
	v_or_b32_e32 v9, 0x10000, v16
	v_cmp_eq_u32_sdwa vcc, v16, v2 src0_sel:WORD_0 src1_sel:DWORD
	v_cndmask_b32_e32 v9, v9, v16, vcc
; %bb.1525:                             ;   in Loop: Header=BB4_1494 Depth=3
	s_or_b64 exec, exec, s[40:41]
	v_and_b32_e32 v0, 0xffff0000, v0
	v_mul_f32_e32 v16, v57, v0
	v_and_b32_e32 v0, 0x7f800000, v16
	v_cmp_ne_u32_e32 vcc, s46, v0
                                        ; implicit-def: $vgpr0
	s_and_saveexec_b64 s[8:9], vcc
	s_xor_b64 s[40:41], exec, s[8:9]
; %bb.1526:                             ;   in Loop: Header=BB4_1494 Depth=3
	v_bfe_u32 v0, v16, 16, 1
	v_add3_u32 v0, v16, v0, s47
                                        ; implicit-def: $vgpr16
; %bb.1527:                             ;   in Loop: Header=BB4_1494 Depth=3
	s_andn2_saveexec_b64 s[40:41], s[40:41]
; %bb.1528:                             ;   in Loop: Header=BB4_1494 Depth=3
	v_or_b32_e32 v0, 0x10000, v16
	v_cmp_eq_u32_sdwa vcc, v16, v2 src0_sel:WORD_0 src1_sel:DWORD
	v_cndmask_b32_e32 v0, v0, v16, vcc
; %bb.1529:                             ;   in Loop: Header=BB4_1494 Depth=3
	s_or_b64 exec, exec, s[40:41]
	buffer_load_dword v17, off, s[0:3], s33 offset:112
	buffer_load_dword v16, off, s[0:3], s33 offset:116
	;; [unrolled: 1-line block ×4, first 2 shown]
	v_and_b32_e32 v10, 0xffff0000, v10
	s_waitcnt vmcnt(3)
	v_lshlrev_b32_e32 v34, 16, v17
	v_add_f32_e32 v34, v10, v34
	v_and_b32_e32 v10, 0x7f800000, v34
	v_cmp_ne_u32_e32 vcc, s46, v10
                                        ; implicit-def: $vgpr10
	s_and_saveexec_b64 s[8:9], vcc
	s_xor_b64 s[40:41], exec, s[8:9]
; %bb.1530:                             ;   in Loop: Header=BB4_1494 Depth=3
	v_bfe_u32 v10, v34, 16, 1
	v_add3_u32 v10, v34, v10, s47
                                        ; implicit-def: $vgpr34
; %bb.1531:                             ;   in Loop: Header=BB4_1494 Depth=3
	s_andn2_saveexec_b64 s[40:41], s[40:41]
; %bb.1532:                             ;   in Loop: Header=BB4_1494 Depth=3
	v_or_b32_e32 v10, 0x10000, v34
	v_cmp_eq_u32_sdwa vcc, v34, v2 src0_sel:WORD_0 src1_sel:DWORD
	v_cndmask_b32_e32 v10, v10, v34, vcc
; %bb.1533:                             ;   in Loop: Header=BB4_1494 Depth=3
	s_or_b64 exec, exec, s[40:41]
	v_and_b32_e32 v20, 0xffff0000, v20
	v_and_b32_e32 v17, 0xffff0000, v17
	v_add_f32_e32 v17, v20, v17
	v_and_b32_e32 v20, 0x7f800000, v17
	v_cmp_ne_u32_e32 vcc, s46, v20
                                        ; implicit-def: $vgpr20
	s_and_saveexec_b64 s[8:9], vcc
	s_xor_b64 s[40:41], exec, s[8:9]
; %bb.1534:                             ;   in Loop: Header=BB4_1494 Depth=3
	v_bfe_u32 v20, v17, 16, 1
	v_add3_u32 v20, v17, v20, s47
                                        ; implicit-def: $vgpr17
; %bb.1535:                             ;   in Loop: Header=BB4_1494 Depth=3
	s_andn2_saveexec_b64 s[40:41], s[40:41]
; %bb.1536:                             ;   in Loop: Header=BB4_1494 Depth=3
	v_or_b32_e32 v20, 0x10000, v17
	v_cmp_eq_u32_sdwa vcc, v17, v2 src0_sel:WORD_0 src1_sel:DWORD
	v_cndmask_b32_e32 v20, v20, v17, vcc
; %bb.1537:                             ;   in Loop: Header=BB4_1494 Depth=3
	s_or_b64 exec, exec, s[40:41]
	v_and_b32_e32 v15, 0xffff0000, v15
	s_waitcnt vmcnt(2)
	v_lshlrev_b32_e32 v17, 16, v16
	v_add_f32_e32 v17, v15, v17
	v_and_b32_e32 v15, 0x7f800000, v17
	v_cmp_ne_u32_e32 vcc, s46, v15
                                        ; implicit-def: $vgpr15
	s_and_saveexec_b64 s[8:9], vcc
	s_xor_b64 s[40:41], exec, s[8:9]
; %bb.1538:                             ;   in Loop: Header=BB4_1494 Depth=3
	v_bfe_u32 v15, v17, 16, 1
	v_add3_u32 v15, v17, v15, s47
                                        ; implicit-def: $vgpr17
; %bb.1539:                             ;   in Loop: Header=BB4_1494 Depth=3
	s_andn2_saveexec_b64 s[40:41], s[40:41]
; %bb.1540:                             ;   in Loop: Header=BB4_1494 Depth=3
	v_or_b32_e32 v15, 0x10000, v17
	v_cmp_eq_u32_sdwa vcc, v17, v2 src0_sel:WORD_0 src1_sel:DWORD
	v_cndmask_b32_e32 v15, v15, v17, vcc
; %bb.1541:                             ;   in Loop: Header=BB4_1494 Depth=3
	s_or_b64 exec, exec, s[40:41]
	v_and_b32_e32 v16, 0xffff0000, v16
	v_and_b32_e32 v11, 0xffff0000, v11
	v_add_f32_e32 v16, v11, v16
	v_and_b32_e32 v11, 0x7f800000, v16
	v_cmp_ne_u32_e32 vcc, s46, v11
                                        ; implicit-def: $vgpr11
	s_and_saveexec_b64 s[8:9], vcc
	s_xor_b64 s[40:41], exec, s[8:9]
; %bb.1542:                             ;   in Loop: Header=BB4_1494 Depth=3
	v_bfe_u32 v11, v16, 16, 1
	v_add3_u32 v11, v16, v11, s47
                                        ; implicit-def: $vgpr16
; %bb.1543:                             ;   in Loop: Header=BB4_1494 Depth=3
	s_andn2_saveexec_b64 s[40:41], s[40:41]
; %bb.1544:                             ;   in Loop: Header=BB4_1494 Depth=3
	v_or_b32_e32 v11, 0x10000, v16
	v_cmp_eq_u32_sdwa vcc, v16, v2 src0_sel:WORD_0 src1_sel:DWORD
	v_cndmask_b32_e32 v11, v11, v16, vcc
; %bb.1545:                             ;   in Loop: Header=BB4_1494 Depth=3
	s_or_b64 exec, exec, s[40:41]
	v_and_b32_e32 v13, 0xffff0000, v13
	s_waitcnt vmcnt(1)
	v_lshlrev_b32_e32 v16, 16, v28
	v_add_f32_e32 v16, v13, v16
	v_and_b32_e32 v13, 0x7f800000, v16
	v_cmp_ne_u32_e32 vcc, s46, v13
                                        ; implicit-def: $vgpr13
	s_and_saveexec_b64 s[8:9], vcc
	s_xor_b64 s[40:41], exec, s[8:9]
; %bb.1546:                             ;   in Loop: Header=BB4_1494 Depth=3
	v_bfe_u32 v13, v16, 16, 1
	v_add3_u32 v13, v16, v13, s47
                                        ; implicit-def: $vgpr16
; %bb.1547:                             ;   in Loop: Header=BB4_1494 Depth=3
	s_andn2_saveexec_b64 s[40:41], s[40:41]
; %bb.1548:                             ;   in Loop: Header=BB4_1494 Depth=3
	v_or_b32_e32 v13, 0x10000, v16
	v_cmp_eq_u32_sdwa vcc, v16, v2 src0_sel:WORD_0 src1_sel:DWORD
	v_cndmask_b32_e32 v13, v13, v16, vcc
; %bb.1549:                             ;   in Loop: Header=BB4_1494 Depth=3
	s_or_b64 exec, exec, s[40:41]
	v_and_b32_e32 v16, 0xffff0000, v28
	v_and_b32_e32 v8, 0xffff0000, v8
	v_add_f32_e32 v8, v8, v16
	v_and_b32_e32 v16, 0x7f800000, v8
	v_cmp_ne_u32_e32 vcc, s46, v16
                                        ; implicit-def: $vgpr16
	s_and_saveexec_b64 s[8:9], vcc
	s_xor_b64 s[40:41], exec, s[8:9]
; %bb.1550:                             ;   in Loop: Header=BB4_1494 Depth=3
	v_bfe_u32 v16, v8, 16, 1
	v_add3_u32 v16, v8, v16, s47
                                        ; implicit-def: $vgpr8
; %bb.1551:                             ;   in Loop: Header=BB4_1494 Depth=3
	s_andn2_saveexec_b64 s[40:41], s[40:41]
; %bb.1552:                             ;   in Loop: Header=BB4_1494 Depth=3
	v_or_b32_e32 v16, 0x10000, v8
	v_cmp_eq_u32_sdwa vcc, v8, v2 src0_sel:WORD_0 src1_sel:DWORD
	v_cndmask_b32_e32 v16, v16, v8, vcc
; %bb.1553:                             ;   in Loop: Header=BB4_1494 Depth=3
	s_or_b64 exec, exec, s[40:41]
	v_and_b32_e32 v8, 0xffff0000, v9
	s_waitcnt vmcnt(0)
	v_lshlrev_b32_e32 v9, 16, v21
	v_add_f32_e32 v8, v8, v9
	v_and_b32_e32 v9, 0x7f800000, v8
	v_cmp_ne_u32_e32 vcc, s46, v9
                                        ; implicit-def: $vgpr17
	s_and_saveexec_b64 s[8:9], vcc
	s_xor_b64 s[40:41], exec, s[8:9]
; %bb.1554:                             ;   in Loop: Header=BB4_1494 Depth=3
	v_bfe_u32 v9, v8, 16, 1
	v_add3_u32 v17, v8, v9, s47
                                        ; implicit-def: $vgpr8
; %bb.1555:                             ;   in Loop: Header=BB4_1494 Depth=3
	s_andn2_saveexec_b64 s[40:41], s[40:41]
; %bb.1556:                             ;   in Loop: Header=BB4_1494 Depth=3
	v_or_b32_e32 v9, 0x10000, v8
	v_cmp_eq_u32_sdwa vcc, v8, v2 src0_sel:WORD_0 src1_sel:DWORD
	v_cndmask_b32_e32 v17, v9, v8, vcc
; %bb.1557:                             ;   in Loop: Header=BB4_1494 Depth=3
	s_or_b64 exec, exec, s[40:41]
	v_and_b32_e32 v8, 0xffff0000, v21
	v_and_b32_e32 v0, 0xffff0000, v0
	v_add_f32_e32 v8, v0, v8
	v_and_b32_e32 v0, 0x7f800000, v8
	v_cmp_ne_u32_e32 vcc, s46, v0
                                        ; implicit-def: $vgpr0
	s_and_saveexec_b64 s[8:9], vcc
	s_xor_b64 s[40:41], exec, s[8:9]
; %bb.1558:                             ;   in Loop: Header=BB4_1494 Depth=3
	v_bfe_u32 v0, v8, 16, 1
	v_add3_u32 v0, v8, v0, s47
                                        ; implicit-def: $vgpr8
; %bb.1559:                             ;   in Loop: Header=BB4_1494 Depth=3
	s_andn2_saveexec_b64 s[40:41], s[40:41]
; %bb.1560:                             ;   in Loop: Header=BB4_1494 Depth=3
	v_or_b32_e32 v0, 0x10000, v8
	v_cmp_eq_u32_sdwa vcc, v8, v2 src0_sel:WORD_0 src1_sel:DWORD
	v_cndmask_b32_e32 v0, v0, v8, vcc
; %bb.1561:                             ;   in Loop: Header=BB4_1494 Depth=3
	s_or_b64 exec, exec, s[40:41]
	v_lshrrev_b32_e32 v8, 16, v15
	v_and_or_b32 v9, v11, s44, v8
	v_lshrrev_b32_e32 v8, 16, v10
	v_lshrrev_b32_e32 v10, 16, v13
	;; [unrolled: 1-line block ×3, first 2 shown]
	v_and_or_b32 v8, v20, s44, v8
	v_and_or_b32 v10, v16, s44, v10
	v_and_or_b32 v11, v0, s44, v11
	s_mov_b64 s[36:37], 0
	s_mov_b64 s[30:31], -1
	buffer_store_dword v9, off, s[0:3], s33 offset:100
	buffer_store_dword v8, off, s[0:3], s33 offset:96
	;; [unrolled: 1-line block ×4, first 2 shown]
.LBB4_1562:                             ;   Parent Loop BB4_47 Depth=1
                                        ;     Parent Loop BB4_1416 Depth=2
                                        ;       Parent Loop BB4_1494 Depth=3
                                        ; =>      This Inner Loop Header: Depth=4
	s_cmp_eq_u32 s36, 1
	s_cselect_b64 s[40:41], -1, 0
	v_cndmask_b32_e64 v15, v3, v30, s[40:41]
	v_cndmask_b32_e64 v16, v29, v31, s[40:41]
	v_add_co_u32_e32 v0, vcc, 0x400, v15
	s_cmp_eq_u32 s36, 0
	v_addc_co_u32_e32 v13, vcc, 0, v16, vcc
	s_cselect_b64 vcc, -1, 0
	s_and_b64 s[42:43], exec, s[30:31]
	s_mov_b64 s[36:37], 1
	v_cndmask_b32_e64 v30, v30, v0, s[40:41]
	s_mov_b64 s[30:31], 0
	v_cndmask_b32_e64 v31, v31, v13, s[40:41]
	v_cndmask_b32_e32 v29, v29, v13, vcc
	v_cndmask_b32_e32 v3, v3, v0, vcc
	s_mov_b64 vcc, s[42:43]
	global_store_dwordx4 v[15:16], v[8:11], off glc slc
	s_cbranch_vccnz .LBB4_1562
; %bb.1563:                             ;   in Loop: Header=BB4_1494 Depth=3
	buffer_load_dword v0, off, s[0:3], s33 offset:128 ; 4-byte Folded Reload
	s_waitcnt vmcnt(0)
	v_add_co_u32_e32 v3, vcc, v3, v0
	v_addc_co_u32_e32 v29, vcc, v29, v49, vcc
	v_add_co_u32_e32 v30, vcc, v30, v0
	v_addc_co_u32_e32 v31, vcc, v31, v49, vcc
.LBB4_1564:                             ;   in Loop: Header=BB4_1494 Depth=3
	s_or_b64 exec, exec, s[34:35]
	buffer_load_dword v0, off, s[0:3], s33 offset:128 ; 4-byte Folded Reload
	s_waitcnt vmcnt(0)
	v_add_co_u32_e32 v51, vcc, v51, v0
	v_addc_co_u32_e32 v52, vcc, v52, v49, vcc
	v_add_co_u32_e32 v53, vcc, v53, v0
	v_lshlrev_b32_e32 v0, 10, v59
	v_sub_u32_e32 v50, v50, v0
	v_addc_co_u32_e32 v56, vcc, v56, v49, vcc
	v_cmp_lt_i32_e64 s[30:31], 15, v50
	s_and_saveexec_b64 s[42:43], s[30:31]
	s_cbranch_execz .LBB4_1567
; %bb.1565:                             ;   in Loop: Header=BB4_1494 Depth=3
	s_lshr_b32 s8, s33, 6
	s_addk_i32 s8, 0x60
	s_mov_b64 s[36:37], 0
	s_mov_b64 s[34:35], -1
.LBB4_1566:                             ;   Parent Loop BB4_47 Depth=1
                                        ;     Parent Loop BB4_1416 Depth=2
                                        ;       Parent Loop BB4_1494 Depth=3
                                        ; =>      This Inner Loop Header: Depth=4
	s_cmp_eq_u32 s36, 1
	s_cselect_b64 s[40:41], -1, 0
	v_cndmask_b32_e64 v16, v52, v56, s[40:41]
	v_cndmask_b32_e64 v15, v51, v53, s[40:41]
	global_load_dwordx4 v[8:11], v[15:16], off glc slc
	v_mov_b32_e32 v0, s8
	s_cmp_eq_u32 s36, 0
	s_mov_b64 s[36:37], 1
	s_mov_b32 s8, s71
	s_waitcnt vmcnt(0)
	buffer_store_dword v9, v0, s[0:3], 0 offen offset:4
	buffer_store_dword v8, v0, s[0:3], 0 offen
	buffer_store_dword v11, v0, s[0:3], 0 offen offset:12
	buffer_store_dword v10, v0, s[0:3], 0 offen offset:8
	v_add_co_u32_e32 v0, vcc, s52, v15
	v_addc_co_u32_e32 v8, vcc, 0, v16, vcc
	s_cselect_b64 vcc, -1, 0
	v_cndmask_b32_e32 v52, v52, v8, vcc
	v_cndmask_b32_e32 v51, v51, v0, vcc
	v_cndmask_b32_e64 v56, v56, v8, s[40:41]
	v_cndmask_b32_e64 v53, v53, v0, s[40:41]
	s_and_b64 vcc, exec, s[34:35]
	s_mov_b64 s[34:35], 0
	s_cbranch_vccnz .LBB4_1566
.LBB4_1567:                             ;   in Loop: Header=BB4_1494 Depth=3
	s_or_b64 exec, exec, s[42:43]
	buffer_load_dword v11, off, s[0:3], s33 offset:64
	buffer_load_dword v9, off, s[0:3], s33 offset:68
	buffer_load_dword v8, off, s[0:3], s33 offset:72
	buffer_load_dword v0, off, s[0:3], s33 offset:76
	s_waitcnt vmcnt(3)
	v_lshlrev_b32_e32 v10, 16, v11
	v_mul_f32_e32 v13, v57, v10
	v_and_b32_e32 v10, 0x7f800000, v13
	v_cmp_ne_u32_e32 vcc, s46, v10
                                        ; implicit-def: $vgpr10
	s_and_saveexec_b64 s[8:9], vcc
	s_xor_b64 s[40:41], exec, s[8:9]
; %bb.1568:                             ;   in Loop: Header=BB4_1494 Depth=3
	v_bfe_u32 v10, v13, 16, 1
	v_add3_u32 v10, v13, v10, s47
                                        ; implicit-def: $vgpr13
; %bb.1569:                             ;   in Loop: Header=BB4_1494 Depth=3
	s_andn2_saveexec_b64 s[40:41], s[40:41]
; %bb.1570:                             ;   in Loop: Header=BB4_1494 Depth=3
	v_or_b32_e32 v10, 0x10000, v13
	v_cmp_eq_u32_sdwa vcc, v13, v2 src0_sel:WORD_0 src1_sel:DWORD
	v_cndmask_b32_e32 v10, v10, v13, vcc
; %bb.1571:                             ;   in Loop: Header=BB4_1494 Depth=3
	s_or_b64 exec, exec, s[40:41]
	v_and_b32_e32 v11, 0xffff0000, v11
	v_mul_f32_e32 v11, v57, v11
	v_and_b32_e32 v13, 0x7f800000, v11
	v_cmp_ne_u32_e32 vcc, s46, v13
                                        ; implicit-def: $vgpr20
	s_and_saveexec_b64 s[8:9], vcc
	s_xor_b64 s[40:41], exec, s[8:9]
; %bb.1572:                             ;   in Loop: Header=BB4_1494 Depth=3
	v_bfe_u32 v13, v11, 16, 1
	v_add3_u32 v20, v11, v13, s47
                                        ; implicit-def: $vgpr11
; %bb.1573:                             ;   in Loop: Header=BB4_1494 Depth=3
	s_andn2_saveexec_b64 s[40:41], s[40:41]
; %bb.1574:                             ;   in Loop: Header=BB4_1494 Depth=3
	v_or_b32_e32 v13, 0x10000, v11
	v_cmp_eq_u32_sdwa vcc, v11, v2 src0_sel:WORD_0 src1_sel:DWORD
	v_cndmask_b32_e32 v20, v13, v11, vcc
; %bb.1575:                             ;   in Loop: Header=BB4_1494 Depth=3
	s_or_b64 exec, exec, s[40:41]
	s_waitcnt vmcnt(2)
	v_lshlrev_b32_e32 v11, 16, v9
	v_mul_f32_e32 v11, v57, v11
	v_and_b32_e32 v13, 0x7f800000, v11
	v_cmp_ne_u32_e32 vcc, s46, v13
                                        ; implicit-def: $vgpr15
	s_and_saveexec_b64 s[8:9], vcc
	s_xor_b64 s[40:41], exec, s[8:9]
; %bb.1576:                             ;   in Loop: Header=BB4_1494 Depth=3
	v_bfe_u32 v13, v11, 16, 1
	v_add3_u32 v15, v11, v13, s47
                                        ; implicit-def: $vgpr11
; %bb.1577:                             ;   in Loop: Header=BB4_1494 Depth=3
	s_andn2_saveexec_b64 s[40:41], s[40:41]
; %bb.1578:                             ;   in Loop: Header=BB4_1494 Depth=3
	v_or_b32_e32 v13, 0x10000, v11
	v_cmp_eq_u32_sdwa vcc, v11, v2 src0_sel:WORD_0 src1_sel:DWORD
	v_cndmask_b32_e32 v15, v13, v11, vcc
; %bb.1579:                             ;   in Loop: Header=BB4_1494 Depth=3
	s_or_b64 exec, exec, s[40:41]
	v_and_b32_e32 v9, 0xffff0000, v9
	v_mul_f32_e32 v9, v57, v9
	v_and_b32_e32 v11, 0x7f800000, v9
	v_cmp_ne_u32_e32 vcc, s46, v11
                                        ; implicit-def: $vgpr11
	s_and_saveexec_b64 s[8:9], vcc
	s_xor_b64 s[40:41], exec, s[8:9]
; %bb.1580:                             ;   in Loop: Header=BB4_1494 Depth=3
	v_bfe_u32 v11, v9, 16, 1
	v_add3_u32 v11, v9, v11, s47
                                        ; implicit-def: $vgpr9
; %bb.1581:                             ;   in Loop: Header=BB4_1494 Depth=3
	s_andn2_saveexec_b64 s[40:41], s[40:41]
; %bb.1582:                             ;   in Loop: Header=BB4_1494 Depth=3
	v_or_b32_e32 v11, 0x10000, v9
	v_cmp_eq_u32_sdwa vcc, v9, v2 src0_sel:WORD_0 src1_sel:DWORD
	v_cndmask_b32_e32 v11, v11, v9, vcc
; %bb.1583:                             ;   in Loop: Header=BB4_1494 Depth=3
	s_or_b64 exec, exec, s[40:41]
	s_waitcnt vmcnt(1)
	v_lshlrev_b32_e32 v9, 16, v8
	v_mul_f32_e32 v9, v57, v9
	v_and_b32_e32 v13, 0x7f800000, v9
	v_cmp_ne_u32_e32 vcc, s46, v13
                                        ; implicit-def: $vgpr13
	s_and_saveexec_b64 s[8:9], vcc
	s_xor_b64 s[40:41], exec, s[8:9]
; %bb.1584:                             ;   in Loop: Header=BB4_1494 Depth=3
	v_bfe_u32 v13, v9, 16, 1
	v_add3_u32 v13, v9, v13, s47
                                        ; implicit-def: $vgpr9
; %bb.1585:                             ;   in Loop: Header=BB4_1494 Depth=3
	s_andn2_saveexec_b64 s[40:41], s[40:41]
; %bb.1586:                             ;   in Loop: Header=BB4_1494 Depth=3
	v_or_b32_e32 v13, 0x10000, v9
	v_cmp_eq_u32_sdwa vcc, v9, v2 src0_sel:WORD_0 src1_sel:DWORD
	v_cndmask_b32_e32 v13, v13, v9, vcc
; %bb.1587:                             ;   in Loop: Header=BB4_1494 Depth=3
	s_or_b64 exec, exec, s[40:41]
	v_and_b32_e32 v8, 0xffff0000, v8
	v_mul_f32_e32 v9, v57, v8
	v_and_b32_e32 v8, 0x7f800000, v9
	v_cmp_ne_u32_e32 vcc, s46, v8
                                        ; implicit-def: $vgpr8
	s_and_saveexec_b64 s[8:9], vcc
	s_xor_b64 s[40:41], exec, s[8:9]
; %bb.1588:                             ;   in Loop: Header=BB4_1494 Depth=3
	v_bfe_u32 v8, v9, 16, 1
	v_add3_u32 v8, v9, v8, s47
                                        ; implicit-def: $vgpr9
; %bb.1589:                             ;   in Loop: Header=BB4_1494 Depth=3
	s_andn2_saveexec_b64 s[40:41], s[40:41]
; %bb.1590:                             ;   in Loop: Header=BB4_1494 Depth=3
	v_or_b32_e32 v8, 0x10000, v9
	v_cmp_eq_u32_sdwa vcc, v9, v2 src0_sel:WORD_0 src1_sel:DWORD
	v_cndmask_b32_e32 v8, v8, v9, vcc
; %bb.1591:                             ;   in Loop: Header=BB4_1494 Depth=3
	s_or_b64 exec, exec, s[40:41]
	s_waitcnt vmcnt(0)
	v_lshlrev_b32_e32 v9, 16, v0
	v_mul_f32_e32 v16, v57, v9
	v_and_b32_e32 v9, 0x7f800000, v16
	v_cmp_ne_u32_e32 vcc, s46, v9
                                        ; implicit-def: $vgpr9
	s_and_saveexec_b64 s[8:9], vcc
	s_xor_b64 s[40:41], exec, s[8:9]
; %bb.1592:                             ;   in Loop: Header=BB4_1494 Depth=3
	v_bfe_u32 v9, v16, 16, 1
	v_add3_u32 v9, v16, v9, s47
                                        ; implicit-def: $vgpr16
; %bb.1593:                             ;   in Loop: Header=BB4_1494 Depth=3
	s_andn2_saveexec_b64 s[40:41], s[40:41]
; %bb.1594:                             ;   in Loop: Header=BB4_1494 Depth=3
	v_or_b32_e32 v9, 0x10000, v16
	v_cmp_eq_u32_sdwa vcc, v16, v2 src0_sel:WORD_0 src1_sel:DWORD
	v_cndmask_b32_e32 v9, v9, v16, vcc
; %bb.1595:                             ;   in Loop: Header=BB4_1494 Depth=3
	s_or_b64 exec, exec, s[40:41]
	v_and_b32_e32 v0, 0xffff0000, v0
	v_mul_f32_e32 v16, v57, v0
	v_and_b32_e32 v0, 0x7f800000, v16
	v_cmp_ne_u32_e32 vcc, s46, v0
                                        ; implicit-def: $vgpr0
	s_and_saveexec_b64 s[8:9], vcc
	s_xor_b64 s[40:41], exec, s[8:9]
; %bb.1596:                             ;   in Loop: Header=BB4_1494 Depth=3
	v_bfe_u32 v0, v16, 16, 1
	v_add3_u32 v0, v16, v0, s47
                                        ; implicit-def: $vgpr16
; %bb.1597:                             ;   in Loop: Header=BB4_1494 Depth=3
	s_andn2_saveexec_b64 s[40:41], s[40:41]
; %bb.1598:                             ;   in Loop: Header=BB4_1494 Depth=3
	v_or_b32_e32 v0, 0x10000, v16
	v_cmp_eq_u32_sdwa vcc, v16, v2 src0_sel:WORD_0 src1_sel:DWORD
	v_cndmask_b32_e32 v0, v0, v16, vcc
; %bb.1599:                             ;   in Loop: Header=BB4_1494 Depth=3
	s_or_b64 exec, exec, s[40:41]
	buffer_load_dword v17, off, s[0:3], s33 offset:80
	buffer_load_dword v16, off, s[0:3], s33 offset:84
	;; [unrolled: 1-line block ×4, first 2 shown]
	v_and_b32_e32 v10, 0xffff0000, v10
	s_waitcnt vmcnt(3)
	v_lshlrev_b32_e32 v34, 16, v17
	v_add_f32_e32 v34, v10, v34
	v_and_b32_e32 v10, 0x7f800000, v34
	v_cmp_ne_u32_e32 vcc, s46, v10
                                        ; implicit-def: $vgpr10
	s_and_saveexec_b64 s[8:9], vcc
	s_xor_b64 s[40:41], exec, s[8:9]
; %bb.1600:                             ;   in Loop: Header=BB4_1494 Depth=3
	v_bfe_u32 v10, v34, 16, 1
	v_add3_u32 v10, v34, v10, s47
                                        ; implicit-def: $vgpr34
; %bb.1601:                             ;   in Loop: Header=BB4_1494 Depth=3
	s_andn2_saveexec_b64 s[40:41], s[40:41]
; %bb.1602:                             ;   in Loop: Header=BB4_1494 Depth=3
	v_or_b32_e32 v10, 0x10000, v34
	v_cmp_eq_u32_sdwa vcc, v34, v2 src0_sel:WORD_0 src1_sel:DWORD
	v_cndmask_b32_e32 v10, v10, v34, vcc
; %bb.1603:                             ;   in Loop: Header=BB4_1494 Depth=3
	s_or_b64 exec, exec, s[40:41]
	v_and_b32_e32 v20, 0xffff0000, v20
	v_and_b32_e32 v17, 0xffff0000, v17
	v_add_f32_e32 v17, v20, v17
	v_and_b32_e32 v20, 0x7f800000, v17
	v_cmp_ne_u32_e32 vcc, s46, v20
                                        ; implicit-def: $vgpr20
	s_and_saveexec_b64 s[8:9], vcc
	s_xor_b64 s[40:41], exec, s[8:9]
; %bb.1604:                             ;   in Loop: Header=BB4_1494 Depth=3
	v_bfe_u32 v20, v17, 16, 1
	v_add3_u32 v20, v17, v20, s47
                                        ; implicit-def: $vgpr17
; %bb.1605:                             ;   in Loop: Header=BB4_1494 Depth=3
	s_andn2_saveexec_b64 s[40:41], s[40:41]
; %bb.1606:                             ;   in Loop: Header=BB4_1494 Depth=3
	v_or_b32_e32 v20, 0x10000, v17
	v_cmp_eq_u32_sdwa vcc, v17, v2 src0_sel:WORD_0 src1_sel:DWORD
	v_cndmask_b32_e32 v20, v20, v17, vcc
; %bb.1607:                             ;   in Loop: Header=BB4_1494 Depth=3
	s_or_b64 exec, exec, s[40:41]
	v_and_b32_e32 v15, 0xffff0000, v15
	s_waitcnt vmcnt(2)
	v_lshlrev_b32_e32 v17, 16, v16
	v_add_f32_e32 v17, v15, v17
	v_and_b32_e32 v15, 0x7f800000, v17
	v_cmp_ne_u32_e32 vcc, s46, v15
                                        ; implicit-def: $vgpr15
	s_and_saveexec_b64 s[8:9], vcc
	s_xor_b64 s[40:41], exec, s[8:9]
; %bb.1608:                             ;   in Loop: Header=BB4_1494 Depth=3
	v_bfe_u32 v15, v17, 16, 1
	v_add3_u32 v15, v17, v15, s47
                                        ; implicit-def: $vgpr17
; %bb.1609:                             ;   in Loop: Header=BB4_1494 Depth=3
	s_andn2_saveexec_b64 s[40:41], s[40:41]
; %bb.1610:                             ;   in Loop: Header=BB4_1494 Depth=3
	v_or_b32_e32 v15, 0x10000, v17
	v_cmp_eq_u32_sdwa vcc, v17, v2 src0_sel:WORD_0 src1_sel:DWORD
	v_cndmask_b32_e32 v15, v15, v17, vcc
; %bb.1611:                             ;   in Loop: Header=BB4_1494 Depth=3
	s_or_b64 exec, exec, s[40:41]
	v_and_b32_e32 v16, 0xffff0000, v16
	v_and_b32_e32 v11, 0xffff0000, v11
	v_add_f32_e32 v16, v11, v16
	v_and_b32_e32 v11, 0x7f800000, v16
	v_cmp_ne_u32_e32 vcc, s46, v11
                                        ; implicit-def: $vgpr11
	s_and_saveexec_b64 s[8:9], vcc
	s_xor_b64 s[40:41], exec, s[8:9]
; %bb.1612:                             ;   in Loop: Header=BB4_1494 Depth=3
	v_bfe_u32 v11, v16, 16, 1
	v_add3_u32 v11, v16, v11, s47
                                        ; implicit-def: $vgpr16
; %bb.1613:                             ;   in Loop: Header=BB4_1494 Depth=3
	s_andn2_saveexec_b64 s[40:41], s[40:41]
; %bb.1614:                             ;   in Loop: Header=BB4_1494 Depth=3
	v_or_b32_e32 v11, 0x10000, v16
	v_cmp_eq_u32_sdwa vcc, v16, v2 src0_sel:WORD_0 src1_sel:DWORD
	v_cndmask_b32_e32 v11, v11, v16, vcc
; %bb.1615:                             ;   in Loop: Header=BB4_1494 Depth=3
	s_or_b64 exec, exec, s[40:41]
	v_and_b32_e32 v13, 0xffff0000, v13
	s_waitcnt vmcnt(1)
	v_lshlrev_b32_e32 v16, 16, v28
	v_add_f32_e32 v16, v13, v16
	v_and_b32_e32 v13, 0x7f800000, v16
	v_cmp_ne_u32_e32 vcc, s46, v13
                                        ; implicit-def: $vgpr13
	s_and_saveexec_b64 s[8:9], vcc
	s_xor_b64 s[40:41], exec, s[8:9]
; %bb.1616:                             ;   in Loop: Header=BB4_1494 Depth=3
	v_bfe_u32 v13, v16, 16, 1
	v_add3_u32 v13, v16, v13, s47
                                        ; implicit-def: $vgpr16
; %bb.1617:                             ;   in Loop: Header=BB4_1494 Depth=3
	s_andn2_saveexec_b64 s[40:41], s[40:41]
; %bb.1618:                             ;   in Loop: Header=BB4_1494 Depth=3
	v_or_b32_e32 v13, 0x10000, v16
	v_cmp_eq_u32_sdwa vcc, v16, v2 src0_sel:WORD_0 src1_sel:DWORD
	v_cndmask_b32_e32 v13, v13, v16, vcc
; %bb.1619:                             ;   in Loop: Header=BB4_1494 Depth=3
	s_or_b64 exec, exec, s[40:41]
	v_and_b32_e32 v16, 0xffff0000, v28
	v_and_b32_e32 v8, 0xffff0000, v8
	v_add_f32_e32 v8, v8, v16
	v_and_b32_e32 v16, 0x7f800000, v8
	v_cmp_ne_u32_e32 vcc, s46, v16
                                        ; implicit-def: $vgpr16
	s_and_saveexec_b64 s[8:9], vcc
	s_xor_b64 s[40:41], exec, s[8:9]
; %bb.1620:                             ;   in Loop: Header=BB4_1494 Depth=3
	v_bfe_u32 v16, v8, 16, 1
	v_add3_u32 v16, v8, v16, s47
                                        ; implicit-def: $vgpr8
; %bb.1621:                             ;   in Loop: Header=BB4_1494 Depth=3
	s_andn2_saveexec_b64 s[40:41], s[40:41]
; %bb.1622:                             ;   in Loop: Header=BB4_1494 Depth=3
	v_or_b32_e32 v16, 0x10000, v8
	v_cmp_eq_u32_sdwa vcc, v8, v2 src0_sel:WORD_0 src1_sel:DWORD
	v_cndmask_b32_e32 v16, v16, v8, vcc
; %bb.1623:                             ;   in Loop: Header=BB4_1494 Depth=3
	s_or_b64 exec, exec, s[40:41]
	v_and_b32_e32 v8, 0xffff0000, v9
	s_waitcnt vmcnt(0)
	v_lshlrev_b32_e32 v9, 16, v21
	v_add_f32_e32 v8, v8, v9
	v_and_b32_e32 v9, 0x7f800000, v8
	v_cmp_ne_u32_e32 vcc, s46, v9
                                        ; implicit-def: $vgpr17
	s_and_saveexec_b64 s[8:9], vcc
	s_xor_b64 s[40:41], exec, s[8:9]
; %bb.1624:                             ;   in Loop: Header=BB4_1494 Depth=3
	v_bfe_u32 v9, v8, 16, 1
	v_add3_u32 v17, v8, v9, s47
                                        ; implicit-def: $vgpr8
; %bb.1625:                             ;   in Loop: Header=BB4_1494 Depth=3
	s_andn2_saveexec_b64 s[40:41], s[40:41]
; %bb.1626:                             ;   in Loop: Header=BB4_1494 Depth=3
	v_or_b32_e32 v9, 0x10000, v8
	v_cmp_eq_u32_sdwa vcc, v8, v2 src0_sel:WORD_0 src1_sel:DWORD
	v_cndmask_b32_e32 v17, v9, v8, vcc
; %bb.1627:                             ;   in Loop: Header=BB4_1494 Depth=3
	s_or_b64 exec, exec, s[40:41]
	v_and_b32_e32 v8, 0xffff0000, v21
	v_and_b32_e32 v0, 0xffff0000, v0
	v_add_f32_e32 v8, v0, v8
	v_and_b32_e32 v0, 0x7f800000, v8
	v_cmp_ne_u32_e32 vcc, s46, v0
                                        ; implicit-def: $vgpr0
	s_and_saveexec_b64 s[8:9], vcc
	s_xor_b64 s[40:41], exec, s[8:9]
; %bb.1628:                             ;   in Loop: Header=BB4_1494 Depth=3
	v_bfe_u32 v0, v8, 16, 1
	v_add3_u32 v0, v8, v0, s47
                                        ; implicit-def: $vgpr8
; %bb.1629:                             ;   in Loop: Header=BB4_1494 Depth=3
	s_andn2_saveexec_b64 s[40:41], s[40:41]
; %bb.1630:                             ;   in Loop: Header=BB4_1494 Depth=3
	v_or_b32_e32 v0, 0x10000, v8
	v_cmp_eq_u32_sdwa vcc, v8, v2 src0_sel:WORD_0 src1_sel:DWORD
	v_cndmask_b32_e32 v0, v0, v8, vcc
; %bb.1631:                             ;   in Loop: Header=BB4_1494 Depth=3
	s_or_b64 exec, exec, s[40:41]
	v_lshrrev_b32_e32 v8, 16, v15
	v_and_or_b32 v9, v11, s44, v8
	v_lshrrev_b32_e32 v8, 16, v10
	v_lshrrev_b32_e32 v10, 16, v13
	;; [unrolled: 1-line block ×3, first 2 shown]
	v_and_or_b32 v8, v20, s44, v8
	v_and_or_b32 v10, v16, s44, v10
	;; [unrolled: 1-line block ×3, first 2 shown]
	s_mov_b64 s[36:37], 0
	s_mov_b64 s[34:35], -1
	buffer_store_dword v9, off, s[0:3], s33 offset:68
	buffer_store_dword v8, off, s[0:3], s33 offset:64
	;; [unrolled: 1-line block ×4, first 2 shown]
.LBB4_1632:                             ;   Parent Loop BB4_47 Depth=1
                                        ;     Parent Loop BB4_1416 Depth=2
                                        ;       Parent Loop BB4_1494 Depth=3
                                        ; =>      This Inner Loop Header: Depth=4
	s_cmp_eq_u32 s36, 1
	s_cselect_b64 s[40:41], -1, 0
	v_cndmask_b32_e64 v15, v3, v30, s[40:41]
	v_cndmask_b32_e64 v16, v29, v31, s[40:41]
	v_add_co_u32_e32 v0, vcc, 0x400, v15
	s_cmp_eq_u32 s36, 0
	v_addc_co_u32_e32 v13, vcc, 0, v16, vcc
	s_cselect_b64 vcc, -1, 0
	s_and_b64 s[42:43], exec, s[34:35]
	s_mov_b64 s[36:37], 1
	v_cndmask_b32_e64 v30, v30, v0, s[40:41]
	s_mov_b64 s[34:35], 0
	v_cndmask_b32_e64 v31, v31, v13, s[40:41]
	v_cndmask_b32_e32 v29, v29, v13, vcc
	v_cndmask_b32_e32 v3, v3, v0, vcc
	s_mov_b64 vcc, s[42:43]
	global_store_dwordx4 v[15:16], v[8:11], off glc slc
	s_cbranch_vccnz .LBB4_1632
; %bb.1633:                             ;   in Loop: Header=BB4_1494 Depth=3
	v_sub_u32_e32 v27, v27, v59
	s_and_saveexec_b64 s[40:41], s[30:31]
	s_cbranch_execz .LBB4_1493
; %bb.1634:                             ;   in Loop: Header=BB4_1494 Depth=3
	buffer_load_dword v0, off, s[0:3], s33 offset:128 ; 4-byte Folded Reload
	v_sub_u32_e32 v27, v27, v59
	s_waitcnt vmcnt(0)
	v_add_co_u32_e32 v3, vcc, v3, v0
	v_addc_co_u32_e32 v29, vcc, v29, v49, vcc
	v_add_co_u32_e32 v30, vcc, v30, v0
	v_addc_co_u32_e32 v31, vcc, v31, v49, vcc
	;; [unrolled: 2-line block ×3, first 2 shown]
	v_add_co_u32_e32 v53, vcc, v53, v0
	v_lshlrev_b32_e32 v0, 10, v59
	v_addc_co_u32_e32 v56, vcc, v56, v49, vcc
	v_sub_u32_e32 v50, v50, v0
	s_branch .LBB4_1493
.LBB4_1635:                             ;   in Loop: Header=BB4_1416 Depth=2
	s_mov_b64 s[28:29], 0
	s_and_saveexec_b64 s[40:41], s[10:11]
	s_cbranch_execnz .LBB4_2649
	s_branch .LBB4_2667
.LBB4_1636:                             ;   in Loop: Header=BB4_1416 Depth=2
	s_mov_b64 s[88:89], 0
	s_andn2_b64 vcc, exec, s[40:41]
	v_mov_b32_e32 v31, 0
	s_cbranch_vccz .LBB4_1491
.LBB4_1637:                             ;   in Loop: Header=BB4_1416 Depth=2
	buffer_load_dword v0, off, s[0:3], s33 offset:216 ; 4-byte Folded Reload
	buffer_load_dword v51, off, s[0:3], s33 offset:200 ; 4-byte Folded Reload
	v_mov_b32_e32 v50, v60
	s_and_saveexec_b64 s[42:43], s[88:89]
	s_cbranch_execnz .LBB4_1923
	s_branch .LBB4_2075
.LBB4_1638:                             ;   in Loop: Header=BB4_1416 Depth=2
	s_or_b64 exec, exec, s[92:93]
	s_and_b64 s[40:41], s[94:95], exec
.LBB4_1639:                             ;   in Loop: Header=BB4_1416 Depth=2
	s_or_b64 exec, exec, s[90:91]
	s_and_saveexec_b64 s[90:91], s[40:41]
	s_cbranch_execz .LBB4_1706
; %bb.1640:                             ;   in Loop: Header=BB4_1416 Depth=2
	s_trap 2
	buffer_load_dword v11, off, s[0:3], s33 offset:96
	buffer_load_dword v9, off, s[0:3], s33 offset:100
	;; [unrolled: 1-line block ×4, first 2 shown]
	s_waitcnt vmcnt(0)
	ds_read_b32 v10, v0
	s_waitcnt lgkmcnt(0)
	v_lshlrev_b32_e32 v21, 16, v10
	v_lshlrev_b32_e32 v10, 16, v11
	v_mul_f32_e32 v13, v21, v10
	v_and_b32_e32 v10, 0x7f800000, v13
	v_cmp_ne_u32_e32 vcc, s46, v10
                                        ; implicit-def: $vgpr10
	s_and_saveexec_b64 s[8:9], vcc
	s_xor_b64 s[40:41], exec, s[8:9]
; %bb.1641:                             ;   in Loop: Header=BB4_1416 Depth=2
	v_bfe_u32 v10, v13, 16, 1
	v_add3_u32 v10, v13, v10, s47
                                        ; implicit-def: $vgpr13
; %bb.1642:                             ;   in Loop: Header=BB4_1416 Depth=2
	s_andn2_saveexec_b64 s[40:41], s[40:41]
; %bb.1643:                             ;   in Loop: Header=BB4_1416 Depth=2
	v_or_b32_e32 v10, 0x10000, v13
	v_cmp_eq_u32_sdwa vcc, v13, v2 src0_sel:WORD_0 src1_sel:DWORD
	v_cndmask_b32_e32 v10, v10, v13, vcc
; %bb.1644:                             ;   in Loop: Header=BB4_1416 Depth=2
	s_or_b64 exec, exec, s[40:41]
	v_and_b32_e32 v11, 0xffff0000, v11
	v_mul_f32_e32 v11, v21, v11
	v_and_b32_e32 v13, 0x7f800000, v11
	v_cmp_ne_u32_e32 vcc, s46, v13
                                        ; implicit-def: $vgpr20
	s_and_saveexec_b64 s[8:9], vcc
	s_xor_b64 s[40:41], exec, s[8:9]
; %bb.1645:                             ;   in Loop: Header=BB4_1416 Depth=2
	v_bfe_u32 v13, v11, 16, 1
	v_add3_u32 v20, v11, v13, s47
                                        ; implicit-def: $vgpr11
; %bb.1646:                             ;   in Loop: Header=BB4_1416 Depth=2
	s_andn2_saveexec_b64 s[40:41], s[40:41]
; %bb.1647:                             ;   in Loop: Header=BB4_1416 Depth=2
	v_or_b32_e32 v13, 0x10000, v11
	v_cmp_eq_u32_sdwa vcc, v11, v2 src0_sel:WORD_0 src1_sel:DWORD
	v_cndmask_b32_e32 v20, v13, v11, vcc
; %bb.1648:                             ;   in Loop: Header=BB4_1416 Depth=2
	s_or_b64 exec, exec, s[40:41]
	v_lshlrev_b32_e32 v11, 16, v9
	v_mul_f32_e32 v11, v21, v11
	v_and_b32_e32 v13, 0x7f800000, v11
	v_cmp_ne_u32_e32 vcc, s46, v13
                                        ; implicit-def: $vgpr15
	s_and_saveexec_b64 s[8:9], vcc
	s_xor_b64 s[40:41], exec, s[8:9]
; %bb.1649:                             ;   in Loop: Header=BB4_1416 Depth=2
	v_bfe_u32 v13, v11, 16, 1
	v_add3_u32 v15, v11, v13, s47
                                        ; implicit-def: $vgpr11
; %bb.1650:                             ;   in Loop: Header=BB4_1416 Depth=2
	s_andn2_saveexec_b64 s[40:41], s[40:41]
; %bb.1651:                             ;   in Loop: Header=BB4_1416 Depth=2
	v_or_b32_e32 v13, 0x10000, v11
	v_cmp_eq_u32_sdwa vcc, v11, v2 src0_sel:WORD_0 src1_sel:DWORD
	v_cndmask_b32_e32 v15, v13, v11, vcc
; %bb.1652:                             ;   in Loop: Header=BB4_1416 Depth=2
	s_or_b64 exec, exec, s[40:41]
	v_and_b32_e32 v9, 0xffff0000, v9
	v_mul_f32_e32 v9, v21, v9
	v_and_b32_e32 v11, 0x7f800000, v9
	v_cmp_ne_u32_e32 vcc, s46, v11
                                        ; implicit-def: $vgpr11
	s_and_saveexec_b64 s[8:9], vcc
	s_xor_b64 s[40:41], exec, s[8:9]
; %bb.1653:                             ;   in Loop: Header=BB4_1416 Depth=2
	v_bfe_u32 v11, v9, 16, 1
	v_add3_u32 v11, v9, v11, s47
                                        ; implicit-def: $vgpr9
; %bb.1654:                             ;   in Loop: Header=BB4_1416 Depth=2
	s_andn2_saveexec_b64 s[40:41], s[40:41]
; %bb.1655:                             ;   in Loop: Header=BB4_1416 Depth=2
	v_or_b32_e32 v11, 0x10000, v9
	v_cmp_eq_u32_sdwa vcc, v9, v2 src0_sel:WORD_0 src1_sel:DWORD
	v_cndmask_b32_e32 v11, v11, v9, vcc
; %bb.1656:                             ;   in Loop: Header=BB4_1416 Depth=2
	s_or_b64 exec, exec, s[40:41]
	v_lshlrev_b32_e32 v9, 16, v8
	v_mul_f32_e32 v9, v21, v9
	v_and_b32_e32 v13, 0x7f800000, v9
	v_cmp_ne_u32_e32 vcc, s46, v13
                                        ; implicit-def: $vgpr13
	s_and_saveexec_b64 s[8:9], vcc
	s_xor_b64 s[40:41], exec, s[8:9]
; %bb.1657:                             ;   in Loop: Header=BB4_1416 Depth=2
	v_bfe_u32 v13, v9, 16, 1
	v_add3_u32 v13, v9, v13, s47
                                        ; implicit-def: $vgpr9
; %bb.1658:                             ;   in Loop: Header=BB4_1416 Depth=2
	s_andn2_saveexec_b64 s[40:41], s[40:41]
; %bb.1659:                             ;   in Loop: Header=BB4_1416 Depth=2
	v_or_b32_e32 v13, 0x10000, v9
	v_cmp_eq_u32_sdwa vcc, v9, v2 src0_sel:WORD_0 src1_sel:DWORD
	v_cndmask_b32_e32 v13, v13, v9, vcc
; %bb.1660:                             ;   in Loop: Header=BB4_1416 Depth=2
	s_or_b64 exec, exec, s[40:41]
	v_and_b32_e32 v8, 0xffff0000, v8
	v_mul_f32_e32 v9, v21, v8
	v_and_b32_e32 v8, 0x7f800000, v9
	v_cmp_ne_u32_e32 vcc, s46, v8
                                        ; implicit-def: $vgpr8
	s_and_saveexec_b64 s[8:9], vcc
	s_xor_b64 s[40:41], exec, s[8:9]
; %bb.1661:                             ;   in Loop: Header=BB4_1416 Depth=2
	v_bfe_u32 v8, v9, 16, 1
	v_add3_u32 v8, v9, v8, s47
                                        ; implicit-def: $vgpr9
; %bb.1662:                             ;   in Loop: Header=BB4_1416 Depth=2
	s_andn2_saveexec_b64 s[40:41], s[40:41]
; %bb.1663:                             ;   in Loop: Header=BB4_1416 Depth=2
	v_or_b32_e32 v8, 0x10000, v9
	v_cmp_eq_u32_sdwa vcc, v9, v2 src0_sel:WORD_0 src1_sel:DWORD
	v_cndmask_b32_e32 v8, v8, v9, vcc
; %bb.1664:                             ;   in Loop: Header=BB4_1416 Depth=2
	s_or_b64 exec, exec, s[40:41]
	v_lshlrev_b32_e32 v9, 16, v0
	v_mul_f32_e32 v16, v21, v9
	v_and_b32_e32 v9, 0x7f800000, v16
	v_cmp_ne_u32_e32 vcc, s46, v9
                                        ; implicit-def: $vgpr9
	s_and_saveexec_b64 s[8:9], vcc
	s_xor_b64 s[40:41], exec, s[8:9]
; %bb.1665:                             ;   in Loop: Header=BB4_1416 Depth=2
	v_bfe_u32 v9, v16, 16, 1
	v_add3_u32 v9, v16, v9, s47
                                        ; implicit-def: $vgpr16
; %bb.1666:                             ;   in Loop: Header=BB4_1416 Depth=2
	s_andn2_saveexec_b64 s[40:41], s[40:41]
; %bb.1667:                             ;   in Loop: Header=BB4_1416 Depth=2
	v_or_b32_e32 v9, 0x10000, v16
	v_cmp_eq_u32_sdwa vcc, v16, v2 src0_sel:WORD_0 src1_sel:DWORD
	v_cndmask_b32_e32 v9, v9, v16, vcc
; %bb.1668:                             ;   in Loop: Header=BB4_1416 Depth=2
	s_or_b64 exec, exec, s[40:41]
	v_and_b32_e32 v0, 0xffff0000, v0
	v_mul_f32_e32 v16, v21, v0
	v_and_b32_e32 v0, 0x7f800000, v16
	v_cmp_ne_u32_e32 vcc, s46, v0
                                        ; implicit-def: $vgpr0
	s_and_saveexec_b64 s[8:9], vcc
	s_xor_b64 s[40:41], exec, s[8:9]
; %bb.1669:                             ;   in Loop: Header=BB4_1416 Depth=2
	v_bfe_u32 v0, v16, 16, 1
	v_add3_u32 v0, v16, v0, s47
                                        ; implicit-def: $vgpr16
; %bb.1670:                             ;   in Loop: Header=BB4_1416 Depth=2
	s_andn2_saveexec_b64 s[40:41], s[40:41]
; %bb.1671:                             ;   in Loop: Header=BB4_1416 Depth=2
	v_or_b32_e32 v0, 0x10000, v16
	v_cmp_eq_u32_sdwa vcc, v16, v2 src0_sel:WORD_0 src1_sel:DWORD
	v_cndmask_b32_e32 v0, v0, v16, vcc
; %bb.1672:                             ;   in Loop: Header=BB4_1416 Depth=2
	s_or_b64 exec, exec, s[40:41]
	buffer_load_dword v17, off, s[0:3], s33 offset:112
	buffer_load_dword v16, off, s[0:3], s33 offset:116
	;; [unrolled: 1-line block ×4, first 2 shown]
	v_and_b32_e32 v10, 0xffff0000, v10
	s_waitcnt vmcnt(3)
	v_lshlrev_b32_e32 v34, 16, v17
	v_add_f32_e32 v34, v10, v34
	v_and_b32_e32 v10, 0x7f800000, v34
	v_cmp_ne_u32_e32 vcc, s46, v10
                                        ; implicit-def: $vgpr10
	s_and_saveexec_b64 s[8:9], vcc
	s_xor_b64 s[40:41], exec, s[8:9]
; %bb.1673:                             ;   in Loop: Header=BB4_1416 Depth=2
	v_bfe_u32 v10, v34, 16, 1
	v_add3_u32 v10, v34, v10, s47
                                        ; implicit-def: $vgpr34
; %bb.1674:                             ;   in Loop: Header=BB4_1416 Depth=2
	s_andn2_saveexec_b64 s[40:41], s[40:41]
; %bb.1675:                             ;   in Loop: Header=BB4_1416 Depth=2
	v_or_b32_e32 v10, 0x10000, v34
	v_cmp_eq_u32_sdwa vcc, v34, v2 src0_sel:WORD_0 src1_sel:DWORD
	v_cndmask_b32_e32 v10, v10, v34, vcc
; %bb.1676:                             ;   in Loop: Header=BB4_1416 Depth=2
	s_or_b64 exec, exec, s[40:41]
	v_and_b32_e32 v20, 0xffff0000, v20
	v_and_b32_e32 v17, 0xffff0000, v17
	v_add_f32_e32 v17, v20, v17
	v_and_b32_e32 v20, 0x7f800000, v17
	v_cmp_ne_u32_e32 vcc, s46, v20
                                        ; implicit-def: $vgpr20
	s_and_saveexec_b64 s[8:9], vcc
	s_xor_b64 s[40:41], exec, s[8:9]
; %bb.1677:                             ;   in Loop: Header=BB4_1416 Depth=2
	v_bfe_u32 v20, v17, 16, 1
	v_add3_u32 v20, v17, v20, s47
                                        ; implicit-def: $vgpr17
; %bb.1678:                             ;   in Loop: Header=BB4_1416 Depth=2
	s_andn2_saveexec_b64 s[40:41], s[40:41]
; %bb.1679:                             ;   in Loop: Header=BB4_1416 Depth=2
	v_or_b32_e32 v20, 0x10000, v17
	v_cmp_eq_u32_sdwa vcc, v17, v2 src0_sel:WORD_0 src1_sel:DWORD
	v_cndmask_b32_e32 v20, v20, v17, vcc
; %bb.1680:                             ;   in Loop: Header=BB4_1416 Depth=2
	s_or_b64 exec, exec, s[40:41]
	v_and_b32_e32 v15, 0xffff0000, v15
	s_waitcnt vmcnt(2)
	v_lshlrev_b32_e32 v17, 16, v16
	v_add_f32_e32 v17, v15, v17
	v_and_b32_e32 v15, 0x7f800000, v17
	v_cmp_ne_u32_e32 vcc, s46, v15
                                        ; implicit-def: $vgpr15
	s_and_saveexec_b64 s[8:9], vcc
	s_xor_b64 s[40:41], exec, s[8:9]
; %bb.1681:                             ;   in Loop: Header=BB4_1416 Depth=2
	v_bfe_u32 v15, v17, 16, 1
	v_add3_u32 v15, v17, v15, s47
                                        ; implicit-def: $vgpr17
; %bb.1682:                             ;   in Loop: Header=BB4_1416 Depth=2
	s_andn2_saveexec_b64 s[40:41], s[40:41]
; %bb.1683:                             ;   in Loop: Header=BB4_1416 Depth=2
	v_or_b32_e32 v15, 0x10000, v17
	v_cmp_eq_u32_sdwa vcc, v17, v2 src0_sel:WORD_0 src1_sel:DWORD
	v_cndmask_b32_e32 v15, v15, v17, vcc
; %bb.1684:                             ;   in Loop: Header=BB4_1416 Depth=2
	s_or_b64 exec, exec, s[40:41]
	v_and_b32_e32 v16, 0xffff0000, v16
	v_and_b32_e32 v11, 0xffff0000, v11
	v_add_f32_e32 v16, v11, v16
	v_and_b32_e32 v11, 0x7f800000, v16
	v_cmp_ne_u32_e32 vcc, s46, v11
                                        ; implicit-def: $vgpr11
	s_and_saveexec_b64 s[8:9], vcc
	s_xor_b64 s[40:41], exec, s[8:9]
; %bb.1685:                             ;   in Loop: Header=BB4_1416 Depth=2
	v_bfe_u32 v11, v16, 16, 1
	v_add3_u32 v11, v16, v11, s47
                                        ; implicit-def: $vgpr16
; %bb.1686:                             ;   in Loop: Header=BB4_1416 Depth=2
	s_andn2_saveexec_b64 s[40:41], s[40:41]
; %bb.1687:                             ;   in Loop: Header=BB4_1416 Depth=2
	v_or_b32_e32 v11, 0x10000, v16
	v_cmp_eq_u32_sdwa vcc, v16, v2 src0_sel:WORD_0 src1_sel:DWORD
	v_cndmask_b32_e32 v11, v11, v16, vcc
; %bb.1688:                             ;   in Loop: Header=BB4_1416 Depth=2
	s_or_b64 exec, exec, s[40:41]
	v_and_b32_e32 v13, 0xffff0000, v13
	s_waitcnt vmcnt(1)
	v_lshlrev_b32_e32 v16, 16, v28
	v_add_f32_e32 v16, v13, v16
	v_and_b32_e32 v13, 0x7f800000, v16
	v_cmp_ne_u32_e32 vcc, s46, v13
                                        ; implicit-def: $vgpr13
	s_and_saveexec_b64 s[8:9], vcc
	s_xor_b64 s[40:41], exec, s[8:9]
; %bb.1689:                             ;   in Loop: Header=BB4_1416 Depth=2
	v_bfe_u32 v13, v16, 16, 1
	v_add3_u32 v13, v16, v13, s47
                                        ; implicit-def: $vgpr16
; %bb.1690:                             ;   in Loop: Header=BB4_1416 Depth=2
	s_andn2_saveexec_b64 s[40:41], s[40:41]
; %bb.1691:                             ;   in Loop: Header=BB4_1416 Depth=2
	v_or_b32_e32 v13, 0x10000, v16
	v_cmp_eq_u32_sdwa vcc, v16, v2 src0_sel:WORD_0 src1_sel:DWORD
	v_cndmask_b32_e32 v13, v13, v16, vcc
; %bb.1692:                             ;   in Loop: Header=BB4_1416 Depth=2
	s_or_b64 exec, exec, s[40:41]
	v_and_b32_e32 v16, 0xffff0000, v28
	v_and_b32_e32 v8, 0xffff0000, v8
	v_add_f32_e32 v8, v8, v16
	v_and_b32_e32 v16, 0x7f800000, v8
	v_cmp_ne_u32_e32 vcc, s46, v16
                                        ; implicit-def: $vgpr16
	s_and_saveexec_b64 s[8:9], vcc
	s_xor_b64 s[40:41], exec, s[8:9]
; %bb.1693:                             ;   in Loop: Header=BB4_1416 Depth=2
	v_bfe_u32 v16, v8, 16, 1
	v_add3_u32 v16, v8, v16, s47
                                        ; implicit-def: $vgpr8
; %bb.1694:                             ;   in Loop: Header=BB4_1416 Depth=2
	s_andn2_saveexec_b64 s[40:41], s[40:41]
; %bb.1695:                             ;   in Loop: Header=BB4_1416 Depth=2
	v_or_b32_e32 v16, 0x10000, v8
	v_cmp_eq_u32_sdwa vcc, v8, v2 src0_sel:WORD_0 src1_sel:DWORD
	v_cndmask_b32_e32 v16, v16, v8, vcc
; %bb.1696:                             ;   in Loop: Header=BB4_1416 Depth=2
	s_or_b64 exec, exec, s[40:41]
	v_and_b32_e32 v8, 0xffff0000, v9
	s_waitcnt vmcnt(0)
	v_lshlrev_b32_e32 v9, 16, v21
	v_add_f32_e32 v8, v8, v9
	v_and_b32_e32 v9, 0x7f800000, v8
	v_cmp_ne_u32_e32 vcc, s46, v9
                                        ; implicit-def: $vgpr17
	s_and_saveexec_b64 s[8:9], vcc
	s_xor_b64 s[40:41], exec, s[8:9]
; %bb.1697:                             ;   in Loop: Header=BB4_1416 Depth=2
	v_bfe_u32 v9, v8, 16, 1
	v_add3_u32 v17, v8, v9, s47
                                        ; implicit-def: $vgpr8
; %bb.1698:                             ;   in Loop: Header=BB4_1416 Depth=2
	s_andn2_saveexec_b64 s[40:41], s[40:41]
; %bb.1699:                             ;   in Loop: Header=BB4_1416 Depth=2
	v_or_b32_e32 v9, 0x10000, v8
	v_cmp_eq_u32_sdwa vcc, v8, v2 src0_sel:WORD_0 src1_sel:DWORD
	v_cndmask_b32_e32 v17, v9, v8, vcc
; %bb.1700:                             ;   in Loop: Header=BB4_1416 Depth=2
	s_or_b64 exec, exec, s[40:41]
	v_and_b32_e32 v8, 0xffff0000, v21
	v_and_b32_e32 v0, 0xffff0000, v0
	v_add_f32_e32 v8, v0, v8
	v_and_b32_e32 v0, 0x7f800000, v8
	v_cmp_ne_u32_e32 vcc, s46, v0
                                        ; implicit-def: $vgpr0
	s_and_saveexec_b64 s[8:9], vcc
	s_xor_b64 s[40:41], exec, s[8:9]
; %bb.1701:                             ;   in Loop: Header=BB4_1416 Depth=2
	v_bfe_u32 v0, v8, 16, 1
	v_add3_u32 v0, v8, v0, s47
                                        ; implicit-def: $vgpr8
; %bb.1702:                             ;   in Loop: Header=BB4_1416 Depth=2
	s_andn2_saveexec_b64 s[40:41], s[40:41]
; %bb.1703:                             ;   in Loop: Header=BB4_1416 Depth=2
	v_or_b32_e32 v0, 0x10000, v8
	v_cmp_eq_u32_sdwa vcc, v8, v2 src0_sel:WORD_0 src1_sel:DWORD
	v_cndmask_b32_e32 v0, v0, v8, vcc
; %bb.1704:                             ;   in Loop: Header=BB4_1416 Depth=2
	s_or_b64 exec, exec, s[40:41]
	v_lshrrev_b32_e32 v8, 16, v15
	v_and_or_b32 v9, v11, s44, v8
	v_lshrrev_b32_e32 v8, 16, v10
	v_lshrrev_b32_e32 v10, 16, v13
	;; [unrolled: 1-line block ×3, first 2 shown]
	v_and_or_b32 v8, v20, s44, v8
	v_and_or_b32 v10, v16, s44, v10
	;; [unrolled: 1-line block ×3, first 2 shown]
	s_mov_b64 s[94:95], 0
	s_mov_b64 s[92:93], -1
.LBB4_1705:                             ;   Parent Loop BB4_47 Depth=1
                                        ;     Parent Loop BB4_1416 Depth=2
                                        ; =>    This Inner Loop Header: Depth=3
	s_cmp_eq_u32 s94, 1
	s_cselect_b64 s[40:41], -1, 0
	v_cndmask_b32_e64 v15, v3, v30, s[40:41]
	v_cndmask_b32_e64 v16, v29, v31, s[40:41]
	v_add_co_u32_e32 v0, vcc, 0x400, v15
	s_cmp_eq_u32 s94, 0
	v_addc_co_u32_e32 v13, vcc, 0, v16, vcc
	s_cselect_b64 vcc, -1, 0
	s_and_b64 s[42:43], exec, s[92:93]
	s_mov_b64 s[94:95], 1
	v_cndmask_b32_e64 v30, v30, v0, s[40:41]
	s_mov_b64 s[92:93], 0
	v_cndmask_b32_e64 v31, v31, v13, s[40:41]
	v_cndmask_b32_e32 v29, v29, v13, vcc
	v_cndmask_b32_e32 v3, v3, v0, vcc
	s_mov_b64 vcc, s[42:43]
	global_store_dwordx4 v[15:16], v[8:11], off glc slc
	s_cbranch_vccnz .LBB4_1705
.LBB4_1706:                             ;   in Loop: Header=BB4_1416 Depth=2
	s_or_b64 exec, exec, s[90:91]
	v_and_b32_e32 v8, 14, v60
	v_cndmask_b32_e64 v3, v26, v8, s[28:29]
	v_cmp_ne_u32_e32 vcc, 0, v3
                                        ; implicit-def: $vgpr50
                                        ; implicit-def: $vgpr31
                                        ; implicit-def: $vgpr0
                                        ; implicit-def: $vgpr51
	s_and_saveexec_b64 s[90:91], vcc
	s_cbranch_execz .LBB4_1922
; %bb.1707:                             ;   in Loop: Header=BB4_1416 Depth=2
	v_sub_u32_e32 v0, v26, v8
	buffer_load_dword v8, off, s[0:3], s33 offset:200 ; 4-byte Folded Reload
	buffer_load_dword v15, off, s[0:3], s33 offset:244 ; 4-byte Folded Reload
	;; [unrolled: 1-line block ×3, first 2 shown]
	v_cndmask_b32_e64 v0, 0, v0, s[28:29]
	v_cmp_lt_i32_e32 vcc, 0, v27
	v_add_u32_e32 v4, v0, v4
	v_cndmask_b32_e32 v0, 0, v59, vcc
	v_sub_u32_e32 v0, v0, v27
	s_mov_b64 s[40:41], 0
	s_waitcnt vmcnt(2)
	v_lshl_or_b32 v0, v0, 6, v8
	v_ashrrev_i32_e32 v8, 31, v0
	v_lshrrev_b32_e32 v8, 26, v8
	v_add_u32_e32 v8, v0, v8
	v_ashrrev_i32_e32 v9, 6, v8
	v_and_b32_e32 v8, 0xffffffc0, v8
	v_sub_u32_e32 v26, v0, v8
	v_lshlrev_b32_e32 v0, 4, v26
	v_lshl_add_u32 v8, v9, 10, v0
	v_add_u32_e32 v0, v8, v4
	v_sub_u32_e32 v53, v3, v8
	v_ashrrev_i32_e32 v8, 31, v3
	v_lshrrev_b32_e32 v8, 22, v8
	v_add_u32_e32 v8, v3, v8
	v_and_b32_e32 v27, 0xfffffc00, v8
	v_sub_u32_e32 v29, v3, v27
	v_ashrrev_i32_e32 v10, 10, v8
	v_cmp_lt_i32_e64 s[28:29], 15, v29
	v_addc_co_u32_e64 v10, vcc, 0, v10, s[28:29]
	v_ashrrev_i32_e32 v8, 31, v0
	s_waitcnt vmcnt(1)
	v_add_co_u32_e32 v31, vcc, v0, v15
	s_waitcnt vmcnt(0)
	v_addc_co_u32_e32 v50, vcc, v8, v16, vcc
	v_add_co_u32_e32 v51, vcc, v0, v22
	v_addc_co_u32_e32 v52, vcc, v8, v23, vcc
	v_sub_u32_e32 v30, v10, v9
	v_cmp_lt_i32_e32 vcc, 15, v53
	s_and_saveexec_b64 s[92:93], vcc
	s_cbranch_execz .LBB4_1852
; %bb.1708:                             ;   in Loop: Header=BB4_1416 Depth=2
	v_add_co_u32_e32 v56, vcc, v0, v18
	v_addc_co_u32_e32 v57, vcc, v8, v19, vcc
	s_waitcnt lgkmcnt(0)
	v_add_co_u32_e32 v24, vcc, v0, v24
	s_trap 2
	ds_read_b32 v0, v0
	v_mov_b32_e32 v35, v60
	v_addc_co_u32_e32 v25, vcc, v8, v25, vcc
	s_mov_b64 s[34:35], 0
	s_waitcnt lgkmcnt(0)
	v_lshlrev_b32_e32 v60, 16, v0
	s_mov_b64 s[94:95], 0
                                        ; implicit-def: $sgpr30_sgpr31
	s_branch .LBB4_1710
.LBB4_1709:                             ;   in Loop: Header=BB4_1710 Depth=3
	s_or_b64 exec, exec, s[40:41]
	v_cmp_gt_i32_e32 vcc, 16, v53
	s_or_b64 s[94:95], vcc, s[94:95]
	s_andn2_b64 s[8:9], s[30:31], exec
	s_and_b64 s[40:41], s[34:35], exec
	s_or_b64 s[30:31], s[8:9], s[40:41]
	s_andn2_b64 exec, exec, s[94:95]
	s_cbranch_execz .LBB4_1851
.LBB4_1710:                             ;   Parent Loop BB4_47 Depth=1
                                        ;     Parent Loop BB4_1416 Depth=2
                                        ; =>    This Loop Header: Depth=3
                                        ;         Child Loop BB4_1711 Depth 4
                                        ;         Child Loop BB4_1778 Depth 4
	;; [unrolled: 1-line block ×4, first 2 shown]
	s_lshr_b32 s8, s33, 6
	s_add_i32 s8, s8, 64
	s_mov_b64 s[42:43], -1
	s_mov_b64 s[36:37], 0
.LBB4_1711:                             ;   Parent Loop BB4_47 Depth=1
                                        ;     Parent Loop BB4_1416 Depth=2
                                        ;       Parent Loop BB4_1710 Depth=3
                                        ; =>      This Inner Loop Header: Depth=4
	s_cmp_eq_u32 s36, 1
	s_cselect_b64 s[40:41], -1, 0
	v_cndmask_b32_e64 v16, v57, v25, s[40:41]
	v_cndmask_b32_e64 v15, v56, v24, s[40:41]
	global_load_dwordx4 v[8:11], v[15:16], off glc slc
	v_mov_b32_e32 v0, s8
	s_cmp_eq_u32 s36, 0
	s_mov_b64 s[36:37], 1
	s_mov_b32 s8, s82
	s_waitcnt vmcnt(0)
	buffer_store_dword v9, v0, s[0:3], 0 offen offset:4
	buffer_store_dword v8, v0, s[0:3], 0 offen
	buffer_store_dword v11, v0, s[0:3], 0 offen offset:12
	buffer_store_dword v10, v0, s[0:3], 0 offen offset:8
	v_add_co_u32_e32 v0, vcc, s52, v15
	v_addc_co_u32_e32 v8, vcc, 0, v16, vcc
	s_cselect_b64 vcc, -1, 0
	v_cndmask_b32_e32 v57, v57, v8, vcc
	v_cndmask_b32_e32 v56, v56, v0, vcc
	v_cndmask_b32_e64 v25, v25, v8, s[40:41]
	v_cndmask_b32_e64 v24, v24, v0, s[40:41]
	s_and_b64 vcc, exec, s[42:43]
	s_mov_b64 s[42:43], 0
	s_cbranch_vccnz .LBB4_1711
; %bb.1712:                             ;   in Loop: Header=BB4_1710 Depth=3
	s_and_saveexec_b64 s[36:37], s[34:35]
	s_cbranch_execz .LBB4_1780
; %bb.1713:                             ;   in Loop: Header=BB4_1710 Depth=3
	buffer_load_dword v11, off, s[0:3], s33 offset:96
	buffer_load_dword v9, off, s[0:3], s33 offset:100
	;; [unrolled: 1-line block ×4, first 2 shown]
	s_waitcnt vmcnt(3)
	v_lshlrev_b32_e32 v10, 16, v11
	v_mul_f32_e32 v13, v60, v10
	v_and_b32_e32 v10, 0x7f800000, v13
	v_cmp_ne_u32_e32 vcc, s46, v10
                                        ; implicit-def: $vgpr10
	s_and_saveexec_b64 s[8:9], vcc
	s_xor_b64 s[40:41], exec, s[8:9]
; %bb.1714:                             ;   in Loop: Header=BB4_1710 Depth=3
	v_bfe_u32 v10, v13, 16, 1
	v_add3_u32 v10, v13, v10, s47
                                        ; implicit-def: $vgpr13
; %bb.1715:                             ;   in Loop: Header=BB4_1710 Depth=3
	s_andn2_saveexec_b64 s[40:41], s[40:41]
; %bb.1716:                             ;   in Loop: Header=BB4_1710 Depth=3
	v_or_b32_e32 v10, 0x10000, v13
	v_cmp_eq_u32_sdwa vcc, v13, v2 src0_sel:WORD_0 src1_sel:DWORD
	v_cndmask_b32_e32 v10, v10, v13, vcc
; %bb.1717:                             ;   in Loop: Header=BB4_1710 Depth=3
	s_or_b64 exec, exec, s[40:41]
	v_and_b32_e32 v11, 0xffff0000, v11
	v_mul_f32_e32 v11, v60, v11
	v_and_b32_e32 v13, 0x7f800000, v11
	v_cmp_ne_u32_e32 vcc, s46, v13
                                        ; implicit-def: $vgpr20
	s_and_saveexec_b64 s[8:9], vcc
	s_xor_b64 s[40:41], exec, s[8:9]
; %bb.1718:                             ;   in Loop: Header=BB4_1710 Depth=3
	v_bfe_u32 v13, v11, 16, 1
	v_add3_u32 v20, v11, v13, s47
                                        ; implicit-def: $vgpr11
; %bb.1719:                             ;   in Loop: Header=BB4_1710 Depth=3
	s_andn2_saveexec_b64 s[40:41], s[40:41]
; %bb.1720:                             ;   in Loop: Header=BB4_1710 Depth=3
	v_or_b32_e32 v13, 0x10000, v11
	v_cmp_eq_u32_sdwa vcc, v11, v2 src0_sel:WORD_0 src1_sel:DWORD
	v_cndmask_b32_e32 v20, v13, v11, vcc
; %bb.1721:                             ;   in Loop: Header=BB4_1710 Depth=3
	s_or_b64 exec, exec, s[40:41]
	s_waitcnt vmcnt(2)
	v_lshlrev_b32_e32 v11, 16, v9
	v_mul_f32_e32 v11, v60, v11
	v_and_b32_e32 v13, 0x7f800000, v11
	v_cmp_ne_u32_e32 vcc, s46, v13
                                        ; implicit-def: $vgpr15
	s_and_saveexec_b64 s[8:9], vcc
	s_xor_b64 s[40:41], exec, s[8:9]
; %bb.1722:                             ;   in Loop: Header=BB4_1710 Depth=3
	v_bfe_u32 v13, v11, 16, 1
	v_add3_u32 v15, v11, v13, s47
                                        ; implicit-def: $vgpr11
; %bb.1723:                             ;   in Loop: Header=BB4_1710 Depth=3
	s_andn2_saveexec_b64 s[40:41], s[40:41]
; %bb.1724:                             ;   in Loop: Header=BB4_1710 Depth=3
	v_or_b32_e32 v13, 0x10000, v11
	v_cmp_eq_u32_sdwa vcc, v11, v2 src0_sel:WORD_0 src1_sel:DWORD
	v_cndmask_b32_e32 v15, v13, v11, vcc
; %bb.1725:                             ;   in Loop: Header=BB4_1710 Depth=3
	s_or_b64 exec, exec, s[40:41]
	v_and_b32_e32 v9, 0xffff0000, v9
	v_mul_f32_e32 v9, v60, v9
	v_and_b32_e32 v11, 0x7f800000, v9
	v_cmp_ne_u32_e32 vcc, s46, v11
                                        ; implicit-def: $vgpr11
	s_and_saveexec_b64 s[8:9], vcc
	s_xor_b64 s[40:41], exec, s[8:9]
; %bb.1726:                             ;   in Loop: Header=BB4_1710 Depth=3
	v_bfe_u32 v11, v9, 16, 1
	v_add3_u32 v11, v9, v11, s47
                                        ; implicit-def: $vgpr9
; %bb.1727:                             ;   in Loop: Header=BB4_1710 Depth=3
	s_andn2_saveexec_b64 s[40:41], s[40:41]
; %bb.1728:                             ;   in Loop: Header=BB4_1710 Depth=3
	v_or_b32_e32 v11, 0x10000, v9
	v_cmp_eq_u32_sdwa vcc, v9, v2 src0_sel:WORD_0 src1_sel:DWORD
	v_cndmask_b32_e32 v11, v11, v9, vcc
; %bb.1729:                             ;   in Loop: Header=BB4_1710 Depth=3
	s_or_b64 exec, exec, s[40:41]
	s_waitcnt vmcnt(1)
	v_lshlrev_b32_e32 v9, 16, v8
	v_mul_f32_e32 v9, v60, v9
	v_and_b32_e32 v13, 0x7f800000, v9
	v_cmp_ne_u32_e32 vcc, s46, v13
                                        ; implicit-def: $vgpr13
	s_and_saveexec_b64 s[8:9], vcc
	s_xor_b64 s[40:41], exec, s[8:9]
; %bb.1730:                             ;   in Loop: Header=BB4_1710 Depth=3
	v_bfe_u32 v13, v9, 16, 1
	v_add3_u32 v13, v9, v13, s47
                                        ; implicit-def: $vgpr9
; %bb.1731:                             ;   in Loop: Header=BB4_1710 Depth=3
	s_andn2_saveexec_b64 s[40:41], s[40:41]
; %bb.1732:                             ;   in Loop: Header=BB4_1710 Depth=3
	v_or_b32_e32 v13, 0x10000, v9
	v_cmp_eq_u32_sdwa vcc, v9, v2 src0_sel:WORD_0 src1_sel:DWORD
	v_cndmask_b32_e32 v13, v13, v9, vcc
; %bb.1733:                             ;   in Loop: Header=BB4_1710 Depth=3
	s_or_b64 exec, exec, s[40:41]
	v_and_b32_e32 v8, 0xffff0000, v8
	v_mul_f32_e32 v9, v60, v8
	v_and_b32_e32 v8, 0x7f800000, v9
	v_cmp_ne_u32_e32 vcc, s46, v8
                                        ; implicit-def: $vgpr8
	s_and_saveexec_b64 s[8:9], vcc
	s_xor_b64 s[40:41], exec, s[8:9]
; %bb.1734:                             ;   in Loop: Header=BB4_1710 Depth=3
	v_bfe_u32 v8, v9, 16, 1
	v_add3_u32 v8, v9, v8, s47
                                        ; implicit-def: $vgpr9
; %bb.1735:                             ;   in Loop: Header=BB4_1710 Depth=3
	s_andn2_saveexec_b64 s[40:41], s[40:41]
; %bb.1736:                             ;   in Loop: Header=BB4_1710 Depth=3
	v_or_b32_e32 v8, 0x10000, v9
	v_cmp_eq_u32_sdwa vcc, v9, v2 src0_sel:WORD_0 src1_sel:DWORD
	v_cndmask_b32_e32 v8, v8, v9, vcc
; %bb.1737:                             ;   in Loop: Header=BB4_1710 Depth=3
	s_or_b64 exec, exec, s[40:41]
	s_waitcnt vmcnt(0)
	v_lshlrev_b32_e32 v9, 16, v0
	v_mul_f32_e32 v16, v60, v9
	v_and_b32_e32 v9, 0x7f800000, v16
	v_cmp_ne_u32_e32 vcc, s46, v9
                                        ; implicit-def: $vgpr9
	s_and_saveexec_b64 s[8:9], vcc
	s_xor_b64 s[40:41], exec, s[8:9]
; %bb.1738:                             ;   in Loop: Header=BB4_1710 Depth=3
	v_bfe_u32 v9, v16, 16, 1
	v_add3_u32 v9, v16, v9, s47
                                        ; implicit-def: $vgpr16
; %bb.1739:                             ;   in Loop: Header=BB4_1710 Depth=3
	s_andn2_saveexec_b64 s[40:41], s[40:41]
; %bb.1740:                             ;   in Loop: Header=BB4_1710 Depth=3
	v_or_b32_e32 v9, 0x10000, v16
	v_cmp_eq_u32_sdwa vcc, v16, v2 src0_sel:WORD_0 src1_sel:DWORD
	v_cndmask_b32_e32 v9, v9, v16, vcc
; %bb.1741:                             ;   in Loop: Header=BB4_1710 Depth=3
	s_or_b64 exec, exec, s[40:41]
	v_and_b32_e32 v0, 0xffff0000, v0
	v_mul_f32_e32 v16, v60, v0
	v_and_b32_e32 v0, 0x7f800000, v16
	v_cmp_ne_u32_e32 vcc, s46, v0
                                        ; implicit-def: $vgpr0
	s_and_saveexec_b64 s[8:9], vcc
	s_xor_b64 s[40:41], exec, s[8:9]
; %bb.1742:                             ;   in Loop: Header=BB4_1710 Depth=3
	v_bfe_u32 v0, v16, 16, 1
	v_add3_u32 v0, v16, v0, s47
                                        ; implicit-def: $vgpr16
; %bb.1743:                             ;   in Loop: Header=BB4_1710 Depth=3
	s_andn2_saveexec_b64 s[40:41], s[40:41]
; %bb.1744:                             ;   in Loop: Header=BB4_1710 Depth=3
	v_or_b32_e32 v0, 0x10000, v16
	v_cmp_eq_u32_sdwa vcc, v16, v2 src0_sel:WORD_0 src1_sel:DWORD
	v_cndmask_b32_e32 v0, v0, v16, vcc
; %bb.1745:                             ;   in Loop: Header=BB4_1710 Depth=3
	s_or_b64 exec, exec, s[40:41]
	buffer_load_dword v17, off, s[0:3], s33 offset:112
	buffer_load_dword v16, off, s[0:3], s33 offset:116
	;; [unrolled: 1-line block ×4, first 2 shown]
	v_and_b32_e32 v10, 0xffff0000, v10
	s_waitcnt vmcnt(3)
	v_lshlrev_b32_e32 v34, 16, v17
	v_add_f32_e32 v34, v10, v34
	v_and_b32_e32 v10, 0x7f800000, v34
	v_cmp_ne_u32_e32 vcc, s46, v10
                                        ; implicit-def: $vgpr10
	s_and_saveexec_b64 s[8:9], vcc
	s_xor_b64 s[40:41], exec, s[8:9]
; %bb.1746:                             ;   in Loop: Header=BB4_1710 Depth=3
	v_bfe_u32 v10, v34, 16, 1
	v_add3_u32 v10, v34, v10, s47
                                        ; implicit-def: $vgpr34
; %bb.1747:                             ;   in Loop: Header=BB4_1710 Depth=3
	s_andn2_saveexec_b64 s[40:41], s[40:41]
; %bb.1748:                             ;   in Loop: Header=BB4_1710 Depth=3
	v_or_b32_e32 v10, 0x10000, v34
	v_cmp_eq_u32_sdwa vcc, v34, v2 src0_sel:WORD_0 src1_sel:DWORD
	v_cndmask_b32_e32 v10, v10, v34, vcc
; %bb.1749:                             ;   in Loop: Header=BB4_1710 Depth=3
	s_or_b64 exec, exec, s[40:41]
	v_and_b32_e32 v20, 0xffff0000, v20
	v_and_b32_e32 v17, 0xffff0000, v17
	v_add_f32_e32 v17, v20, v17
	v_and_b32_e32 v20, 0x7f800000, v17
	v_cmp_ne_u32_e32 vcc, s46, v20
                                        ; implicit-def: $vgpr20
	s_and_saveexec_b64 s[8:9], vcc
	s_xor_b64 s[40:41], exec, s[8:9]
; %bb.1750:                             ;   in Loop: Header=BB4_1710 Depth=3
	v_bfe_u32 v20, v17, 16, 1
	v_add3_u32 v20, v17, v20, s47
                                        ; implicit-def: $vgpr17
; %bb.1751:                             ;   in Loop: Header=BB4_1710 Depth=3
	s_andn2_saveexec_b64 s[40:41], s[40:41]
; %bb.1752:                             ;   in Loop: Header=BB4_1710 Depth=3
	v_or_b32_e32 v20, 0x10000, v17
	v_cmp_eq_u32_sdwa vcc, v17, v2 src0_sel:WORD_0 src1_sel:DWORD
	v_cndmask_b32_e32 v20, v20, v17, vcc
; %bb.1753:                             ;   in Loop: Header=BB4_1710 Depth=3
	s_or_b64 exec, exec, s[40:41]
	v_and_b32_e32 v15, 0xffff0000, v15
	s_waitcnt vmcnt(2)
	v_lshlrev_b32_e32 v17, 16, v16
	v_add_f32_e32 v17, v15, v17
	v_and_b32_e32 v15, 0x7f800000, v17
	v_cmp_ne_u32_e32 vcc, s46, v15
                                        ; implicit-def: $vgpr15
	s_and_saveexec_b64 s[8:9], vcc
	s_xor_b64 s[40:41], exec, s[8:9]
; %bb.1754:                             ;   in Loop: Header=BB4_1710 Depth=3
	v_bfe_u32 v15, v17, 16, 1
	v_add3_u32 v15, v17, v15, s47
                                        ; implicit-def: $vgpr17
; %bb.1755:                             ;   in Loop: Header=BB4_1710 Depth=3
	s_andn2_saveexec_b64 s[40:41], s[40:41]
; %bb.1756:                             ;   in Loop: Header=BB4_1710 Depth=3
	v_or_b32_e32 v15, 0x10000, v17
	v_cmp_eq_u32_sdwa vcc, v17, v2 src0_sel:WORD_0 src1_sel:DWORD
	v_cndmask_b32_e32 v15, v15, v17, vcc
; %bb.1757:                             ;   in Loop: Header=BB4_1710 Depth=3
	s_or_b64 exec, exec, s[40:41]
	v_and_b32_e32 v16, 0xffff0000, v16
	v_and_b32_e32 v11, 0xffff0000, v11
	v_add_f32_e32 v16, v11, v16
	v_and_b32_e32 v11, 0x7f800000, v16
	v_cmp_ne_u32_e32 vcc, s46, v11
                                        ; implicit-def: $vgpr11
	s_and_saveexec_b64 s[8:9], vcc
	s_xor_b64 s[40:41], exec, s[8:9]
; %bb.1758:                             ;   in Loop: Header=BB4_1710 Depth=3
	v_bfe_u32 v11, v16, 16, 1
	v_add3_u32 v11, v16, v11, s47
                                        ; implicit-def: $vgpr16
; %bb.1759:                             ;   in Loop: Header=BB4_1710 Depth=3
	s_andn2_saveexec_b64 s[40:41], s[40:41]
; %bb.1760:                             ;   in Loop: Header=BB4_1710 Depth=3
	v_or_b32_e32 v11, 0x10000, v16
	v_cmp_eq_u32_sdwa vcc, v16, v2 src0_sel:WORD_0 src1_sel:DWORD
	v_cndmask_b32_e32 v11, v11, v16, vcc
; %bb.1761:                             ;   in Loop: Header=BB4_1710 Depth=3
	s_or_b64 exec, exec, s[40:41]
	v_and_b32_e32 v13, 0xffff0000, v13
	s_waitcnt vmcnt(1)
	v_lshlrev_b32_e32 v16, 16, v28
	v_add_f32_e32 v16, v13, v16
	v_and_b32_e32 v13, 0x7f800000, v16
	v_cmp_ne_u32_e32 vcc, s46, v13
                                        ; implicit-def: $vgpr13
	s_and_saveexec_b64 s[8:9], vcc
	s_xor_b64 s[40:41], exec, s[8:9]
; %bb.1762:                             ;   in Loop: Header=BB4_1710 Depth=3
	v_bfe_u32 v13, v16, 16, 1
	v_add3_u32 v13, v16, v13, s47
                                        ; implicit-def: $vgpr16
; %bb.1763:                             ;   in Loop: Header=BB4_1710 Depth=3
	s_andn2_saveexec_b64 s[40:41], s[40:41]
; %bb.1764:                             ;   in Loop: Header=BB4_1710 Depth=3
	v_or_b32_e32 v13, 0x10000, v16
	v_cmp_eq_u32_sdwa vcc, v16, v2 src0_sel:WORD_0 src1_sel:DWORD
	v_cndmask_b32_e32 v13, v13, v16, vcc
; %bb.1765:                             ;   in Loop: Header=BB4_1710 Depth=3
	s_or_b64 exec, exec, s[40:41]
	v_and_b32_e32 v16, 0xffff0000, v28
	v_and_b32_e32 v8, 0xffff0000, v8
	v_add_f32_e32 v8, v8, v16
	v_and_b32_e32 v16, 0x7f800000, v8
	v_cmp_ne_u32_e32 vcc, s46, v16
                                        ; implicit-def: $vgpr16
	s_and_saveexec_b64 s[8:9], vcc
	s_xor_b64 s[40:41], exec, s[8:9]
; %bb.1766:                             ;   in Loop: Header=BB4_1710 Depth=3
	v_bfe_u32 v16, v8, 16, 1
	v_add3_u32 v16, v8, v16, s47
                                        ; implicit-def: $vgpr8
; %bb.1767:                             ;   in Loop: Header=BB4_1710 Depth=3
	s_andn2_saveexec_b64 s[40:41], s[40:41]
; %bb.1768:                             ;   in Loop: Header=BB4_1710 Depth=3
	v_or_b32_e32 v16, 0x10000, v8
	v_cmp_eq_u32_sdwa vcc, v8, v2 src0_sel:WORD_0 src1_sel:DWORD
	v_cndmask_b32_e32 v16, v16, v8, vcc
; %bb.1769:                             ;   in Loop: Header=BB4_1710 Depth=3
	s_or_b64 exec, exec, s[40:41]
	v_and_b32_e32 v8, 0xffff0000, v9
	s_waitcnt vmcnt(0)
	v_lshlrev_b32_e32 v9, 16, v21
	v_add_f32_e32 v8, v8, v9
	v_and_b32_e32 v9, 0x7f800000, v8
	v_cmp_ne_u32_e32 vcc, s46, v9
                                        ; implicit-def: $vgpr17
	s_and_saveexec_b64 s[8:9], vcc
	s_xor_b64 s[40:41], exec, s[8:9]
; %bb.1770:                             ;   in Loop: Header=BB4_1710 Depth=3
	v_bfe_u32 v9, v8, 16, 1
	v_add3_u32 v17, v8, v9, s47
                                        ; implicit-def: $vgpr8
; %bb.1771:                             ;   in Loop: Header=BB4_1710 Depth=3
	s_andn2_saveexec_b64 s[40:41], s[40:41]
; %bb.1772:                             ;   in Loop: Header=BB4_1710 Depth=3
	v_or_b32_e32 v9, 0x10000, v8
	v_cmp_eq_u32_sdwa vcc, v8, v2 src0_sel:WORD_0 src1_sel:DWORD
	v_cndmask_b32_e32 v17, v9, v8, vcc
; %bb.1773:                             ;   in Loop: Header=BB4_1710 Depth=3
	s_or_b64 exec, exec, s[40:41]
	v_and_b32_e32 v8, 0xffff0000, v21
	v_and_b32_e32 v0, 0xffff0000, v0
	v_add_f32_e32 v8, v0, v8
	v_and_b32_e32 v0, 0x7f800000, v8
	v_cmp_ne_u32_e32 vcc, s46, v0
                                        ; implicit-def: $vgpr0
	s_and_saveexec_b64 s[8:9], vcc
	s_xor_b64 s[40:41], exec, s[8:9]
; %bb.1774:                             ;   in Loop: Header=BB4_1710 Depth=3
	v_bfe_u32 v0, v8, 16, 1
	v_add3_u32 v0, v8, v0, s47
                                        ; implicit-def: $vgpr8
; %bb.1775:                             ;   in Loop: Header=BB4_1710 Depth=3
	s_andn2_saveexec_b64 s[40:41], s[40:41]
; %bb.1776:                             ;   in Loop: Header=BB4_1710 Depth=3
	v_or_b32_e32 v0, 0x10000, v8
	v_cmp_eq_u32_sdwa vcc, v8, v2 src0_sel:WORD_0 src1_sel:DWORD
	v_cndmask_b32_e32 v0, v0, v8, vcc
; %bb.1777:                             ;   in Loop: Header=BB4_1710 Depth=3
	s_or_b64 exec, exec, s[40:41]
	v_lshrrev_b32_e32 v8, 16, v15
	v_and_or_b32 v9, v11, s44, v8
	v_lshrrev_b32_e32 v8, 16, v10
	v_lshrrev_b32_e32 v10, 16, v13
	;; [unrolled: 1-line block ×3, first 2 shown]
	v_and_or_b32 v8, v20, s44, v8
	v_and_or_b32 v10, v16, s44, v10
	;; [unrolled: 1-line block ×3, first 2 shown]
	s_mov_b64 s[38:39], 0
	s_mov_b64 s[34:35], -1
	buffer_store_dword v9, off, s[0:3], s33 offset:100
	buffer_store_dword v8, off, s[0:3], s33 offset:96
	;; [unrolled: 1-line block ×4, first 2 shown]
.LBB4_1778:                             ;   Parent Loop BB4_47 Depth=1
                                        ;     Parent Loop BB4_1416 Depth=2
                                        ;       Parent Loop BB4_1710 Depth=3
                                        ; =>      This Inner Loop Header: Depth=4
	s_cmp_eq_u32 s38, 1
	s_cselect_b64 s[40:41], -1, 0
	v_cndmask_b32_e64 v15, v31, v51, s[40:41]
	v_cndmask_b32_e64 v16, v50, v52, s[40:41]
	v_add_co_u32_e32 v0, vcc, 0x400, v15
	s_cmp_eq_u32 s38, 0
	v_addc_co_u32_e32 v13, vcc, 0, v16, vcc
	s_cselect_b64 vcc, -1, 0
	s_and_b64 s[42:43], exec, s[34:35]
	s_mov_b64 s[38:39], 1
	v_cndmask_b32_e64 v51, v51, v0, s[40:41]
	s_mov_b64 s[34:35], 0
	v_cndmask_b32_e64 v52, v52, v13, s[40:41]
	v_cndmask_b32_e32 v50, v50, v13, vcc
	v_cndmask_b32_e32 v31, v31, v0, vcc
	s_mov_b64 vcc, s[42:43]
	global_store_dwordx4 v[15:16], v[8:11], off glc slc
	s_cbranch_vccnz .LBB4_1778
; %bb.1779:                             ;   in Loop: Header=BB4_1710 Depth=3
	buffer_load_dword v0, off, s[0:3], s33 offset:128 ; 4-byte Folded Reload
	s_waitcnt vmcnt(0)
	v_add_co_u32_e32 v31, vcc, v31, v0
	v_addc_co_u32_e32 v50, vcc, v50, v49, vcc
	v_add_co_u32_e32 v51, vcc, v51, v0
	v_addc_co_u32_e32 v52, vcc, v52, v49, vcc
.LBB4_1780:                             ;   in Loop: Header=BB4_1710 Depth=3
	s_or_b64 exec, exec, s[36:37]
	buffer_load_dword v0, off, s[0:3], s33 offset:128 ; 4-byte Folded Reload
	s_waitcnt vmcnt(0)
	v_add_co_u32_e32 v56, vcc, v56, v0
	v_addc_co_u32_e32 v57, vcc, v57, v49, vcc
	v_add_co_u32_e32 v24, vcc, v24, v0
	v_lshlrev_b32_e32 v0, 10, v59
	v_sub_u32_e32 v53, v53, v0
	v_addc_co_u32_e32 v25, vcc, v25, v49, vcc
	v_cmp_lt_i32_e64 s[34:35], 15, v53
	s_and_saveexec_b64 s[42:43], s[34:35]
	s_cbranch_execz .LBB4_1783
; %bb.1781:                             ;   in Loop: Header=BB4_1710 Depth=3
	s_lshr_b32 s8, s33, 6
	s_addk_i32 s8, 0x60
	s_mov_b64 s[38:39], 0
	s_mov_b64 s[36:37], -1
.LBB4_1782:                             ;   Parent Loop BB4_47 Depth=1
                                        ;     Parent Loop BB4_1416 Depth=2
                                        ;       Parent Loop BB4_1710 Depth=3
                                        ; =>      This Inner Loop Header: Depth=4
	s_cmp_eq_u32 s38, 1
	s_cselect_b64 s[40:41], -1, 0
	v_cndmask_b32_e64 v16, v57, v25, s[40:41]
	v_cndmask_b32_e64 v15, v56, v24, s[40:41]
	global_load_dwordx4 v[8:11], v[15:16], off glc slc
	v_mov_b32_e32 v0, s8
	s_cmp_eq_u32 s38, 0
	s_mov_b64 s[38:39], 1
	s_mov_b32 s8, s81
	s_waitcnt vmcnt(0)
	buffer_store_dword v9, v0, s[0:3], 0 offen offset:4
	buffer_store_dword v8, v0, s[0:3], 0 offen
	buffer_store_dword v11, v0, s[0:3], 0 offen offset:12
	buffer_store_dword v10, v0, s[0:3], 0 offen offset:8
	v_add_co_u32_e32 v0, vcc, s52, v15
	v_addc_co_u32_e32 v8, vcc, 0, v16, vcc
	s_cselect_b64 vcc, -1, 0
	v_cndmask_b32_e32 v57, v57, v8, vcc
	v_cndmask_b32_e32 v56, v56, v0, vcc
	v_cndmask_b32_e64 v25, v25, v8, s[40:41]
	v_cndmask_b32_e64 v24, v24, v0, s[40:41]
	s_and_b64 vcc, exec, s[36:37]
	s_mov_b64 s[36:37], 0
	s_cbranch_vccnz .LBB4_1782
.LBB4_1783:                             ;   in Loop: Header=BB4_1710 Depth=3
	s_or_b64 exec, exec, s[42:43]
	buffer_load_dword v11, off, s[0:3], s33 offset:64
	buffer_load_dword v9, off, s[0:3], s33 offset:68
	;; [unrolled: 1-line block ×4, first 2 shown]
	s_waitcnt vmcnt(3)
	v_lshlrev_b32_e32 v10, 16, v11
	v_mul_f32_e32 v13, v60, v10
	v_and_b32_e32 v10, 0x7f800000, v13
	v_cmp_ne_u32_e32 vcc, s46, v10
                                        ; implicit-def: $vgpr10
	s_and_saveexec_b64 s[8:9], vcc
	s_xor_b64 s[40:41], exec, s[8:9]
; %bb.1784:                             ;   in Loop: Header=BB4_1710 Depth=3
	v_bfe_u32 v10, v13, 16, 1
	v_add3_u32 v10, v13, v10, s47
                                        ; implicit-def: $vgpr13
; %bb.1785:                             ;   in Loop: Header=BB4_1710 Depth=3
	s_andn2_saveexec_b64 s[40:41], s[40:41]
; %bb.1786:                             ;   in Loop: Header=BB4_1710 Depth=3
	v_or_b32_e32 v10, 0x10000, v13
	v_cmp_eq_u32_sdwa vcc, v13, v2 src0_sel:WORD_0 src1_sel:DWORD
	v_cndmask_b32_e32 v10, v10, v13, vcc
; %bb.1787:                             ;   in Loop: Header=BB4_1710 Depth=3
	s_or_b64 exec, exec, s[40:41]
	v_and_b32_e32 v11, 0xffff0000, v11
	v_mul_f32_e32 v11, v60, v11
	v_and_b32_e32 v13, 0x7f800000, v11
	v_cmp_ne_u32_e32 vcc, s46, v13
                                        ; implicit-def: $vgpr20
	s_and_saveexec_b64 s[8:9], vcc
	s_xor_b64 s[40:41], exec, s[8:9]
; %bb.1788:                             ;   in Loop: Header=BB4_1710 Depth=3
	v_bfe_u32 v13, v11, 16, 1
	v_add3_u32 v20, v11, v13, s47
                                        ; implicit-def: $vgpr11
; %bb.1789:                             ;   in Loop: Header=BB4_1710 Depth=3
	s_andn2_saveexec_b64 s[40:41], s[40:41]
; %bb.1790:                             ;   in Loop: Header=BB4_1710 Depth=3
	v_or_b32_e32 v13, 0x10000, v11
	v_cmp_eq_u32_sdwa vcc, v11, v2 src0_sel:WORD_0 src1_sel:DWORD
	v_cndmask_b32_e32 v20, v13, v11, vcc
; %bb.1791:                             ;   in Loop: Header=BB4_1710 Depth=3
	s_or_b64 exec, exec, s[40:41]
	s_waitcnt vmcnt(2)
	v_lshlrev_b32_e32 v11, 16, v9
	v_mul_f32_e32 v11, v60, v11
	v_and_b32_e32 v13, 0x7f800000, v11
	v_cmp_ne_u32_e32 vcc, s46, v13
                                        ; implicit-def: $vgpr15
	s_and_saveexec_b64 s[8:9], vcc
	s_xor_b64 s[40:41], exec, s[8:9]
; %bb.1792:                             ;   in Loop: Header=BB4_1710 Depth=3
	v_bfe_u32 v13, v11, 16, 1
	v_add3_u32 v15, v11, v13, s47
                                        ; implicit-def: $vgpr11
; %bb.1793:                             ;   in Loop: Header=BB4_1710 Depth=3
	s_andn2_saveexec_b64 s[40:41], s[40:41]
; %bb.1794:                             ;   in Loop: Header=BB4_1710 Depth=3
	v_or_b32_e32 v13, 0x10000, v11
	v_cmp_eq_u32_sdwa vcc, v11, v2 src0_sel:WORD_0 src1_sel:DWORD
	v_cndmask_b32_e32 v15, v13, v11, vcc
; %bb.1795:                             ;   in Loop: Header=BB4_1710 Depth=3
	s_or_b64 exec, exec, s[40:41]
	v_and_b32_e32 v9, 0xffff0000, v9
	v_mul_f32_e32 v9, v60, v9
	v_and_b32_e32 v11, 0x7f800000, v9
	v_cmp_ne_u32_e32 vcc, s46, v11
                                        ; implicit-def: $vgpr11
	s_and_saveexec_b64 s[8:9], vcc
	s_xor_b64 s[40:41], exec, s[8:9]
; %bb.1796:                             ;   in Loop: Header=BB4_1710 Depth=3
	v_bfe_u32 v11, v9, 16, 1
	v_add3_u32 v11, v9, v11, s47
                                        ; implicit-def: $vgpr9
; %bb.1797:                             ;   in Loop: Header=BB4_1710 Depth=3
	s_andn2_saveexec_b64 s[40:41], s[40:41]
; %bb.1798:                             ;   in Loop: Header=BB4_1710 Depth=3
	v_or_b32_e32 v11, 0x10000, v9
	v_cmp_eq_u32_sdwa vcc, v9, v2 src0_sel:WORD_0 src1_sel:DWORD
	v_cndmask_b32_e32 v11, v11, v9, vcc
; %bb.1799:                             ;   in Loop: Header=BB4_1710 Depth=3
	s_or_b64 exec, exec, s[40:41]
	s_waitcnt vmcnt(1)
	v_lshlrev_b32_e32 v9, 16, v8
	v_mul_f32_e32 v9, v60, v9
	v_and_b32_e32 v13, 0x7f800000, v9
	v_cmp_ne_u32_e32 vcc, s46, v13
                                        ; implicit-def: $vgpr13
	s_and_saveexec_b64 s[8:9], vcc
	s_xor_b64 s[40:41], exec, s[8:9]
; %bb.1800:                             ;   in Loop: Header=BB4_1710 Depth=3
	v_bfe_u32 v13, v9, 16, 1
	v_add3_u32 v13, v9, v13, s47
                                        ; implicit-def: $vgpr9
; %bb.1801:                             ;   in Loop: Header=BB4_1710 Depth=3
	s_andn2_saveexec_b64 s[40:41], s[40:41]
; %bb.1802:                             ;   in Loop: Header=BB4_1710 Depth=3
	v_or_b32_e32 v13, 0x10000, v9
	v_cmp_eq_u32_sdwa vcc, v9, v2 src0_sel:WORD_0 src1_sel:DWORD
	v_cndmask_b32_e32 v13, v13, v9, vcc
; %bb.1803:                             ;   in Loop: Header=BB4_1710 Depth=3
	s_or_b64 exec, exec, s[40:41]
	v_and_b32_e32 v8, 0xffff0000, v8
	v_mul_f32_e32 v9, v60, v8
	v_and_b32_e32 v8, 0x7f800000, v9
	v_cmp_ne_u32_e32 vcc, s46, v8
                                        ; implicit-def: $vgpr8
	s_and_saveexec_b64 s[8:9], vcc
	s_xor_b64 s[40:41], exec, s[8:9]
; %bb.1804:                             ;   in Loop: Header=BB4_1710 Depth=3
	v_bfe_u32 v8, v9, 16, 1
	v_add3_u32 v8, v9, v8, s47
                                        ; implicit-def: $vgpr9
; %bb.1805:                             ;   in Loop: Header=BB4_1710 Depth=3
	s_andn2_saveexec_b64 s[40:41], s[40:41]
; %bb.1806:                             ;   in Loop: Header=BB4_1710 Depth=3
	v_or_b32_e32 v8, 0x10000, v9
	v_cmp_eq_u32_sdwa vcc, v9, v2 src0_sel:WORD_0 src1_sel:DWORD
	v_cndmask_b32_e32 v8, v8, v9, vcc
; %bb.1807:                             ;   in Loop: Header=BB4_1710 Depth=3
	s_or_b64 exec, exec, s[40:41]
	s_waitcnt vmcnt(0)
	v_lshlrev_b32_e32 v9, 16, v0
	v_mul_f32_e32 v16, v60, v9
	v_and_b32_e32 v9, 0x7f800000, v16
	v_cmp_ne_u32_e32 vcc, s46, v9
                                        ; implicit-def: $vgpr9
	s_and_saveexec_b64 s[8:9], vcc
	s_xor_b64 s[40:41], exec, s[8:9]
; %bb.1808:                             ;   in Loop: Header=BB4_1710 Depth=3
	v_bfe_u32 v9, v16, 16, 1
	v_add3_u32 v9, v16, v9, s47
                                        ; implicit-def: $vgpr16
; %bb.1809:                             ;   in Loop: Header=BB4_1710 Depth=3
	s_andn2_saveexec_b64 s[40:41], s[40:41]
; %bb.1810:                             ;   in Loop: Header=BB4_1710 Depth=3
	v_or_b32_e32 v9, 0x10000, v16
	v_cmp_eq_u32_sdwa vcc, v16, v2 src0_sel:WORD_0 src1_sel:DWORD
	v_cndmask_b32_e32 v9, v9, v16, vcc
; %bb.1811:                             ;   in Loop: Header=BB4_1710 Depth=3
	s_or_b64 exec, exec, s[40:41]
	v_and_b32_e32 v0, 0xffff0000, v0
	v_mul_f32_e32 v16, v60, v0
	v_and_b32_e32 v0, 0x7f800000, v16
	v_cmp_ne_u32_e32 vcc, s46, v0
                                        ; implicit-def: $vgpr0
	s_and_saveexec_b64 s[8:9], vcc
	s_xor_b64 s[40:41], exec, s[8:9]
; %bb.1812:                             ;   in Loop: Header=BB4_1710 Depth=3
	v_bfe_u32 v0, v16, 16, 1
	v_add3_u32 v0, v16, v0, s47
                                        ; implicit-def: $vgpr16
; %bb.1813:                             ;   in Loop: Header=BB4_1710 Depth=3
	s_andn2_saveexec_b64 s[40:41], s[40:41]
; %bb.1814:                             ;   in Loop: Header=BB4_1710 Depth=3
	v_or_b32_e32 v0, 0x10000, v16
	v_cmp_eq_u32_sdwa vcc, v16, v2 src0_sel:WORD_0 src1_sel:DWORD
	v_cndmask_b32_e32 v0, v0, v16, vcc
; %bb.1815:                             ;   in Loop: Header=BB4_1710 Depth=3
	s_or_b64 exec, exec, s[40:41]
	buffer_load_dword v17, off, s[0:3], s33 offset:80
	buffer_load_dword v16, off, s[0:3], s33 offset:84
	;; [unrolled: 1-line block ×4, first 2 shown]
	v_and_b32_e32 v10, 0xffff0000, v10
	s_waitcnt vmcnt(3)
	v_lshlrev_b32_e32 v34, 16, v17
	v_add_f32_e32 v34, v10, v34
	v_and_b32_e32 v10, 0x7f800000, v34
	v_cmp_ne_u32_e32 vcc, s46, v10
                                        ; implicit-def: $vgpr10
	s_and_saveexec_b64 s[8:9], vcc
	s_xor_b64 s[40:41], exec, s[8:9]
; %bb.1816:                             ;   in Loop: Header=BB4_1710 Depth=3
	v_bfe_u32 v10, v34, 16, 1
	v_add3_u32 v10, v34, v10, s47
                                        ; implicit-def: $vgpr34
; %bb.1817:                             ;   in Loop: Header=BB4_1710 Depth=3
	s_andn2_saveexec_b64 s[40:41], s[40:41]
; %bb.1818:                             ;   in Loop: Header=BB4_1710 Depth=3
	v_or_b32_e32 v10, 0x10000, v34
	v_cmp_eq_u32_sdwa vcc, v34, v2 src0_sel:WORD_0 src1_sel:DWORD
	v_cndmask_b32_e32 v10, v10, v34, vcc
; %bb.1819:                             ;   in Loop: Header=BB4_1710 Depth=3
	s_or_b64 exec, exec, s[40:41]
	v_and_b32_e32 v20, 0xffff0000, v20
	v_and_b32_e32 v17, 0xffff0000, v17
	v_add_f32_e32 v17, v20, v17
	v_and_b32_e32 v20, 0x7f800000, v17
	v_cmp_ne_u32_e32 vcc, s46, v20
                                        ; implicit-def: $vgpr20
	s_and_saveexec_b64 s[8:9], vcc
	s_xor_b64 s[40:41], exec, s[8:9]
; %bb.1820:                             ;   in Loop: Header=BB4_1710 Depth=3
	v_bfe_u32 v20, v17, 16, 1
	v_add3_u32 v20, v17, v20, s47
                                        ; implicit-def: $vgpr17
; %bb.1821:                             ;   in Loop: Header=BB4_1710 Depth=3
	s_andn2_saveexec_b64 s[40:41], s[40:41]
; %bb.1822:                             ;   in Loop: Header=BB4_1710 Depth=3
	v_or_b32_e32 v20, 0x10000, v17
	v_cmp_eq_u32_sdwa vcc, v17, v2 src0_sel:WORD_0 src1_sel:DWORD
	v_cndmask_b32_e32 v20, v20, v17, vcc
; %bb.1823:                             ;   in Loop: Header=BB4_1710 Depth=3
	s_or_b64 exec, exec, s[40:41]
	v_and_b32_e32 v15, 0xffff0000, v15
	s_waitcnt vmcnt(2)
	v_lshlrev_b32_e32 v17, 16, v16
	v_add_f32_e32 v17, v15, v17
	v_and_b32_e32 v15, 0x7f800000, v17
	v_cmp_ne_u32_e32 vcc, s46, v15
                                        ; implicit-def: $vgpr15
	s_and_saveexec_b64 s[8:9], vcc
	s_xor_b64 s[40:41], exec, s[8:9]
; %bb.1824:                             ;   in Loop: Header=BB4_1710 Depth=3
	v_bfe_u32 v15, v17, 16, 1
	v_add3_u32 v15, v17, v15, s47
                                        ; implicit-def: $vgpr17
; %bb.1825:                             ;   in Loop: Header=BB4_1710 Depth=3
	s_andn2_saveexec_b64 s[40:41], s[40:41]
; %bb.1826:                             ;   in Loop: Header=BB4_1710 Depth=3
	v_or_b32_e32 v15, 0x10000, v17
	v_cmp_eq_u32_sdwa vcc, v17, v2 src0_sel:WORD_0 src1_sel:DWORD
	v_cndmask_b32_e32 v15, v15, v17, vcc
; %bb.1827:                             ;   in Loop: Header=BB4_1710 Depth=3
	s_or_b64 exec, exec, s[40:41]
	v_and_b32_e32 v16, 0xffff0000, v16
	v_and_b32_e32 v11, 0xffff0000, v11
	v_add_f32_e32 v16, v11, v16
	v_and_b32_e32 v11, 0x7f800000, v16
	v_cmp_ne_u32_e32 vcc, s46, v11
                                        ; implicit-def: $vgpr11
	s_and_saveexec_b64 s[8:9], vcc
	s_xor_b64 s[40:41], exec, s[8:9]
; %bb.1828:                             ;   in Loop: Header=BB4_1710 Depth=3
	v_bfe_u32 v11, v16, 16, 1
	v_add3_u32 v11, v16, v11, s47
                                        ; implicit-def: $vgpr16
; %bb.1829:                             ;   in Loop: Header=BB4_1710 Depth=3
	s_andn2_saveexec_b64 s[40:41], s[40:41]
; %bb.1830:                             ;   in Loop: Header=BB4_1710 Depth=3
	v_or_b32_e32 v11, 0x10000, v16
	v_cmp_eq_u32_sdwa vcc, v16, v2 src0_sel:WORD_0 src1_sel:DWORD
	v_cndmask_b32_e32 v11, v11, v16, vcc
; %bb.1831:                             ;   in Loop: Header=BB4_1710 Depth=3
	s_or_b64 exec, exec, s[40:41]
	v_and_b32_e32 v13, 0xffff0000, v13
	s_waitcnt vmcnt(1)
	v_lshlrev_b32_e32 v16, 16, v28
	v_add_f32_e32 v16, v13, v16
	v_and_b32_e32 v13, 0x7f800000, v16
	v_cmp_ne_u32_e32 vcc, s46, v13
                                        ; implicit-def: $vgpr13
	s_and_saveexec_b64 s[8:9], vcc
	s_xor_b64 s[40:41], exec, s[8:9]
; %bb.1832:                             ;   in Loop: Header=BB4_1710 Depth=3
	v_bfe_u32 v13, v16, 16, 1
	v_add3_u32 v13, v16, v13, s47
                                        ; implicit-def: $vgpr16
; %bb.1833:                             ;   in Loop: Header=BB4_1710 Depth=3
	s_andn2_saveexec_b64 s[40:41], s[40:41]
; %bb.1834:                             ;   in Loop: Header=BB4_1710 Depth=3
	v_or_b32_e32 v13, 0x10000, v16
	v_cmp_eq_u32_sdwa vcc, v16, v2 src0_sel:WORD_0 src1_sel:DWORD
	v_cndmask_b32_e32 v13, v13, v16, vcc
; %bb.1835:                             ;   in Loop: Header=BB4_1710 Depth=3
	s_or_b64 exec, exec, s[40:41]
	v_and_b32_e32 v16, 0xffff0000, v28
	v_and_b32_e32 v8, 0xffff0000, v8
	v_add_f32_e32 v8, v8, v16
	v_and_b32_e32 v16, 0x7f800000, v8
	v_cmp_ne_u32_e32 vcc, s46, v16
                                        ; implicit-def: $vgpr16
	s_and_saveexec_b64 s[8:9], vcc
	s_xor_b64 s[40:41], exec, s[8:9]
; %bb.1836:                             ;   in Loop: Header=BB4_1710 Depth=3
	v_bfe_u32 v16, v8, 16, 1
	v_add3_u32 v16, v8, v16, s47
                                        ; implicit-def: $vgpr8
; %bb.1837:                             ;   in Loop: Header=BB4_1710 Depth=3
	s_andn2_saveexec_b64 s[40:41], s[40:41]
; %bb.1838:                             ;   in Loop: Header=BB4_1710 Depth=3
	v_or_b32_e32 v16, 0x10000, v8
	v_cmp_eq_u32_sdwa vcc, v8, v2 src0_sel:WORD_0 src1_sel:DWORD
	v_cndmask_b32_e32 v16, v16, v8, vcc
; %bb.1839:                             ;   in Loop: Header=BB4_1710 Depth=3
	s_or_b64 exec, exec, s[40:41]
	v_and_b32_e32 v8, 0xffff0000, v9
	s_waitcnt vmcnt(0)
	v_lshlrev_b32_e32 v9, 16, v21
	v_add_f32_e32 v8, v8, v9
	v_and_b32_e32 v9, 0x7f800000, v8
	v_cmp_ne_u32_e32 vcc, s46, v9
                                        ; implicit-def: $vgpr17
	s_and_saveexec_b64 s[8:9], vcc
	s_xor_b64 s[40:41], exec, s[8:9]
; %bb.1840:                             ;   in Loop: Header=BB4_1710 Depth=3
	v_bfe_u32 v9, v8, 16, 1
	v_add3_u32 v17, v8, v9, s47
                                        ; implicit-def: $vgpr8
; %bb.1841:                             ;   in Loop: Header=BB4_1710 Depth=3
	s_andn2_saveexec_b64 s[40:41], s[40:41]
; %bb.1842:                             ;   in Loop: Header=BB4_1710 Depth=3
	v_or_b32_e32 v9, 0x10000, v8
	v_cmp_eq_u32_sdwa vcc, v8, v2 src0_sel:WORD_0 src1_sel:DWORD
	v_cndmask_b32_e32 v17, v9, v8, vcc
; %bb.1843:                             ;   in Loop: Header=BB4_1710 Depth=3
	s_or_b64 exec, exec, s[40:41]
	v_and_b32_e32 v8, 0xffff0000, v21
	v_and_b32_e32 v0, 0xffff0000, v0
	v_add_f32_e32 v8, v0, v8
	v_and_b32_e32 v0, 0x7f800000, v8
	v_cmp_ne_u32_e32 vcc, s46, v0
                                        ; implicit-def: $vgpr0
	s_and_saveexec_b64 s[8:9], vcc
	s_xor_b64 s[40:41], exec, s[8:9]
; %bb.1844:                             ;   in Loop: Header=BB4_1710 Depth=3
	v_bfe_u32 v0, v8, 16, 1
	v_add3_u32 v0, v8, v0, s47
                                        ; implicit-def: $vgpr8
; %bb.1845:                             ;   in Loop: Header=BB4_1710 Depth=3
	s_andn2_saveexec_b64 s[40:41], s[40:41]
; %bb.1846:                             ;   in Loop: Header=BB4_1710 Depth=3
	v_or_b32_e32 v0, 0x10000, v8
	v_cmp_eq_u32_sdwa vcc, v8, v2 src0_sel:WORD_0 src1_sel:DWORD
	v_cndmask_b32_e32 v0, v0, v8, vcc
; %bb.1847:                             ;   in Loop: Header=BB4_1710 Depth=3
	s_or_b64 exec, exec, s[40:41]
	v_lshrrev_b32_e32 v8, 16, v15
	v_and_or_b32 v9, v11, s44, v8
	v_lshrrev_b32_e32 v8, 16, v10
	v_lshrrev_b32_e32 v10, 16, v13
	;; [unrolled: 1-line block ×3, first 2 shown]
	v_and_or_b32 v8, v20, s44, v8
	v_and_or_b32 v10, v16, s44, v10
	;; [unrolled: 1-line block ×3, first 2 shown]
	s_mov_b64 s[38:39], 0
	s_mov_b64 s[36:37], -1
	buffer_store_dword v9, off, s[0:3], s33 offset:68
	buffer_store_dword v8, off, s[0:3], s33 offset:64
	;; [unrolled: 1-line block ×4, first 2 shown]
.LBB4_1848:                             ;   Parent Loop BB4_47 Depth=1
                                        ;     Parent Loop BB4_1416 Depth=2
                                        ;       Parent Loop BB4_1710 Depth=3
                                        ; =>      This Inner Loop Header: Depth=4
	s_cmp_eq_u32 s38, 1
	s_cselect_b64 s[40:41], -1, 0
	v_cndmask_b32_e64 v15, v31, v51, s[40:41]
	v_cndmask_b32_e64 v16, v50, v52, s[40:41]
	v_add_co_u32_e32 v0, vcc, 0x400, v15
	s_cmp_eq_u32 s38, 0
	v_addc_co_u32_e32 v13, vcc, 0, v16, vcc
	s_cselect_b64 vcc, -1, 0
	s_and_b64 s[42:43], exec, s[36:37]
	s_mov_b64 s[38:39], 1
	v_cndmask_b32_e64 v51, v51, v0, s[40:41]
	s_mov_b64 s[36:37], 0
	v_cndmask_b32_e64 v52, v52, v13, s[40:41]
	v_cndmask_b32_e32 v50, v50, v13, vcc
	v_cndmask_b32_e32 v31, v31, v0, vcc
	s_mov_b64 vcc, s[42:43]
	global_store_dwordx4 v[15:16], v[8:11], off glc slc
	s_cbranch_vccnz .LBB4_1848
; %bb.1849:                             ;   in Loop: Header=BB4_1710 Depth=3
	v_sub_u32_e32 v30, v30, v59
	s_and_saveexec_b64 s[40:41], s[34:35]
	s_cbranch_execz .LBB4_1709
; %bb.1850:                             ;   in Loop: Header=BB4_1710 Depth=3
	buffer_load_dword v0, off, s[0:3], s33 offset:128 ; 4-byte Folded Reload
	v_sub_u32_e32 v30, v30, v59
	s_waitcnt vmcnt(0)
	v_add_co_u32_e32 v31, vcc, v31, v0
	v_addc_co_u32_e32 v50, vcc, v50, v49, vcc
	v_add_co_u32_e32 v51, vcc, v51, v0
	v_addc_co_u32_e32 v52, vcc, v52, v49, vcc
	;; [unrolled: 2-line block ×3, first 2 shown]
	v_add_co_u32_e32 v24, vcc, v24, v0
	v_lshlrev_b32_e32 v0, 10, v59
	v_addc_co_u32_e32 v25, vcc, v25, v49, vcc
	v_sub_u32_e32 v53, v53, v0
	s_branch .LBB4_1709
.LBB4_1851:                             ;   in Loop: Header=BB4_1416 Depth=2
	s_or_b64 exec, exec, s[94:95]
	s_and_b64 s[40:41], s[30:31], exec
	v_mov_b32_e32 v60, v35
.LBB4_1852:                             ;   in Loop: Header=BB4_1416 Depth=2
	s_or_b64 exec, exec, s[92:93]
	s_and_saveexec_b64 s[92:93], s[40:41]
	s_cbranch_execz .LBB4_1919
; %bb.1853:                             ;   in Loop: Header=BB4_1416 Depth=2
	s_trap 2
	buffer_load_dword v11, off, s[0:3], s33 offset:96
	buffer_load_dword v9, off, s[0:3], s33 offset:100
	;; [unrolled: 1-line block ×4, first 2 shown]
	s_waitcnt vmcnt(0)
	ds_read_b32 v10, v0
	s_waitcnt lgkmcnt(0)
	v_lshlrev_b32_e32 v21, 16, v10
	v_lshlrev_b32_e32 v10, 16, v11
	v_mul_f32_e32 v13, v21, v10
	v_and_b32_e32 v10, 0x7f800000, v13
	v_cmp_ne_u32_e32 vcc, s46, v10
                                        ; implicit-def: $vgpr10
	s_and_saveexec_b64 s[8:9], vcc
	s_xor_b64 s[40:41], exec, s[8:9]
; %bb.1854:                             ;   in Loop: Header=BB4_1416 Depth=2
	v_bfe_u32 v10, v13, 16, 1
	v_add3_u32 v10, v13, v10, s47
                                        ; implicit-def: $vgpr13
; %bb.1855:                             ;   in Loop: Header=BB4_1416 Depth=2
	s_andn2_saveexec_b64 s[40:41], s[40:41]
; %bb.1856:                             ;   in Loop: Header=BB4_1416 Depth=2
	v_or_b32_e32 v10, 0x10000, v13
	v_cmp_eq_u32_sdwa vcc, v13, v2 src0_sel:WORD_0 src1_sel:DWORD
	v_cndmask_b32_e32 v10, v10, v13, vcc
; %bb.1857:                             ;   in Loop: Header=BB4_1416 Depth=2
	s_or_b64 exec, exec, s[40:41]
	v_and_b32_e32 v11, 0xffff0000, v11
	v_mul_f32_e32 v11, v21, v11
	v_and_b32_e32 v13, 0x7f800000, v11
	v_cmp_ne_u32_e32 vcc, s46, v13
                                        ; implicit-def: $vgpr20
	s_and_saveexec_b64 s[8:9], vcc
	s_xor_b64 s[40:41], exec, s[8:9]
; %bb.1858:                             ;   in Loop: Header=BB4_1416 Depth=2
	v_bfe_u32 v13, v11, 16, 1
	v_add3_u32 v20, v11, v13, s47
                                        ; implicit-def: $vgpr11
; %bb.1859:                             ;   in Loop: Header=BB4_1416 Depth=2
	s_andn2_saveexec_b64 s[40:41], s[40:41]
; %bb.1860:                             ;   in Loop: Header=BB4_1416 Depth=2
	v_or_b32_e32 v13, 0x10000, v11
	v_cmp_eq_u32_sdwa vcc, v11, v2 src0_sel:WORD_0 src1_sel:DWORD
	v_cndmask_b32_e32 v20, v13, v11, vcc
; %bb.1861:                             ;   in Loop: Header=BB4_1416 Depth=2
	s_or_b64 exec, exec, s[40:41]
	v_lshlrev_b32_e32 v11, 16, v9
	v_mul_f32_e32 v11, v21, v11
	v_and_b32_e32 v13, 0x7f800000, v11
	v_cmp_ne_u32_e32 vcc, s46, v13
                                        ; implicit-def: $vgpr15
	s_and_saveexec_b64 s[8:9], vcc
	s_xor_b64 s[40:41], exec, s[8:9]
; %bb.1862:                             ;   in Loop: Header=BB4_1416 Depth=2
	v_bfe_u32 v13, v11, 16, 1
	v_add3_u32 v15, v11, v13, s47
                                        ; implicit-def: $vgpr11
; %bb.1863:                             ;   in Loop: Header=BB4_1416 Depth=2
	s_andn2_saveexec_b64 s[40:41], s[40:41]
; %bb.1864:                             ;   in Loop: Header=BB4_1416 Depth=2
	v_or_b32_e32 v13, 0x10000, v11
	v_cmp_eq_u32_sdwa vcc, v11, v2 src0_sel:WORD_0 src1_sel:DWORD
	v_cndmask_b32_e32 v15, v13, v11, vcc
; %bb.1865:                             ;   in Loop: Header=BB4_1416 Depth=2
	s_or_b64 exec, exec, s[40:41]
	v_and_b32_e32 v9, 0xffff0000, v9
	v_mul_f32_e32 v9, v21, v9
	v_and_b32_e32 v11, 0x7f800000, v9
	v_cmp_ne_u32_e32 vcc, s46, v11
                                        ; implicit-def: $vgpr11
	s_and_saveexec_b64 s[8:9], vcc
	s_xor_b64 s[40:41], exec, s[8:9]
; %bb.1866:                             ;   in Loop: Header=BB4_1416 Depth=2
	v_bfe_u32 v11, v9, 16, 1
	v_add3_u32 v11, v9, v11, s47
                                        ; implicit-def: $vgpr9
; %bb.1867:                             ;   in Loop: Header=BB4_1416 Depth=2
	s_andn2_saveexec_b64 s[40:41], s[40:41]
; %bb.1868:                             ;   in Loop: Header=BB4_1416 Depth=2
	v_or_b32_e32 v11, 0x10000, v9
	v_cmp_eq_u32_sdwa vcc, v9, v2 src0_sel:WORD_0 src1_sel:DWORD
	v_cndmask_b32_e32 v11, v11, v9, vcc
; %bb.1869:                             ;   in Loop: Header=BB4_1416 Depth=2
	s_or_b64 exec, exec, s[40:41]
	v_lshlrev_b32_e32 v9, 16, v8
	v_mul_f32_e32 v9, v21, v9
	v_and_b32_e32 v13, 0x7f800000, v9
	v_cmp_ne_u32_e32 vcc, s46, v13
                                        ; implicit-def: $vgpr13
	s_and_saveexec_b64 s[8:9], vcc
	s_xor_b64 s[40:41], exec, s[8:9]
; %bb.1870:                             ;   in Loop: Header=BB4_1416 Depth=2
	v_bfe_u32 v13, v9, 16, 1
	v_add3_u32 v13, v9, v13, s47
                                        ; implicit-def: $vgpr9
; %bb.1871:                             ;   in Loop: Header=BB4_1416 Depth=2
	s_andn2_saveexec_b64 s[40:41], s[40:41]
; %bb.1872:                             ;   in Loop: Header=BB4_1416 Depth=2
	v_or_b32_e32 v13, 0x10000, v9
	v_cmp_eq_u32_sdwa vcc, v9, v2 src0_sel:WORD_0 src1_sel:DWORD
	v_cndmask_b32_e32 v13, v13, v9, vcc
; %bb.1873:                             ;   in Loop: Header=BB4_1416 Depth=2
	s_or_b64 exec, exec, s[40:41]
	v_and_b32_e32 v8, 0xffff0000, v8
	v_mul_f32_e32 v9, v21, v8
	v_and_b32_e32 v8, 0x7f800000, v9
	v_cmp_ne_u32_e32 vcc, s46, v8
                                        ; implicit-def: $vgpr8
	s_and_saveexec_b64 s[8:9], vcc
	s_xor_b64 s[40:41], exec, s[8:9]
; %bb.1874:                             ;   in Loop: Header=BB4_1416 Depth=2
	v_bfe_u32 v8, v9, 16, 1
	v_add3_u32 v8, v9, v8, s47
                                        ; implicit-def: $vgpr9
; %bb.1875:                             ;   in Loop: Header=BB4_1416 Depth=2
	s_andn2_saveexec_b64 s[40:41], s[40:41]
; %bb.1876:                             ;   in Loop: Header=BB4_1416 Depth=2
	v_or_b32_e32 v8, 0x10000, v9
	v_cmp_eq_u32_sdwa vcc, v9, v2 src0_sel:WORD_0 src1_sel:DWORD
	v_cndmask_b32_e32 v8, v8, v9, vcc
; %bb.1877:                             ;   in Loop: Header=BB4_1416 Depth=2
	s_or_b64 exec, exec, s[40:41]
	v_lshlrev_b32_e32 v9, 16, v0
	v_mul_f32_e32 v16, v21, v9
	v_and_b32_e32 v9, 0x7f800000, v16
	v_cmp_ne_u32_e32 vcc, s46, v9
                                        ; implicit-def: $vgpr9
	s_and_saveexec_b64 s[8:9], vcc
	s_xor_b64 s[40:41], exec, s[8:9]
; %bb.1878:                             ;   in Loop: Header=BB4_1416 Depth=2
	v_bfe_u32 v9, v16, 16, 1
	v_add3_u32 v9, v16, v9, s47
                                        ; implicit-def: $vgpr16
; %bb.1879:                             ;   in Loop: Header=BB4_1416 Depth=2
	s_andn2_saveexec_b64 s[40:41], s[40:41]
; %bb.1880:                             ;   in Loop: Header=BB4_1416 Depth=2
	v_or_b32_e32 v9, 0x10000, v16
	v_cmp_eq_u32_sdwa vcc, v16, v2 src0_sel:WORD_0 src1_sel:DWORD
	v_cndmask_b32_e32 v9, v9, v16, vcc
; %bb.1881:                             ;   in Loop: Header=BB4_1416 Depth=2
	s_or_b64 exec, exec, s[40:41]
	v_and_b32_e32 v0, 0xffff0000, v0
	v_mul_f32_e32 v16, v21, v0
	v_and_b32_e32 v0, 0x7f800000, v16
	v_cmp_ne_u32_e32 vcc, s46, v0
                                        ; implicit-def: $vgpr0
	s_and_saveexec_b64 s[8:9], vcc
	s_xor_b64 s[40:41], exec, s[8:9]
; %bb.1882:                             ;   in Loop: Header=BB4_1416 Depth=2
	v_bfe_u32 v0, v16, 16, 1
	v_add3_u32 v0, v16, v0, s47
                                        ; implicit-def: $vgpr16
; %bb.1883:                             ;   in Loop: Header=BB4_1416 Depth=2
	s_andn2_saveexec_b64 s[40:41], s[40:41]
; %bb.1884:                             ;   in Loop: Header=BB4_1416 Depth=2
	v_or_b32_e32 v0, 0x10000, v16
	v_cmp_eq_u32_sdwa vcc, v16, v2 src0_sel:WORD_0 src1_sel:DWORD
	v_cndmask_b32_e32 v0, v0, v16, vcc
; %bb.1885:                             ;   in Loop: Header=BB4_1416 Depth=2
	s_or_b64 exec, exec, s[40:41]
	buffer_load_dword v17, off, s[0:3], s33 offset:112
	buffer_load_dword v16, off, s[0:3], s33 offset:116
	;; [unrolled: 1-line block ×4, first 2 shown]
	v_and_b32_e32 v10, 0xffff0000, v10
	s_waitcnt vmcnt(3)
	v_lshlrev_b32_e32 v25, 16, v17
	v_add_f32_e32 v25, v10, v25
	v_and_b32_e32 v10, 0x7f800000, v25
	v_cmp_ne_u32_e32 vcc, s46, v10
                                        ; implicit-def: $vgpr10
	s_and_saveexec_b64 s[8:9], vcc
	s_xor_b64 s[40:41], exec, s[8:9]
; %bb.1886:                             ;   in Loop: Header=BB4_1416 Depth=2
	v_bfe_u32 v10, v25, 16, 1
	v_add3_u32 v10, v25, v10, s47
                                        ; implicit-def: $vgpr25
; %bb.1887:                             ;   in Loop: Header=BB4_1416 Depth=2
	s_andn2_saveexec_b64 s[40:41], s[40:41]
; %bb.1888:                             ;   in Loop: Header=BB4_1416 Depth=2
	v_or_b32_e32 v10, 0x10000, v25
	v_cmp_eq_u32_sdwa vcc, v25, v2 src0_sel:WORD_0 src1_sel:DWORD
	v_cndmask_b32_e32 v10, v10, v25, vcc
; %bb.1889:                             ;   in Loop: Header=BB4_1416 Depth=2
	s_or_b64 exec, exec, s[40:41]
	v_and_b32_e32 v20, 0xffff0000, v20
	v_and_b32_e32 v17, 0xffff0000, v17
	v_add_f32_e32 v17, v20, v17
	v_and_b32_e32 v20, 0x7f800000, v17
	v_cmp_ne_u32_e32 vcc, s46, v20
                                        ; implicit-def: $vgpr20
	s_and_saveexec_b64 s[8:9], vcc
	s_xor_b64 s[40:41], exec, s[8:9]
; %bb.1890:                             ;   in Loop: Header=BB4_1416 Depth=2
	v_bfe_u32 v20, v17, 16, 1
	v_add3_u32 v20, v17, v20, s47
                                        ; implicit-def: $vgpr17
; %bb.1891:                             ;   in Loop: Header=BB4_1416 Depth=2
	s_andn2_saveexec_b64 s[40:41], s[40:41]
; %bb.1892:                             ;   in Loop: Header=BB4_1416 Depth=2
	v_or_b32_e32 v20, 0x10000, v17
	v_cmp_eq_u32_sdwa vcc, v17, v2 src0_sel:WORD_0 src1_sel:DWORD
	v_cndmask_b32_e32 v20, v20, v17, vcc
; %bb.1893:                             ;   in Loop: Header=BB4_1416 Depth=2
	s_or_b64 exec, exec, s[40:41]
	v_and_b32_e32 v15, 0xffff0000, v15
	s_waitcnt vmcnt(2)
	v_lshlrev_b32_e32 v17, 16, v16
	v_add_f32_e32 v17, v15, v17
	v_and_b32_e32 v15, 0x7f800000, v17
	v_cmp_ne_u32_e32 vcc, s46, v15
                                        ; implicit-def: $vgpr15
	s_and_saveexec_b64 s[8:9], vcc
	s_xor_b64 s[40:41], exec, s[8:9]
; %bb.1894:                             ;   in Loop: Header=BB4_1416 Depth=2
	v_bfe_u32 v15, v17, 16, 1
	v_add3_u32 v15, v17, v15, s47
                                        ; implicit-def: $vgpr17
; %bb.1895:                             ;   in Loop: Header=BB4_1416 Depth=2
	s_andn2_saveexec_b64 s[40:41], s[40:41]
; %bb.1896:                             ;   in Loop: Header=BB4_1416 Depth=2
	v_or_b32_e32 v15, 0x10000, v17
	v_cmp_eq_u32_sdwa vcc, v17, v2 src0_sel:WORD_0 src1_sel:DWORD
	v_cndmask_b32_e32 v15, v15, v17, vcc
; %bb.1897:                             ;   in Loop: Header=BB4_1416 Depth=2
	s_or_b64 exec, exec, s[40:41]
	v_and_b32_e32 v16, 0xffff0000, v16
	v_and_b32_e32 v11, 0xffff0000, v11
	v_add_f32_e32 v16, v11, v16
	v_and_b32_e32 v11, 0x7f800000, v16
	v_cmp_ne_u32_e32 vcc, s46, v11
                                        ; implicit-def: $vgpr11
	s_and_saveexec_b64 s[8:9], vcc
	s_xor_b64 s[40:41], exec, s[8:9]
; %bb.1898:                             ;   in Loop: Header=BB4_1416 Depth=2
	v_bfe_u32 v11, v16, 16, 1
	v_add3_u32 v11, v16, v11, s47
                                        ; implicit-def: $vgpr16
; %bb.1899:                             ;   in Loop: Header=BB4_1416 Depth=2
	s_andn2_saveexec_b64 s[40:41], s[40:41]
; %bb.1900:                             ;   in Loop: Header=BB4_1416 Depth=2
	v_or_b32_e32 v11, 0x10000, v16
	v_cmp_eq_u32_sdwa vcc, v16, v2 src0_sel:WORD_0 src1_sel:DWORD
	v_cndmask_b32_e32 v11, v11, v16, vcc
; %bb.1901:                             ;   in Loop: Header=BB4_1416 Depth=2
	s_or_b64 exec, exec, s[40:41]
	v_and_b32_e32 v13, 0xffff0000, v13
	s_waitcnt vmcnt(1)
	v_lshlrev_b32_e32 v16, 16, v24
	v_add_f32_e32 v16, v13, v16
	v_and_b32_e32 v13, 0x7f800000, v16
	v_cmp_ne_u32_e32 vcc, s46, v13
                                        ; implicit-def: $vgpr13
	s_and_saveexec_b64 s[8:9], vcc
	s_xor_b64 s[40:41], exec, s[8:9]
; %bb.1902:                             ;   in Loop: Header=BB4_1416 Depth=2
	v_bfe_u32 v13, v16, 16, 1
	v_add3_u32 v13, v16, v13, s47
                                        ; implicit-def: $vgpr16
; %bb.1903:                             ;   in Loop: Header=BB4_1416 Depth=2
	s_andn2_saveexec_b64 s[40:41], s[40:41]
; %bb.1904:                             ;   in Loop: Header=BB4_1416 Depth=2
	v_or_b32_e32 v13, 0x10000, v16
	v_cmp_eq_u32_sdwa vcc, v16, v2 src0_sel:WORD_0 src1_sel:DWORD
	v_cndmask_b32_e32 v13, v13, v16, vcc
; %bb.1905:                             ;   in Loop: Header=BB4_1416 Depth=2
	s_or_b64 exec, exec, s[40:41]
	v_and_b32_e32 v16, 0xffff0000, v24
	v_and_b32_e32 v8, 0xffff0000, v8
	v_add_f32_e32 v8, v8, v16
	v_and_b32_e32 v16, 0x7f800000, v8
	v_cmp_ne_u32_e32 vcc, s46, v16
                                        ; implicit-def: $vgpr16
	s_and_saveexec_b64 s[8:9], vcc
	s_xor_b64 s[40:41], exec, s[8:9]
; %bb.1906:                             ;   in Loop: Header=BB4_1416 Depth=2
	v_bfe_u32 v16, v8, 16, 1
	v_add3_u32 v16, v8, v16, s47
                                        ; implicit-def: $vgpr8
; %bb.1907:                             ;   in Loop: Header=BB4_1416 Depth=2
	s_andn2_saveexec_b64 s[40:41], s[40:41]
; %bb.1908:                             ;   in Loop: Header=BB4_1416 Depth=2
	v_or_b32_e32 v16, 0x10000, v8
	v_cmp_eq_u32_sdwa vcc, v8, v2 src0_sel:WORD_0 src1_sel:DWORD
	v_cndmask_b32_e32 v16, v16, v8, vcc
; %bb.1909:                             ;   in Loop: Header=BB4_1416 Depth=2
	s_or_b64 exec, exec, s[40:41]
	v_and_b32_e32 v8, 0xffff0000, v9
	s_waitcnt vmcnt(0)
	v_lshlrev_b32_e32 v9, 16, v21
	v_add_f32_e32 v8, v8, v9
	v_and_b32_e32 v9, 0x7f800000, v8
	v_cmp_ne_u32_e32 vcc, s46, v9
                                        ; implicit-def: $vgpr17
	s_and_saveexec_b64 s[8:9], vcc
	s_xor_b64 s[40:41], exec, s[8:9]
; %bb.1910:                             ;   in Loop: Header=BB4_1416 Depth=2
	v_bfe_u32 v9, v8, 16, 1
	v_add3_u32 v17, v8, v9, s47
                                        ; implicit-def: $vgpr8
; %bb.1911:                             ;   in Loop: Header=BB4_1416 Depth=2
	s_andn2_saveexec_b64 s[40:41], s[40:41]
; %bb.1912:                             ;   in Loop: Header=BB4_1416 Depth=2
	v_or_b32_e32 v9, 0x10000, v8
	v_cmp_eq_u32_sdwa vcc, v8, v2 src0_sel:WORD_0 src1_sel:DWORD
	v_cndmask_b32_e32 v17, v9, v8, vcc
; %bb.1913:                             ;   in Loop: Header=BB4_1416 Depth=2
	s_or_b64 exec, exec, s[40:41]
	v_and_b32_e32 v8, 0xffff0000, v21
	v_and_b32_e32 v0, 0xffff0000, v0
	v_add_f32_e32 v8, v0, v8
	v_and_b32_e32 v0, 0x7f800000, v8
	v_cmp_ne_u32_e32 vcc, s46, v0
                                        ; implicit-def: $vgpr0
	s_and_saveexec_b64 s[8:9], vcc
	s_xor_b64 s[40:41], exec, s[8:9]
; %bb.1914:                             ;   in Loop: Header=BB4_1416 Depth=2
	v_bfe_u32 v0, v8, 16, 1
	v_add3_u32 v0, v8, v0, s47
                                        ; implicit-def: $vgpr8
; %bb.1915:                             ;   in Loop: Header=BB4_1416 Depth=2
	s_andn2_saveexec_b64 s[40:41], s[40:41]
; %bb.1916:                             ;   in Loop: Header=BB4_1416 Depth=2
	v_or_b32_e32 v0, 0x10000, v8
	v_cmp_eq_u32_sdwa vcc, v8, v2 src0_sel:WORD_0 src1_sel:DWORD
	v_cndmask_b32_e32 v0, v0, v8, vcc
; %bb.1917:                             ;   in Loop: Header=BB4_1416 Depth=2
	s_or_b64 exec, exec, s[40:41]
	v_lshrrev_b32_e32 v8, 16, v15
	v_and_or_b32 v9, v11, s44, v8
	v_lshrrev_b32_e32 v8, 16, v10
	v_lshrrev_b32_e32 v10, 16, v13
	;; [unrolled: 1-line block ×3, first 2 shown]
	v_and_or_b32 v8, v20, s44, v8
	v_and_or_b32 v10, v16, s44, v10
	;; [unrolled: 1-line block ×3, first 2 shown]
	s_mov_b64 s[30:31], 0
	s_mov_b64 s[94:95], -1
.LBB4_1918:                             ;   Parent Loop BB4_47 Depth=1
                                        ;     Parent Loop BB4_1416 Depth=2
                                        ; =>    This Inner Loop Header: Depth=3
	s_cmp_eq_u32 s30, 1
	s_cselect_b64 s[40:41], -1, 0
	v_cndmask_b32_e64 v15, v31, v51, s[40:41]
	v_cndmask_b32_e64 v16, v50, v52, s[40:41]
	v_add_co_u32_e32 v0, vcc, 0x400, v15
	s_cmp_eq_u32 s30, 0
	v_addc_co_u32_e32 v13, vcc, 0, v16, vcc
	s_cselect_b64 vcc, -1, 0
	s_and_b64 s[42:43], exec, s[94:95]
	s_mov_b64 s[30:31], 1
	v_cndmask_b32_e64 v51, v51, v0, s[40:41]
	s_mov_b64 s[94:95], 0
	v_cndmask_b32_e64 v52, v52, v13, s[40:41]
	v_cndmask_b32_e32 v50, v50, v13, vcc
	v_cndmask_b32_e32 v31, v31, v0, vcc
	s_mov_b64 vcc, s[42:43]
	global_store_dwordx4 v[15:16], v[8:11], off glc slc
	s_cbranch_vccnz .LBB4_1918
.LBB4_1919:                             ;   in Loop: Header=BB4_1416 Depth=2
	s_or_b64 exec, exec, s[92:93]
	v_and_b32_e32 v3, 14, v3
	v_cndmask_b32_e64 v50, v29, v3, s[28:29]
	v_cmp_ne_u32_e32 vcc, 0, v50
	s_mov_b64 s[40:41], s[88:89]
                                        ; implicit-def: $vgpr31
                                        ; implicit-def: $vgpr0
                                        ; implicit-def: $vgpr51
	s_and_saveexec_b64 s[42:43], vcc
	s_cbranch_execz .LBB4_1921
; %bb.1920:                             ;   in Loop: Header=BB4_1416 Depth=2
	v_sub_u32_e32 v0, v29, v3
	v_cndmask_b32_e64 v0, 0, v0, s[28:29]
	v_cmp_lt_i32_e32 vcc, 0, v30
	v_add3_u32 v31, v27, v4, v0
	v_cndmask_b32_e32 v0, 0, v59, vcc
	v_sub_u32_e32 v0, v0, v30
	v_lshl_add_u32 v0, v0, 6, v26
	v_ashrrev_i32_e32 v3, 31, v0
	v_lshrrev_b32_e32 v3, 26, v3
	v_add_u32_e32 v3, v0, v3
	v_and_b32_e32 v3, 0xffffffc0, v3
	v_sub_u32_e32 v51, v0, v3
	s_or_b64 s[40:41], s[88:89], exec
.LBB4_1921:                             ;   in Loop: Header=BB4_1416 Depth=2
	s_or_b64 exec, exec, s[42:43]
	s_andn2_b64 s[8:9], s[88:89], exec
	s_and_b64 s[28:29], s[40:41], exec
	s_or_b64 s[88:89], s[8:9], s[28:29]
.LBB4_1922:                             ;   in Loop: Header=BB4_1416 Depth=2
	s_or_b64 exec, exec, s[90:91]
	s_and_saveexec_b64 s[42:43], s[88:89]
	s_cbranch_execz .LBB4_2075
.LBB4_1923:                             ;   in Loop: Header=BB4_1416 Depth=2
	buffer_load_dword v8, off, s[0:3], s33 offset:244 ; 4-byte Folded Reload
	buffer_load_dword v9, off, s[0:3], s33 offset:248 ; 4-byte Folded Reload
	s_waitcnt vmcnt(0)
	v_ashrrev_i32_e32 v3, 31, v0
	v_lshrrev_b32_e32 v3, 26, v3
	v_add_u32_e32 v0, v0, v3
	v_ashrrev_i32_e32 v0, 6, v0
	v_lshlrev_b32_e32 v3, 9, v0
	s_waitcnt vmcnt(2)
	v_lshlrev_b32_e32 v4, 1, v51
	v_add3_u32 v26, v31, v4, v3
	v_ashrrev_i32_e32 v3, 31, v50
	v_lshrrev_b32_e32 v3, 23, v3
	v_ashrrev_i32_e32 v27, 31, v26
	v_add_u32_e32 v3, v50, v3
	v_ashrrev_i32_e32 v3, 9, v3
	v_sub_u32_e32 v4, v3, v0
	s_waitcnt lgkmcnt(0)
	v_mov_b32_e32 v24, 0
	s_mov_b64 s[40:41], 0
	v_mov_b32_e32 v17, 0
	v_mov_b32_e32 v16, 0
	;; [unrolled: 1-line block ×7, first 2 shown]
	s_waitcnt vmcnt(1)
	v_add_co_u32_e32 v8, vcc, v8, v26
	s_waitcnt vmcnt(0)
	v_addc_co_u32_e32 v9, vcc, v9, v27, vcc
	v_add_co_u32_e32 v10, vcc, v22, v26
	v_addc_co_u32_e32 v11, vcc, v23, v27, vcc
	v_cmp_lt_i32_e32 vcc, 0, v4
	s_and_saveexec_b64 s[28:29], vcc
	s_cbranch_execz .LBB4_1997
; %bb.1924:                             ;   in Loop: Header=BB4_1416 Depth=2
	s_trap 2
	ds_read_b64 v[15:16], v0
	v_add_co_u32_e32 v24, vcc, v26, v18
	v_addc_co_u32_e32 v25, vcc, v27, v19, vcc
	s_waitcnt lgkmcnt(0)
	v_add_co_u32_e32 v26, vcc, v15, v26
	v_mov_b32_e32 v48, v60
	v_addc_co_u32_e32 v27, vcc, v16, v27, vcc
	s_mov_b64 s[90:91], 0
	s_mov_b64 s[88:89], 0
                                        ; implicit-def: $sgpr40_sgpr41
                                        ; implicit-def: $vgpr15
                                        ; implicit-def: $vgpr20
                                        ; implicit-def: $vgpr61
                                        ; implicit-def: $vgpr57
                                        ; implicit-def: $vgpr29
                                        ; implicit-def: $vgpr30
                                        ; implicit-def: $vgpr52
                                        ; implicit-def: $vgpr53
	s_branch .LBB4_1926
.LBB4_1925:                             ;   in Loop: Header=BB4_1926 Depth=3
	s_or_b64 exec, exec, s[92:93]
	v_cmp_gt_i32_e32 vcc, 1, v4
	s_or_b64 s[88:89], vcc, s[88:89]
	s_andn2_b64 s[8:9], s[40:41], exec
	s_and_b64 s[40:41], s[90:91], exec
	s_or_b64 s[40:41], s[8:9], s[40:41]
	s_andn2_b64 exec, exec, s[88:89]
	s_cbranch_execz .LBB4_1996
.LBB4_1926:                             ;   Parent Loop BB4_47 Depth=1
                                        ;     Parent Loop BB4_1416 Depth=2
                                        ; =>    This Inner Loop Header: Depth=3
	flat_load_ushort v34, v[24:25] glc slc
	flat_load_ushort v0, v[24:25] offset:128 glc slc
	flat_load_ushort v44, v[24:25] offset:256 glc slc
	;; [unrolled: 1-line block ×3, first 2 shown]
	flat_load_ushort v21, v[26:27] glc slc
	flat_load_ushort v13, v[26:27] offset:128 glc slc
	flat_load_ushort v60, v[26:27] offset:256 glc slc
	;; [unrolled: 1-line block ×3, first 2 shown]
	s_and_saveexec_b64 s[92:93], s[90:91]
	s_cbranch_execz .LBB4_1960
; %bb.1927:                             ;   in Loop: Header=BB4_1926 Depth=3
	s_trap 2
	s_waitcnt vmcnt(0) lgkmcnt(0)
	ds_read_b32 v16, v0
	v_lshlrev_b32_e32 v15, 16, v15
	s_waitcnt lgkmcnt(0)
	v_lshlrev_b32_e32 v17, 16, v16
	v_mul_f32_e32 v16, v15, v17
	v_and_b32_e32 v15, 0x7f800000, v16
	v_cmp_ne_u32_e32 vcc, s46, v15
                                        ; implicit-def: $vgpr15
	s_and_saveexec_b64 s[8:9], vcc
	s_xor_b64 s[90:91], exec, s[8:9]
; %bb.1928:                             ;   in Loop: Header=BB4_1926 Depth=3
	v_bfe_u32 v15, v16, 16, 1
	v_add3_u32 v15, v16, v15, s47
                                        ; implicit-def: $vgpr16
; %bb.1929:                             ;   in Loop: Header=BB4_1926 Depth=3
	s_andn2_saveexec_b64 s[90:91], s[90:91]
; %bb.1930:                             ;   in Loop: Header=BB4_1926 Depth=3
	v_or_b32_e32 v15, 0x10000, v16
	v_cmp_eq_u32_sdwa vcc, v16, v2 src0_sel:WORD_0 src1_sel:DWORD
	v_cndmask_b32_e32 v15, v15, v16, vcc
; %bb.1931:                             ;   in Loop: Header=BB4_1926 Depth=3
	s_or_b64 exec, exec, s[90:91]
	v_lshlrev_b32_e32 v16, 16, v20
	v_mul_f32_e32 v20, v16, v17
	v_and_b32_e32 v16, 0x7f800000, v20
	v_cmp_ne_u32_e32 vcc, s46, v16
                                        ; implicit-def: $vgpr16
	s_and_saveexec_b64 s[8:9], vcc
	s_xor_b64 s[90:91], exec, s[8:9]
; %bb.1932:                             ;   in Loop: Header=BB4_1926 Depth=3
	v_bfe_u32 v16, v20, 16, 1
	v_add3_u32 v16, v20, v16, s47
                                        ; implicit-def: $vgpr20
; %bb.1933:                             ;   in Loop: Header=BB4_1926 Depth=3
	s_andn2_saveexec_b64 s[90:91], s[90:91]
; %bb.1934:                             ;   in Loop: Header=BB4_1926 Depth=3
	v_or_b32_e32 v16, 0x10000, v20
	v_cmp_eq_u32_sdwa vcc, v20, v2 src0_sel:WORD_0 src1_sel:DWORD
	v_cndmask_b32_e32 v16, v16, v20, vcc
; %bb.1935:                             ;   in Loop: Header=BB4_1926 Depth=3
	s_or_b64 exec, exec, s[90:91]
	v_lshlrev_b32_e32 v20, 16, v61
	v_mul_f32_e32 v20, v20, v17
	v_and_b32_e32 v35, 0x7f800000, v20
	v_cmp_ne_u32_e32 vcc, s46, v35
                                        ; implicit-def: $vgpr35
	s_and_saveexec_b64 s[8:9], vcc
	s_xor_b64 s[90:91], exec, s[8:9]
; %bb.1936:                             ;   in Loop: Header=BB4_1926 Depth=3
	v_bfe_u32 v35, v20, 16, 1
	v_add3_u32 v35, v20, v35, s47
                                        ; implicit-def: $vgpr20
; %bb.1937:                             ;   in Loop: Header=BB4_1926 Depth=3
	s_andn2_saveexec_b64 s[90:91], s[90:91]
; %bb.1938:                             ;   in Loop: Header=BB4_1926 Depth=3
	v_or_b32_e32 v35, 0x10000, v20
	v_cmp_eq_u32_sdwa vcc, v20, v2 src0_sel:WORD_0 src1_sel:DWORD
	v_cndmask_b32_e32 v35, v35, v20, vcc
; %bb.1939:                             ;   in Loop: Header=BB4_1926 Depth=3
	s_or_b64 exec, exec, s[90:91]
	v_lshlrev_b32_e32 v20, 16, v57
	v_mul_f32_e32 v17, v20, v17
	v_and_b32_e32 v20, 0x7f800000, v17
	v_cmp_ne_u32_e32 vcc, s46, v20
                                        ; implicit-def: $vgpr20
	s_and_saveexec_b64 s[8:9], vcc
	s_xor_b64 s[90:91], exec, s[8:9]
; %bb.1940:                             ;   in Loop: Header=BB4_1926 Depth=3
	v_bfe_u32 v20, v17, 16, 1
	v_add3_u32 v20, v17, v20, s47
                                        ; implicit-def: $vgpr17
; %bb.1941:                             ;   in Loop: Header=BB4_1926 Depth=3
	s_andn2_saveexec_b64 s[90:91], s[90:91]
; %bb.1942:                             ;   in Loop: Header=BB4_1926 Depth=3
	v_or_b32_e32 v20, 0x10000, v17
	v_cmp_eq_u32_sdwa vcc, v17, v2 src0_sel:WORD_0 src1_sel:DWORD
	v_cndmask_b32_e32 v20, v20, v17, vcc
; %bb.1943:                             ;   in Loop: Header=BB4_1926 Depth=3
	s_or_b64 exec, exec, s[90:91]
	v_and_b32_e32 v15, 0xffff0000, v15
	v_lshlrev_b32_e32 v17, 16, v29
	v_add_f32_e32 v17, v17, v15
	v_and_b32_e32 v15, 0x7f800000, v17
	v_cmp_ne_u32_e32 vcc, s46, v15
                                        ; implicit-def: $vgpr15
	s_and_saveexec_b64 s[8:9], vcc
	s_xor_b64 s[90:91], exec, s[8:9]
; %bb.1944:                             ;   in Loop: Header=BB4_1926 Depth=3
	v_bfe_u32 v15, v17, 16, 1
	v_add3_u32 v15, v17, v15, s47
                                        ; implicit-def: $vgpr17
; %bb.1945:                             ;   in Loop: Header=BB4_1926 Depth=3
	s_andn2_saveexec_b64 s[90:91], s[90:91]
; %bb.1946:                             ;   in Loop: Header=BB4_1926 Depth=3
	v_or_b32_e32 v15, 0x10000, v17
	v_cmp_eq_u32_sdwa vcc, v17, v2 src0_sel:WORD_0 src1_sel:DWORD
	v_cndmask_b32_e32 v15, v15, v17, vcc
; %bb.1947:                             ;   in Loop: Header=BB4_1926 Depth=3
	s_or_b64 exec, exec, s[90:91]
	v_and_b32_e32 v16, 0xffff0000, v16
	v_lshlrev_b32_e32 v17, 16, v30
	v_add_f32_e32 v17, v17, v16
	v_and_b32_e32 v16, 0x7f800000, v17
	v_cmp_ne_u32_e32 vcc, s46, v16
                                        ; implicit-def: $vgpr16
	s_and_saveexec_b64 s[8:9], vcc
	s_xor_b64 s[90:91], exec, s[8:9]
; %bb.1948:                             ;   in Loop: Header=BB4_1926 Depth=3
	v_bfe_u32 v16, v17, 16, 1
	v_add3_u32 v16, v17, v16, s47
                                        ; implicit-def: $vgpr17
; %bb.1949:                             ;   in Loop: Header=BB4_1926 Depth=3
	s_andn2_saveexec_b64 s[90:91], s[90:91]
; %bb.1950:                             ;   in Loop: Header=BB4_1926 Depth=3
	v_or_b32_e32 v16, 0x10000, v17
	v_cmp_eq_u32_sdwa vcc, v17, v2 src0_sel:WORD_0 src1_sel:DWORD
	v_cndmask_b32_e32 v16, v16, v17, vcc
; %bb.1951:                             ;   in Loop: Header=BB4_1926 Depth=3
	s_or_b64 exec, exec, s[90:91]
	v_and_b32_e32 v17, 0xffff0000, v35
	v_lshlrev_b32_e32 v35, 16, v52
	v_add_f32_e32 v35, v35, v17
	v_and_b32_e32 v17, 0x7f800000, v35
	v_cmp_ne_u32_e32 vcc, s46, v17
                                        ; implicit-def: $vgpr17
	s_and_saveexec_b64 s[8:9], vcc
	s_xor_b64 s[90:91], exec, s[8:9]
; %bb.1952:                             ;   in Loop: Header=BB4_1926 Depth=3
	v_bfe_u32 v17, v35, 16, 1
	v_add3_u32 v17, v35, v17, s47
                                        ; implicit-def: $vgpr35
; %bb.1953:                             ;   in Loop: Header=BB4_1926 Depth=3
	s_andn2_saveexec_b64 s[90:91], s[90:91]
; %bb.1954:                             ;   in Loop: Header=BB4_1926 Depth=3
	v_or_b32_e32 v17, 0x10000, v35
	v_cmp_eq_u32_sdwa vcc, v35, v2 src0_sel:WORD_0 src1_sel:DWORD
	v_cndmask_b32_e32 v17, v17, v35, vcc
; %bb.1955:                             ;   in Loop: Header=BB4_1926 Depth=3
	s_or_b64 exec, exec, s[90:91]
	v_and_b32_e32 v20, 0xffff0000, v20
	v_lshlrev_b32_e32 v35, 16, v53
	v_add_f32_e32 v20, v35, v20
	v_and_b32_e32 v35, 0x7f800000, v20
	v_cmp_ne_u32_e32 vcc, s46, v35
                                        ; implicit-def: $vgpr35
	s_and_saveexec_b64 s[8:9], vcc
	s_xor_b64 s[90:91], exec, s[8:9]
; %bb.1956:                             ;   in Loop: Header=BB4_1926 Depth=3
	v_bfe_u32 v35, v20, 16, 1
	v_add3_u32 v35, v20, v35, s47
                                        ; implicit-def: $vgpr20
; %bb.1957:                             ;   in Loop: Header=BB4_1926 Depth=3
	s_andn2_saveexec_b64 s[90:91], s[90:91]
; %bb.1958:                             ;   in Loop: Header=BB4_1926 Depth=3
	v_or_b32_e32 v35, 0x10000, v20
	v_cmp_eq_u32_sdwa vcc, v20, v2 src0_sel:WORD_0 src1_sel:DWORD
	v_cndmask_b32_e32 v35, v35, v20, vcc
; %bb.1959:                             ;   in Loop: Header=BB4_1926 Depth=3
	s_or_b64 exec, exec, s[90:91]
	v_lshrrev_b32_e32 v15, 16, v15
	v_lshrrev_b32_e32 v61, 16, v17
	;; [unrolled: 1-line block ×4, first 2 shown]
	flat_store_short v[8:9], v15 glc slc
	flat_store_short v[8:9], v20 offset:128 glc slc
	flat_store_short v[8:9], v61 offset:256 glc slc
	;; [unrolled: 1-line block ×3, first 2 shown]
	flat_store_short v[10:11], v15 glc slc
	flat_store_short v[10:11], v20 offset:128 glc slc
	flat_store_short v[10:11], v61 offset:256 glc slc
	;; [unrolled: 1-line block ×3, first 2 shown]
	v_add_co_u32_e32 v8, vcc, v8, v1
	v_addc_co_u32_e32 v9, vcc, v9, v42, vcc
	v_add_co_u32_e32 v10, vcc, v10, v1
	v_addc_co_u32_e32 v11, vcc, v11, v42, vcc
.LBB4_1960:                             ;   in Loop: Header=BB4_1926 Depth=3
	s_or_b64 exec, exec, s[92:93]
	v_add_co_u32_e32 v24, vcc, v24, v1
	v_addc_co_u32_e32 v25, vcc, v25, v42, vcc
	v_add_co_u32_e32 v26, vcc, v26, v1
	v_sub_u32_e32 v4, v4, v59
	v_addc_co_u32_e32 v27, vcc, v27, v42, vcc
	v_cmp_lt_i32_e64 s[90:91], 0, v4
	s_and_saveexec_b64 s[92:93], s[90:91]
	s_cbranch_execz .LBB4_1962
; %bb.1961:                             ;   in Loop: Header=BB4_1926 Depth=3
	flat_load_ushort v15, v[24:25] glc slc
	flat_load_ushort v20, v[24:25] offset:128 glc slc
	flat_load_ushort v61, v[24:25] offset:256 glc slc
	;; [unrolled: 1-line block ×3, first 2 shown]
	flat_load_ushort v29, v[26:27] glc slc
	flat_load_ushort v30, v[26:27] offset:128 glc slc
	flat_load_ushort v52, v[26:27] offset:256 glc slc
	;; [unrolled: 1-line block ×3, first 2 shown]
	v_add_co_u32_e32 v24, vcc, 0x200, v24
	v_addc_co_u32_e32 v25, vcc, 0, v25, vcc
	v_add_co_u32_e32 v26, vcc, 0x200, v26
	v_addc_co_u32_e32 v27, vcc, 0, v27, vcc
.LBB4_1962:                             ;   in Loop: Header=BB4_1926 Depth=3
	s_or_b64 exec, exec, s[92:93]
	s_trap 2
	s_waitcnt vmcnt(0) lgkmcnt(0)
	ds_read_b32 v16, v0
	s_waitcnt lgkmcnt(0)
	v_lshlrev_b32_e32 v35, 16, v16
	v_lshlrev_b32_e32 v16, 16, v34
	v_mul_f32_e32 v16, v16, v35
	v_and_b32_e32 v17, 0x7f800000, v16
	v_cmp_ne_u32_e32 vcc, s46, v17
                                        ; implicit-def: $vgpr17
	s_and_saveexec_b64 s[8:9], vcc
	s_xor_b64 s[92:93], exec, s[8:9]
; %bb.1963:                             ;   in Loop: Header=BB4_1926 Depth=3
	v_bfe_u32 v17, v16, 16, 1
	v_add3_u32 v17, v16, v17, s47
                                        ; implicit-def: $vgpr16
; %bb.1964:                             ;   in Loop: Header=BB4_1926 Depth=3
	s_andn2_saveexec_b64 s[92:93], s[92:93]
; %bb.1965:                             ;   in Loop: Header=BB4_1926 Depth=3
	v_or_b32_e32 v17, 0x10000, v16
	v_cmp_eq_u32_sdwa vcc, v16, v2 src0_sel:WORD_0 src1_sel:DWORD
	v_cndmask_b32_e32 v17, v17, v16, vcc
; %bb.1966:                             ;   in Loop: Header=BB4_1926 Depth=3
	s_or_b64 exec, exec, s[92:93]
	v_lshlrev_b32_e32 v0, 16, v0
	v_mul_f32_e32 v0, v0, v35
	v_and_b32_e32 v16, 0x7f800000, v0
	v_cmp_ne_u32_e32 vcc, s46, v16
                                        ; implicit-def: $vgpr16
	s_and_saveexec_b64 s[8:9], vcc
	s_xor_b64 s[92:93], exec, s[8:9]
; %bb.1967:                             ;   in Loop: Header=BB4_1926 Depth=3
	v_bfe_u32 v16, v0, 16, 1
	v_add3_u32 v16, v0, v16, s47
                                        ; implicit-def: $vgpr0
; %bb.1968:                             ;   in Loop: Header=BB4_1926 Depth=3
	s_andn2_saveexec_b64 s[92:93], s[92:93]
; %bb.1969:                             ;   in Loop: Header=BB4_1926 Depth=3
	v_or_b32_e32 v16, 0x10000, v0
	v_cmp_eq_u32_sdwa vcc, v0, v2 src0_sel:WORD_0 src1_sel:DWORD
	v_cndmask_b32_e32 v16, v16, v0, vcc
; %bb.1970:                             ;   in Loop: Header=BB4_1926 Depth=3
	s_or_b64 exec, exec, s[92:93]
	v_lshlrev_b32_e32 v0, 16, v44
	v_mul_f32_e32 v0, v0, v35
	v_and_b32_e32 v34, 0x7f800000, v0
	v_cmp_ne_u32_e32 vcc, s46, v34
                                        ; implicit-def: $vgpr34
	s_and_saveexec_b64 s[8:9], vcc
	s_xor_b64 s[92:93], exec, s[8:9]
; %bb.1971:                             ;   in Loop: Header=BB4_1926 Depth=3
	v_bfe_u32 v34, v0, 16, 1
	v_add3_u32 v34, v0, v34, s47
                                        ; implicit-def: $vgpr0
; %bb.1972:                             ;   in Loop: Header=BB4_1926 Depth=3
	s_andn2_saveexec_b64 s[92:93], s[92:93]
; %bb.1973:                             ;   in Loop: Header=BB4_1926 Depth=3
	v_or_b32_e32 v34, 0x10000, v0
	v_cmp_eq_u32_sdwa vcc, v0, v2 src0_sel:WORD_0 src1_sel:DWORD
	v_cndmask_b32_e32 v34, v34, v0, vcc
; %bb.1974:                             ;   in Loop: Header=BB4_1926 Depth=3
	s_or_b64 exec, exec, s[92:93]
	v_lshlrev_b32_e32 v0, 16, v28
	v_mul_f32_e32 v0, v0, v35
	v_and_b32_e32 v28, 0x7f800000, v0
	v_cmp_ne_u32_e32 vcc, s46, v28
                                        ; implicit-def: $vgpr28
	s_and_saveexec_b64 s[8:9], vcc
	s_xor_b64 s[92:93], exec, s[8:9]
; %bb.1975:                             ;   in Loop: Header=BB4_1926 Depth=3
	v_bfe_u32 v28, v0, 16, 1
	v_add3_u32 v28, v0, v28, s47
                                        ; implicit-def: $vgpr0
; %bb.1976:                             ;   in Loop: Header=BB4_1926 Depth=3
	s_andn2_saveexec_b64 s[92:93], s[92:93]
; %bb.1977:                             ;   in Loop: Header=BB4_1926 Depth=3
	v_or_b32_e32 v28, 0x10000, v0
	v_cmp_eq_u32_sdwa vcc, v0, v2 src0_sel:WORD_0 src1_sel:DWORD
	v_cndmask_b32_e32 v28, v28, v0, vcc
; %bb.1978:                             ;   in Loop: Header=BB4_1926 Depth=3
	s_or_b64 exec, exec, s[92:93]
	v_and_b32_e32 v0, 0xffff0000, v17
	v_lshlrev_b32_e32 v17, 16, v21
	v_add_f32_e32 v17, v17, v0
	v_and_b32_e32 v0, 0x7f800000, v17
	v_cmp_ne_u32_e32 vcc, s46, v0
                                        ; implicit-def: $vgpr0
	s_and_saveexec_b64 s[8:9], vcc
	s_xor_b64 s[92:93], exec, s[8:9]
; %bb.1979:                             ;   in Loop: Header=BB4_1926 Depth=3
	v_bfe_u32 v0, v17, 16, 1
	v_add3_u32 v0, v17, v0, s47
                                        ; implicit-def: $vgpr17
; %bb.1980:                             ;   in Loop: Header=BB4_1926 Depth=3
	s_andn2_saveexec_b64 s[92:93], s[92:93]
; %bb.1981:                             ;   in Loop: Header=BB4_1926 Depth=3
	v_or_b32_e32 v0, 0x10000, v17
	v_cmp_eq_u32_sdwa vcc, v17, v2 src0_sel:WORD_0 src1_sel:DWORD
	v_cndmask_b32_e32 v0, v0, v17, vcc
; %bb.1982:                             ;   in Loop: Header=BB4_1926 Depth=3
	s_or_b64 exec, exec, s[92:93]
	v_and_b32_e32 v16, 0xffff0000, v16
	v_lshlrev_b32_e32 v13, 16, v13
	v_add_f32_e32 v16, v13, v16
	v_and_b32_e32 v13, 0x7f800000, v16
	v_cmp_ne_u32_e32 vcc, s46, v13
                                        ; implicit-def: $vgpr13
	s_and_saveexec_b64 s[8:9], vcc
	s_xor_b64 s[92:93], exec, s[8:9]
; %bb.1983:                             ;   in Loop: Header=BB4_1926 Depth=3
	v_bfe_u32 v13, v16, 16, 1
	v_add3_u32 v13, v16, v13, s47
                                        ; implicit-def: $vgpr16
; %bb.1984:                             ;   in Loop: Header=BB4_1926 Depth=3
	s_andn2_saveexec_b64 s[92:93], s[92:93]
; %bb.1985:                             ;   in Loop: Header=BB4_1926 Depth=3
	v_or_b32_e32 v13, 0x10000, v16
	v_cmp_eq_u32_sdwa vcc, v16, v2 src0_sel:WORD_0 src1_sel:DWORD
	v_cndmask_b32_e32 v13, v13, v16, vcc
; %bb.1986:                             ;   in Loop: Header=BB4_1926 Depth=3
	s_or_b64 exec, exec, s[92:93]
	v_and_b32_e32 v16, 0xffff0000, v34
	v_lshlrev_b32_e32 v17, 16, v60
	v_add_f32_e32 v17, v17, v16
	v_and_b32_e32 v16, 0x7f800000, v17
	v_cmp_ne_u32_e32 vcc, s46, v16
                                        ; implicit-def: $vgpr16
	s_and_saveexec_b64 s[8:9], vcc
	s_xor_b64 s[92:93], exec, s[8:9]
; %bb.1987:                             ;   in Loop: Header=BB4_1926 Depth=3
	v_bfe_u32 v16, v17, 16, 1
	v_add3_u32 v16, v17, v16, s47
                                        ; implicit-def: $vgpr17
; %bb.1988:                             ;   in Loop: Header=BB4_1926 Depth=3
	s_andn2_saveexec_b64 s[92:93], s[92:93]
; %bb.1989:                             ;   in Loop: Header=BB4_1926 Depth=3
	v_or_b32_e32 v16, 0x10000, v17
	v_cmp_eq_u32_sdwa vcc, v17, v2 src0_sel:WORD_0 src1_sel:DWORD
	v_cndmask_b32_e32 v16, v16, v17, vcc
; %bb.1990:                             ;   in Loop: Header=BB4_1926 Depth=3
	s_or_b64 exec, exec, s[92:93]
	v_and_b32_e32 v17, 0xffff0000, v28
	v_lshlrev_b32_e32 v21, 16, v56
	v_add_f32_e32 v21, v21, v17
	v_and_b32_e32 v17, 0x7f800000, v21
	v_cmp_ne_u32_e32 vcc, s46, v17
                                        ; implicit-def: $vgpr17
	s_and_saveexec_b64 s[8:9], vcc
	s_xor_b64 s[92:93], exec, s[8:9]
; %bb.1991:                             ;   in Loop: Header=BB4_1926 Depth=3
	v_bfe_u32 v17, v21, 16, 1
	v_add3_u32 v17, v21, v17, s47
                                        ; implicit-def: $vgpr21
; %bb.1992:                             ;   in Loop: Header=BB4_1926 Depth=3
	s_andn2_saveexec_b64 s[92:93], s[92:93]
; %bb.1993:                             ;   in Loop: Header=BB4_1926 Depth=3
	v_or_b32_e32 v17, 0x10000, v21
	v_cmp_eq_u32_sdwa vcc, v21, v2 src0_sel:WORD_0 src1_sel:DWORD
	v_cndmask_b32_e32 v17, v17, v21, vcc
; %bb.1994:                             ;   in Loop: Header=BB4_1926 Depth=3
	s_or_b64 exec, exec, s[92:93]
	v_lshrrev_b32_e32 v0, 16, v0
	v_lshrrev_b32_e32 v16, 16, v16
	;; [unrolled: 1-line block ×4, first 2 shown]
	flat_store_short v[8:9], v0 glc slc
	flat_store_short v[8:9], v13 offset:128 glc slc
	flat_store_short v[8:9], v16 offset:256 glc slc
	;; [unrolled: 1-line block ×3, first 2 shown]
	v_add_co_u32_e32 v8, vcc, 0x200, v8
	v_addc_co_u32_e32 v9, vcc, 0, v9, vcc
	flat_store_short v[10:11], v0 glc slc
	flat_store_short v[10:11], v13 offset:128 glc slc
	flat_store_short v[10:11], v16 offset:256 glc slc
	;; [unrolled: 1-line block ×3, first 2 shown]
	v_add_co_u32_e32 v10, vcc, 0x200, v10
	v_addc_co_u32_e32 v11, vcc, 0, v11, vcc
	s_and_saveexec_b64 s[92:93], s[90:91]
	s_cbranch_execz .LBB4_1925
; %bb.1995:                             ;   in Loop: Header=BB4_1926 Depth=3
	v_add_co_u32_e32 v8, vcc, v8, v54
	v_addc_co_u32_e32 v9, vcc, v9, v55, vcc
	v_add_co_u32_e32 v10, vcc, v10, v54
	v_addc_co_u32_e32 v11, vcc, v11, v55, vcc
	;; [unrolled: 2-line block ×4, first 2 shown]
	v_sub_u32_e32 v4, v4, v59
	s_branch .LBB4_1925
.LBB4_1996:                             ;   in Loop: Header=BB4_1416 Depth=2
	s_or_b64 exec, exec, s[88:89]
	v_lshlrev_b32_e32 v24, 16, v15
	v_lshlrev_b32_e32 v17, 16, v20
	;; [unrolled: 1-line block ×8, first 2 shown]
	s_and_b64 s[40:41], s[40:41], exec
	v_mov_b32_e32 v60, v48
.LBB4_1997:                             ;   in Loop: Header=BB4_1416 Depth=2
	s_or_b64 exec, exec, s[28:29]
	s_and_saveexec_b64 s[28:29], s[40:41]
	s_cbranch_execz .LBB4_2031
; %bb.1998:                             ;   in Loop: Header=BB4_1416 Depth=2
	s_trap 2
	ds_read_b32 v25, v0
	s_waitcnt lgkmcnt(0)
	v_lshlrev_b32_e32 v26, 16, v25
	v_mul_f32_e32 v25, v24, v26
	v_and_b32_e32 v24, 0x7f800000, v25
	v_cmp_ne_u32_e32 vcc, s46, v24
                                        ; implicit-def: $vgpr24
	s_and_saveexec_b64 s[8:9], vcc
	s_xor_b64 s[40:41], exec, s[8:9]
; %bb.1999:                             ;   in Loop: Header=BB4_1416 Depth=2
	v_bfe_u32 v24, v25, 16, 1
	v_add3_u32 v24, v25, v24, s47
                                        ; implicit-def: $vgpr25
; %bb.2000:                             ;   in Loop: Header=BB4_1416 Depth=2
	s_andn2_saveexec_b64 s[40:41], s[40:41]
; %bb.2001:                             ;   in Loop: Header=BB4_1416 Depth=2
	v_or_b32_e32 v24, 0x10000, v25
	v_cmp_eq_u32_sdwa vcc, v25, v2 src0_sel:WORD_0 src1_sel:DWORD
	v_cndmask_b32_e32 v24, v24, v25, vcc
; %bb.2002:                             ;   in Loop: Header=BB4_1416 Depth=2
	s_or_b64 exec, exec, s[40:41]
	v_mul_f32_e32 v17, v17, v26
	v_and_b32_e32 v25, 0x7f800000, v17
	v_cmp_ne_u32_e32 vcc, s46, v25
                                        ; implicit-def: $vgpr25
	s_and_saveexec_b64 s[8:9], vcc
	s_xor_b64 s[40:41], exec, s[8:9]
; %bb.2003:                             ;   in Loop: Header=BB4_1416 Depth=2
	v_bfe_u32 v25, v17, 16, 1
	v_add3_u32 v25, v17, v25, s47
                                        ; implicit-def: $vgpr17
; %bb.2004:                             ;   in Loop: Header=BB4_1416 Depth=2
	s_andn2_saveexec_b64 s[40:41], s[40:41]
; %bb.2005:                             ;   in Loop: Header=BB4_1416 Depth=2
	v_or_b32_e32 v25, 0x10000, v17
	v_cmp_eq_u32_sdwa vcc, v17, v2 src0_sel:WORD_0 src1_sel:DWORD
	v_cndmask_b32_e32 v25, v25, v17, vcc
; %bb.2006:                             ;   in Loop: Header=BB4_1416 Depth=2
	s_or_b64 exec, exec, s[40:41]
	v_mul_f32_e32 v16, v16, v26
	v_and_b32_e32 v17, 0x7f800000, v16
	v_cmp_ne_u32_e32 vcc, s46, v17
                                        ; implicit-def: $vgpr17
	s_and_saveexec_b64 s[8:9], vcc
	s_xor_b64 s[40:41], exec, s[8:9]
; %bb.2007:                             ;   in Loop: Header=BB4_1416 Depth=2
	v_bfe_u32 v17, v16, 16, 1
	v_add3_u32 v17, v16, v17, s47
                                        ; implicit-def: $vgpr16
; %bb.2008:                             ;   in Loop: Header=BB4_1416 Depth=2
	s_andn2_saveexec_b64 s[40:41], s[40:41]
; %bb.2009:                             ;   in Loop: Header=BB4_1416 Depth=2
	v_or_b32_e32 v17, 0x10000, v16
	v_cmp_eq_u32_sdwa vcc, v16, v2 src0_sel:WORD_0 src1_sel:DWORD
	v_cndmask_b32_e32 v17, v17, v16, vcc
; %bb.2010:                             ;   in Loop: Header=BB4_1416 Depth=2
	s_or_b64 exec, exec, s[40:41]
	v_mul_f32_e32 v21, v21, v26
	v_and_b32_e32 v16, 0x7f800000, v21
	v_cmp_ne_u32_e32 vcc, s46, v16
                                        ; implicit-def: $vgpr16
	s_and_saveexec_b64 s[8:9], vcc
	s_xor_b64 s[40:41], exec, s[8:9]
; %bb.2011:                             ;   in Loop: Header=BB4_1416 Depth=2
	v_bfe_u32 v16, v21, 16, 1
	v_add3_u32 v16, v21, v16, s47
                                        ; implicit-def: $vgpr21
; %bb.2012:                             ;   in Loop: Header=BB4_1416 Depth=2
	s_andn2_saveexec_b64 s[40:41], s[40:41]
; %bb.2013:                             ;   in Loop: Header=BB4_1416 Depth=2
	v_or_b32_e32 v16, 0x10000, v21
	v_cmp_eq_u32_sdwa vcc, v21, v2 src0_sel:WORD_0 src1_sel:DWORD
	v_cndmask_b32_e32 v16, v16, v21, vcc
; %bb.2014:                             ;   in Loop: Header=BB4_1416 Depth=2
	s_or_b64 exec, exec, s[40:41]
	v_and_b32_e32 v21, 0xffff0000, v24
	v_add_f32_e32 v21, v20, v21
	v_and_b32_e32 v20, 0x7f800000, v21
	v_cmp_ne_u32_e32 vcc, s46, v20
                                        ; implicit-def: $vgpr20
	s_and_saveexec_b64 s[8:9], vcc
	s_xor_b64 s[40:41], exec, s[8:9]
; %bb.2015:                             ;   in Loop: Header=BB4_1416 Depth=2
	v_bfe_u32 v20, v21, 16, 1
	v_add3_u32 v20, v21, v20, s47
                                        ; implicit-def: $vgpr21
; %bb.2016:                             ;   in Loop: Header=BB4_1416 Depth=2
	s_andn2_saveexec_b64 s[40:41], s[40:41]
; %bb.2017:                             ;   in Loop: Header=BB4_1416 Depth=2
	v_or_b32_e32 v20, 0x10000, v21
	v_cmp_eq_u32_sdwa vcc, v21, v2 src0_sel:WORD_0 src1_sel:DWORD
	v_cndmask_b32_e32 v20, v20, v21, vcc
; %bb.2018:                             ;   in Loop: Header=BB4_1416 Depth=2
	s_or_b64 exec, exec, s[40:41]
	v_and_b32_e32 v21, 0xffff0000, v25
	v_add_f32_e32 v21, v15, v21
	v_and_b32_e32 v15, 0x7f800000, v21
	v_cmp_ne_u32_e32 vcc, s46, v15
                                        ; implicit-def: $vgpr15
	s_and_saveexec_b64 s[8:9], vcc
	s_xor_b64 s[40:41], exec, s[8:9]
; %bb.2019:                             ;   in Loop: Header=BB4_1416 Depth=2
	v_bfe_u32 v15, v21, 16, 1
	v_add3_u32 v15, v21, v15, s47
                                        ; implicit-def: $vgpr21
; %bb.2020:                             ;   in Loop: Header=BB4_1416 Depth=2
	s_andn2_saveexec_b64 s[40:41], s[40:41]
; %bb.2021:                             ;   in Loop: Header=BB4_1416 Depth=2
	v_or_b32_e32 v15, 0x10000, v21
	v_cmp_eq_u32_sdwa vcc, v21, v2 src0_sel:WORD_0 src1_sel:DWORD
	v_cndmask_b32_e32 v15, v15, v21, vcc
; %bb.2022:                             ;   in Loop: Header=BB4_1416 Depth=2
	s_or_b64 exec, exec, s[40:41]
	v_and_b32_e32 v17, 0xffff0000, v17
	v_add_f32_e32 v17, v13, v17
	v_and_b32_e32 v13, 0x7f800000, v17
	v_cmp_ne_u32_e32 vcc, s46, v13
                                        ; implicit-def: $vgpr13
	s_and_saveexec_b64 s[8:9], vcc
	s_xor_b64 s[40:41], exec, s[8:9]
; %bb.2023:                             ;   in Loop: Header=BB4_1416 Depth=2
	v_bfe_u32 v13, v17, 16, 1
	v_add3_u32 v13, v17, v13, s47
                                        ; implicit-def: $vgpr17
; %bb.2024:                             ;   in Loop: Header=BB4_1416 Depth=2
	s_andn2_saveexec_b64 s[40:41], s[40:41]
; %bb.2025:                             ;   in Loop: Header=BB4_1416 Depth=2
	v_or_b32_e32 v13, 0x10000, v17
	v_cmp_eq_u32_sdwa vcc, v17, v2 src0_sel:WORD_0 src1_sel:DWORD
	v_cndmask_b32_e32 v13, v13, v17, vcc
; %bb.2026:                             ;   in Loop: Header=BB4_1416 Depth=2
	s_or_b64 exec, exec, s[40:41]
	v_and_b32_e32 v16, 0xffff0000, v16
	v_add_f32_e32 v16, v0, v16
	v_and_b32_e32 v0, 0x7f800000, v16
	v_cmp_ne_u32_e32 vcc, s46, v0
                                        ; implicit-def: $vgpr0
	s_and_saveexec_b64 s[8:9], vcc
	s_xor_b64 s[40:41], exec, s[8:9]
; %bb.2027:                             ;   in Loop: Header=BB4_1416 Depth=2
	v_bfe_u32 v0, v16, 16, 1
	v_add3_u32 v0, v16, v0, s47
                                        ; implicit-def: $vgpr16
; %bb.2028:                             ;   in Loop: Header=BB4_1416 Depth=2
	s_andn2_saveexec_b64 s[40:41], s[40:41]
; %bb.2029:                             ;   in Loop: Header=BB4_1416 Depth=2
	v_or_b32_e32 v0, 0x10000, v16
	v_cmp_eq_u32_sdwa vcc, v16, v2 src0_sel:WORD_0 src1_sel:DWORD
	v_cndmask_b32_e32 v0, v0, v16, vcc
; %bb.2030:                             ;   in Loop: Header=BB4_1416 Depth=2
	s_or_b64 exec, exec, s[40:41]
	v_lshrrev_b32_e32 v16, 16, v20
	v_lshrrev_b32_e32 v13, 16, v13
	;; [unrolled: 1-line block ×4, first 2 shown]
	flat_store_short v[8:9], v16 glc slc
	flat_store_short v[8:9], v15 offset:128 glc slc
	flat_store_short v[8:9], v13 offset:256 glc slc
	;; [unrolled: 1-line block ×3, first 2 shown]
	flat_store_short v[10:11], v16 glc slc
	flat_store_short v[10:11], v15 offset:128 glc slc
	flat_store_short v[10:11], v13 offset:256 glc slc
	;; [unrolled: 1-line block ×3, first 2 shown]
.LBB4_2031:                             ;   in Loop: Header=BB4_1416 Depth=2
	s_or_b64 exec, exec, s[28:29]
	v_lshlrev_b32_e32 v0, 9, v3
	v_cmp_ne_u32_e32 vcc, v50, v0
	s_and_b64 exec, exec, vcc
	s_cbranch_execz .LBB4_2075
; %bb.2032:                             ;   in Loop: Header=BB4_1416 Depth=2
	v_lshlrev_b32_e32 v3, 6, v4
	v_sub_u32_e32 v3, v51, v3
	v_ashrrev_i32_e32 v4, 31, v3
	v_lshrrev_b32_e32 v4, 26, v4
	v_add_u32_e32 v4, v3, v4
	v_and_b32_e32 v8, 0x7fffffc0, v4
	v_sub_u32_e32 v3, v3, v8
	v_lshlrev_b32_e32 v4, 1, v4
	v_and_b32_e32 v4, 0xffffff80, v4
	v_lshlrev_b32_e32 v3, 1, v3
	v_add3_u32 v0, v4, v3, v0
	v_sub_u32_e32 v10, v50, v0
	v_cmp_lt_i32_e32 vcc, 1, v10
	s_and_b64 exec, exec, vcc
	s_cbranch_execz .LBB4_2075
; %bb.2033:                             ;   in Loop: Header=BB4_1416 Depth=2
	s_trap 2
	ds_read_b64 v[15:16], v0
	buffer_load_dword v3, off, s[0:3], s33 offset:244 ; 4-byte Folded Reload
	buffer_load_dword v4, off, s[0:3], s33 offset:248 ; 4-byte Folded Reload
	v_add_u32_e32 v0, v0, v31
	v_ashrrev_i32_e32 v13, 31, v0
	s_mov_b64 s[92:93], 0
	s_mov_b64 s[88:89], 0
                                        ; implicit-def: $sgpr90_sgpr91
	s_waitcnt vmcnt(0)
	v_add_co_u32_e32 v3, vcc, v3, v0
	v_addc_co_u32_e32 v4, vcc, v4, v13, vcc
	v_add_co_u32_e32 v8, vcc, v22, v0
	v_addc_co_u32_e32 v9, vcc, v23, v13, vcc
	v_add_co_u32_e32 v11, vcc, v0, v18
	v_addc_co_u32_e32 v22, vcc, v13, v19, vcc
	s_waitcnt lgkmcnt(0)
	v_add_co_u32_e32 v23, vcc, v15, v0
	v_addc_co_u32_e32 v24, vcc, v16, v13, vcc
	s_branch .LBB4_2035
.LBB4_2034:                             ;   in Loop: Header=BB4_2035 Depth=3
	s_or_b64 exec, exec, s[28:29]
	v_cmp_gt_i32_e32 vcc, 2, v10
	s_or_b64 s[88:89], vcc, s[88:89]
	s_andn2_b64 s[8:9], s[90:91], exec
	s_and_b64 s[28:29], s[92:93], exec
	s_or_b64 s[90:91], s[8:9], s[28:29]
	s_andn2_b64 exec, exec, s[88:89]
	s_cbranch_execz .LBB4_2064
.LBB4_2035:                             ;   Parent Loop BB4_47 Depth=1
                                        ;     Parent Loop BB4_1416 Depth=2
                                        ; =>    This Loop Header: Depth=3
                                        ;         Child Loop BB4_2036 Depth 4
                                        ;         Child Loop BB4_2047 Depth 4
	;; [unrolled: 1-line block ×4, first 2 shown]
	s_lshr_b32 s8, s33, 6
	s_add_i32 s8, s8, 64
	s_mov_b64 s[40:41], -1
	s_mov_b64 s[94:95], 0
.LBB4_2036:                             ;   Parent Loop BB4_47 Depth=1
                                        ;     Parent Loop BB4_1416 Depth=2
                                        ;       Parent Loop BB4_2035 Depth=3
                                        ; =>      This Inner Loop Header: Depth=4
	s_cmp_eq_u32 s94, 1
	s_cselect_b64 s[28:29], -1, 0
	v_cndmask_b32_e64 v16, v22, v24, s[28:29]
	v_cndmask_b32_e64 v15, v11, v23, s[28:29]
	flat_load_ushort v0, v[15:16] glc slc
	v_mov_b32_e32 v13, s8
	s_cmp_eq_u32 s94, 0
	s_mov_b64 s[94:95], 1
	s_waitcnt vmcnt(0) lgkmcnt(0)
	buffer_store_short v0, v13, s[0:3], 0 offen
	v_add_co_u32_e32 v0, vcc, 0x80, v15
	v_addc_co_u32_e32 v13, vcc, 0, v16, vcc
	s_cselect_b64 vcc, -1, 0
	s_lshr_b32 s8, s33, 6
	s_addk_i32 s8, 0x60
	v_cndmask_b32_e32 v22, v22, v13, vcc
	v_cndmask_b32_e32 v11, v11, v0, vcc
	v_cndmask_b32_e64 v24, v24, v13, s[28:29]
	v_cndmask_b32_e64 v23, v23, v0, s[28:29]
	s_and_b64 vcc, exec, s[40:41]
	s_mov_b64 s[40:41], 0
	s_cbranch_vccnz .LBB4_2036
; %bb.2037:                             ;   in Loop: Header=BB4_2035 Depth=3
	s_and_saveexec_b64 s[94:95], s[92:93]
	s_cbranch_execz .LBB4_2049
; %bb.2038:                             ;   in Loop: Header=BB4_2035 Depth=3
	s_trap 2
	buffer_load_ushort v0, off, s[0:3], s33 offset:56
	s_waitcnt vmcnt(0)
	ds_read_b32 v13, v0
	v_lshlrev_b32_e32 v0, 16, v0
	s_waitcnt lgkmcnt(0)
	v_lshlrev_b32_e32 v13, 16, v13
	v_mul_f32_e32 v13, v13, v0
	v_and_b32_e32 v0, 0x7f800000, v13
	v_cmp_ne_u32_e32 vcc, s46, v0
                                        ; implicit-def: $vgpr0
	s_and_saveexec_b64 s[8:9], vcc
	s_xor_b64 s[28:29], exec, s[8:9]
; %bb.2039:                             ;   in Loop: Header=BB4_2035 Depth=3
	v_bfe_u32 v0, v13, 16, 1
	v_add3_u32 v0, v13, v0, s47
                                        ; implicit-def: $vgpr13
; %bb.2040:                             ;   in Loop: Header=BB4_2035 Depth=3
	s_andn2_saveexec_b64 s[28:29], s[28:29]
; %bb.2041:                             ;   in Loop: Header=BB4_2035 Depth=3
	v_or_b32_e32 v0, 0x10000, v13
	v_cmp_eq_u32_sdwa vcc, v13, v2 src0_sel:WORD_0 src1_sel:DWORD
	v_cndmask_b32_e32 v0, v0, v13, vcc
; %bb.2042:                             ;   in Loop: Header=BB4_2035 Depth=3
	s_or_b64 exec, exec, s[28:29]
	buffer_load_ushort v13, off, s[0:3], s33 offset:58
	v_and_b32_e32 v0, 0xffff0000, v0
	s_waitcnt vmcnt(0)
	v_lshlrev_b32_e32 v13, 16, v13
	v_add_f32_e32 v0, v0, v13
	v_and_b32_e32 v13, 0x7f800000, v0
	v_cmp_ne_u32_e32 vcc, s46, v13
                                        ; implicit-def: $vgpr13
	s_and_saveexec_b64 s[8:9], vcc
	s_xor_b64 s[28:29], exec, s[8:9]
; %bb.2043:                             ;   in Loop: Header=BB4_2035 Depth=3
	v_bfe_u32 v13, v0, 16, 1
	v_add3_u32 v13, v0, v13, s47
                                        ; implicit-def: $vgpr0
; %bb.2044:                             ;   in Loop: Header=BB4_2035 Depth=3
	s_andn2_saveexec_b64 s[28:29], s[28:29]
; %bb.2045:                             ;   in Loop: Header=BB4_2035 Depth=3
	v_or_b32_e32 v13, 0x10000, v0
	v_cmp_eq_u32_sdwa vcc, v0, v2 src0_sel:WORD_0 src1_sel:DWORD
	v_cndmask_b32_e32 v13, v13, v0, vcc
; %bb.2046:                             ;   in Loop: Header=BB4_2035 Depth=3
	s_or_b64 exec, exec, s[28:29]
	v_lshrrev_b32_e32 v0, 16, v13
	s_mov_b64 s[30:31], 0
	s_mov_b64 s[92:93], -1
	buffer_store_short v0, off, s[0:3], s33 offset:56
.LBB4_2047:                             ;   Parent Loop BB4_47 Depth=1
                                        ;     Parent Loop BB4_1416 Depth=2
                                        ;       Parent Loop BB4_2035 Depth=3
                                        ; =>      This Inner Loop Header: Depth=4
	s_cmp_eq_u32 s30, 1
	s_cselect_b64 s[28:29], -1, 0
	v_cndmask_b32_e64 v15, v3, v8, s[28:29]
	v_cndmask_b32_e64 v16, v4, v9, s[28:29]
	v_add_co_u32_e32 v13, vcc, 0x80, v15
	s_cmp_eq_u32 s30, 0
	flat_store_short v[15:16], v0 glc slc
	v_addc_co_u32_e32 v15, vcc, 0, v16, vcc
	s_cselect_b64 vcc, -1, 0
	s_and_b64 s[40:41], exec, s[92:93]
	s_mov_b64 s[30:31], 1
	v_cndmask_b32_e64 v8, v8, v13, s[28:29]
	s_mov_b64 s[92:93], 0
	v_cndmask_b32_e64 v9, v9, v15, s[28:29]
	v_cndmask_b32_e32 v4, v4, v15, vcc
	v_cndmask_b32_e32 v3, v3, v13, vcc
	s_mov_b64 vcc, s[40:41]
	s_cbranch_vccnz .LBB4_2047
; %bb.2048:                             ;   in Loop: Header=BB4_2035 Depth=3
	v_add_co_u32_e32 v3, vcc, v3, v40
	v_addc_co_u32_e32 v4, vcc, v4, v41, vcc
	v_add_co_u32_e32 v8, vcc, v8, v40
	v_addc_co_u32_e32 v9, vcc, v9, v41, vcc
.LBB4_2049:                             ;   in Loop: Header=BB4_2035 Depth=3
	s_or_b64 exec, exec, s[94:95]
	v_add_co_u32_e32 v11, vcc, v11, v40
	v_addc_co_u32_e32 v22, vcc, v22, v41, vcc
	v_lshlrev_b32_e32 v0, 7, v59
	v_add_co_u32_e32 v23, vcc, v23, v40
	v_sub_u32_e32 v10, v10, v0
	v_addc_co_u32_e32 v24, vcc, v24, v41, vcc
	v_cmp_lt_i32_e64 s[92:93], 1, v10
	s_and_saveexec_b64 s[40:41], s[92:93]
	s_cbranch_execz .LBB4_2052
; %bb.2050:                             ;   in Loop: Header=BB4_2035 Depth=3
	s_lshr_b32 s8, s33, 6
	s_add_i32 s8, s8, 56
	s_mov_b64 s[30:31], 0
	s_mov_b64 s[94:95], -1
.LBB4_2051:                             ;   Parent Loop BB4_47 Depth=1
                                        ;     Parent Loop BB4_1416 Depth=2
                                        ;       Parent Loop BB4_2035 Depth=3
                                        ; =>      This Inner Loop Header: Depth=4
	s_cmp_eq_u32 s30, 1
	s_cselect_b64 s[28:29], -1, 0
	v_cndmask_b32_e64 v16, v22, v24, s[28:29]
	v_cndmask_b32_e64 v15, v11, v23, s[28:29]
	flat_load_ushort v0, v[15:16] glc slc
	v_mov_b32_e32 v13, s8
	s_cmp_eq_u32 s30, 0
	s_mov_b64 s[30:31], 1
	s_waitcnt vmcnt(0) lgkmcnt(0)
	buffer_store_short v0, v13, s[0:3], 0 offen
	v_add_co_u32_e32 v0, vcc, 0x80, v15
	v_addc_co_u32_e32 v13, vcc, 0, v16, vcc
	s_cselect_b64 vcc, -1, 0
	s_lshr_b32 s8, s33, 6
	s_add_i32 s8, s8, 58
	v_cndmask_b32_e32 v22, v22, v13, vcc
	v_cndmask_b32_e32 v11, v11, v0, vcc
	v_cndmask_b32_e64 v24, v24, v13, s[28:29]
	v_cndmask_b32_e64 v23, v23, v0, s[28:29]
	s_and_b64 vcc, exec, s[94:95]
	s_mov_b64 s[94:95], 0
	s_cbranch_vccnz .LBB4_2051
.LBB4_2052:                             ;   in Loop: Header=BB4_2035 Depth=3
	s_or_b64 exec, exec, s[40:41]
	s_trap 2
	buffer_load_ushort v0, off, s[0:3], s33 offset:64
	s_waitcnt vmcnt(0)
	ds_read_b32 v13, v0
	v_lshlrev_b32_e32 v0, 16, v0
	s_waitcnt lgkmcnt(0)
	v_lshlrev_b32_e32 v13, 16, v13
	v_mul_f32_e32 v0, v13, v0
	v_and_b32_e32 v13, 0x7f800000, v0
	v_cmp_ne_u32_e32 vcc, s46, v13
                                        ; implicit-def: $vgpr13
	s_and_saveexec_b64 s[8:9], vcc
	s_xor_b64 s[28:29], exec, s[8:9]
; %bb.2053:                             ;   in Loop: Header=BB4_2035 Depth=3
	v_bfe_u32 v13, v0, 16, 1
	v_add3_u32 v13, v0, v13, s47
                                        ; implicit-def: $vgpr0
; %bb.2054:                             ;   in Loop: Header=BB4_2035 Depth=3
	s_andn2_saveexec_b64 s[28:29], s[28:29]
; %bb.2055:                             ;   in Loop: Header=BB4_2035 Depth=3
	v_or_b32_e32 v13, 0x10000, v0
	v_cmp_eq_u32_sdwa vcc, v0, v2 src0_sel:WORD_0 src1_sel:DWORD
	v_cndmask_b32_e32 v13, v13, v0, vcc
; %bb.2056:                             ;   in Loop: Header=BB4_2035 Depth=3
	s_or_b64 exec, exec, s[28:29]
	buffer_load_ushort v0, off, s[0:3], s33 offset:96
	v_and_b32_e32 v13, 0xffff0000, v13
	s_waitcnt vmcnt(0)
	v_lshlrev_b32_e32 v0, 16, v0
	v_add_f32_e32 v0, v13, v0
	v_and_b32_e32 v13, 0x7f800000, v0
	v_cmp_ne_u32_e32 vcc, s46, v13
                                        ; implicit-def: $vgpr13
	s_and_saveexec_b64 s[8:9], vcc
	s_xor_b64 s[28:29], exec, s[8:9]
; %bb.2057:                             ;   in Loop: Header=BB4_2035 Depth=3
	v_bfe_u32 v13, v0, 16, 1
	v_add3_u32 v13, v0, v13, s47
                                        ; implicit-def: $vgpr0
; %bb.2058:                             ;   in Loop: Header=BB4_2035 Depth=3
	s_andn2_saveexec_b64 s[28:29], s[28:29]
; %bb.2059:                             ;   in Loop: Header=BB4_2035 Depth=3
	v_or_b32_e32 v13, 0x10000, v0
	v_cmp_eq_u32_sdwa vcc, v0, v2 src0_sel:WORD_0 src1_sel:DWORD
	v_cndmask_b32_e32 v13, v13, v0, vcc
; %bb.2060:                             ;   in Loop: Header=BB4_2035 Depth=3
	s_or_b64 exec, exec, s[28:29]
	v_lshrrev_b32_e32 v0, 16, v13
	s_mov_b64 s[30:31], 0
	s_mov_b64 s[94:95], -1
	buffer_store_short v0, off, s[0:3], s33 offset:64
.LBB4_2061:                             ;   Parent Loop BB4_47 Depth=1
                                        ;     Parent Loop BB4_1416 Depth=2
                                        ;       Parent Loop BB4_2035 Depth=3
                                        ; =>      This Inner Loop Header: Depth=4
	s_cmp_eq_u32 s30, 1
	s_cselect_b64 s[28:29], -1, 0
	v_cndmask_b32_e64 v15, v3, v8, s[28:29]
	v_cndmask_b32_e64 v16, v4, v9, s[28:29]
	v_add_co_u32_e32 v13, vcc, 0x80, v15
	s_cmp_eq_u32 s30, 0
	flat_store_short v[15:16], v0 glc slc
	v_addc_co_u32_e32 v15, vcc, 0, v16, vcc
	s_cselect_b64 vcc, -1, 0
	s_and_b64 s[40:41], exec, s[94:95]
	s_mov_b64 s[30:31], 1
	v_cndmask_b32_e64 v8, v8, v13, s[28:29]
	s_mov_b64 s[94:95], 0
	v_cndmask_b32_e64 v9, v9, v15, s[28:29]
	v_cndmask_b32_e32 v4, v4, v15, vcc
	v_cndmask_b32_e32 v3, v3, v13, vcc
	s_mov_b64 vcc, s[40:41]
	s_cbranch_vccnz .LBB4_2061
; %bb.2062:                             ;   in Loop: Header=BB4_2035 Depth=3
	s_and_saveexec_b64 s[28:29], s[92:93]
	s_cbranch_execz .LBB4_2034
; %bb.2063:                             ;   in Loop: Header=BB4_2035 Depth=3
	v_add_co_u32_e32 v3, vcc, v3, v40
	v_addc_co_u32_e32 v4, vcc, v4, v41, vcc
	v_add_co_u32_e32 v8, vcc, v8, v40
	v_addc_co_u32_e32 v9, vcc, v9, v41, vcc
	;; [unrolled: 2-line block ×3, first 2 shown]
	v_add_co_u32_e32 v23, vcc, v23, v40
	v_lshlrev_b32_e32 v0, 7, v59
	v_addc_co_u32_e32 v24, vcc, v24, v41, vcc
	v_sub_u32_e32 v10, v10, v0
	s_branch .LBB4_2034
.LBB4_2064:                             ;   in Loop: Header=BB4_1416 Depth=2
	s_or_b64 exec, exec, s[88:89]
	s_and_b64 exec, exec, s[90:91]
	s_cbranch_execz .LBB4_2075
; %bb.2065:                             ;   in Loop: Header=BB4_1416 Depth=2
	s_trap 2
	buffer_load_ushort v0, off, s[0:3], s33 offset:56
	s_waitcnt vmcnt(0)
	ds_read_b32 v10, v0
	v_lshlrev_b32_e32 v0, 16, v0
	s_waitcnt lgkmcnt(0)
	v_lshlrev_b32_e32 v10, 16, v10
	v_mul_f32_e32 v10, v10, v0
	v_and_b32_e32 v0, 0x7f800000, v10
	v_cmp_ne_u32_e32 vcc, s46, v0
                                        ; implicit-def: $vgpr0
	s_and_saveexec_b64 s[8:9], vcc
	s_xor_b64 s[28:29], exec, s[8:9]
; %bb.2066:                             ;   in Loop: Header=BB4_1416 Depth=2
	v_bfe_u32 v0, v10, 16, 1
	v_add3_u32 v0, v10, v0, s47
                                        ; implicit-def: $vgpr10
; %bb.2067:                             ;   in Loop: Header=BB4_1416 Depth=2
	s_andn2_saveexec_b64 s[28:29], s[28:29]
; %bb.2068:                             ;   in Loop: Header=BB4_1416 Depth=2
	v_or_b32_e32 v0, 0x10000, v10
	v_cmp_eq_u32_sdwa vcc, v10, v2 src0_sel:WORD_0 src1_sel:DWORD
	v_cndmask_b32_e32 v0, v0, v10, vcc
; %bb.2069:                             ;   in Loop: Header=BB4_1416 Depth=2
	s_or_b64 exec, exec, s[28:29]
	buffer_load_ushort v10, off, s[0:3], s33 offset:58
	v_and_b32_e32 v0, 0xffff0000, v0
	s_waitcnt vmcnt(0)
	v_lshlrev_b32_e32 v10, 16, v10
	v_add_f32_e32 v0, v0, v10
	v_and_b32_e32 v10, 0x7f800000, v0
	v_cmp_ne_u32_e32 vcc, s46, v10
                                        ; implicit-def: $vgpr10
	s_and_saveexec_b64 s[8:9], vcc
	s_xor_b64 s[28:29], exec, s[8:9]
; %bb.2070:                             ;   in Loop: Header=BB4_1416 Depth=2
	v_bfe_u32 v10, v0, 16, 1
	v_add3_u32 v10, v0, v10, s47
                                        ; implicit-def: $vgpr0
; %bb.2071:                             ;   in Loop: Header=BB4_1416 Depth=2
	s_andn2_saveexec_b64 s[28:29], s[28:29]
; %bb.2072:                             ;   in Loop: Header=BB4_1416 Depth=2
	v_or_b32_e32 v10, 0x10000, v0
	v_cmp_eq_u32_sdwa vcc, v0, v2 src0_sel:WORD_0 src1_sel:DWORD
	v_cndmask_b32_e32 v10, v10, v0, vcc
; %bb.2073:                             ;   in Loop: Header=BB4_1416 Depth=2
	s_or_b64 exec, exec, s[28:29]
	v_lshrrev_b32_e32 v0, 16, v10
	s_mov_b64 s[90:91], 0
	s_mov_b64 s[88:89], -1
.LBB4_2074:                             ;   Parent Loop BB4_47 Depth=1
                                        ;     Parent Loop BB4_1416 Depth=2
                                        ; =>    This Inner Loop Header: Depth=3
	s_cmp_eq_u32 s90, 1
	s_cselect_b64 s[28:29], -1, 0
	v_cndmask_b32_e64 v11, v4, v9, s[28:29]
	v_cndmask_b32_e64 v10, v3, v8, s[28:29]
	flat_store_short v[10:11], v0 glc slc
	v_add_co_u32_e32 v10, vcc, 0x80, v10
	s_cmp_eq_u32 s90, 0
	v_addc_co_u32_e32 v11, vcc, 0, v11, vcc
	s_cselect_b64 vcc, -1, 0
	s_and_b64 s[40:41], exec, s[88:89]
	s_mov_b64 s[90:91], 1
	v_cndmask_b32_e64 v8, v8, v10, s[28:29]
	s_mov_b64 s[88:89], 0
	v_cndmask_b32_e64 v9, v9, v11, s[28:29]
	v_cndmask_b32_e32 v4, v4, v11, vcc
	v_cndmask_b32_e32 v3, v3, v10, vcc
	s_mov_b64 vcc, s[40:41]
	s_cbranch_vccnz .LBB4_2074
.LBB4_2075:                             ;   in Loop: Header=BB4_1416 Depth=2
	s_or_b64 exec, exec, s[42:43]
	s_mov_b64 s[28:29], 0
.LBB4_2076:                             ;   in Loop: Header=BB4_1416 Depth=2
	s_and_b64 vcc, exec, s[28:29]
	s_cbranch_vccz .LBB4_2223
; %bb.2077:                             ;   in Loop: Header=BB4_1416 Depth=2
	s_mov_b64 s[28:29], -1
	s_and_saveexec_b64 s[40:41], s[22:23]
	s_cbranch_execz .LBB4_2079
; %bb.2078:                             ;   in Loop: Header=BB4_1416 Depth=2
	s_waitcnt vmcnt(0)
	ds_read_b32 v0, v0 offset:720
	s_waitcnt lgkmcnt(0)
	v_and_b32_e32 v0, 15, v0
	v_cmp_eq_u32_e32 vcc, 0, v0
	s_orn2_b64 s[28:29], vcc, exec
.LBB4_2079:                             ;   in Loop: Header=BB4_1416 Depth=2
	s_or_b64 exec, exec, s[40:41]
	s_and_saveexec_b64 s[40:41], s[18:19]
	s_cbranch_execz .LBB4_2081
; %bb.2080:                             ;   in Loop: Header=BB4_1416 Depth=2
	s_waitcnt vmcnt(0)
	ds_read_b32 v0, v0 offset:784
	s_waitcnt lgkmcnt(0)
	v_and_b32_e32 v0, 15, v0
	v_cmp_eq_u32_e32 vcc, 0, v0
	s_and_b64 s[8:9], s[28:29], vcc
	s_andn2_b64 s[28:29], s[28:29], exec
	s_and_b64 s[8:9], s[8:9], exec
	s_or_b64 s[28:29], s[28:29], s[8:9]
.LBB4_2081:                             ;   in Loop: Header=BB4_1416 Depth=2
	s_or_b64 exec, exec, s[40:41]
	s_xor_b64 s[8:9], s[28:29], -1
	s_waitcnt vmcnt(0)
	v_cndmask_b32_e64 v0, 0, 1, s[8:9]
	s_mov_b64 s[40:41], -1
	v_cmp_ne_u32_e32 vcc, 0, v0
	s_cbranch_vccz .LBB4_2224
; %bb.2082:                             ;   in Loop: Header=BB4_1416 Depth=2
	s_mov_b64 s[42:43], -1
	v_mov_b32_e32 v26, 0
	s_cbranch_execnz .LBB4_2225
.LBB4_2083:                             ;   in Loop: Header=BB4_1416 Depth=2
	v_ashrrev_i32_e32 v0, 31, v60
	v_lshrrev_b32_e32 v0, 22, v0
	v_add_u32_e32 v0, v60, v0
	buffer_load_dword v11, off, s[0:3], s33 offset:212 ; 4-byte Folded Reload
	v_ashrrev_i32_e32 v10, 10, v0
	v_and_b32_e32 v4, 0xfffffc00, v0
	s_trap 2
	ds_read_b64 v[8:9], v0
	buffer_load_dword v0, off, s[0:3], s33 offset:220 ; 4-byte Folded Reload
	buffer_load_dword v15, off, s[0:3], s33 offset:244 ; 4-byte Folded Reload
	;; [unrolled: 1-line block ×3, first 2 shown]
	v_sub_u32_e32 v22, v60, v4
	v_cmp_lt_i32_e64 s[28:29], 15, v22
	s_mov_b64 s[90:91], 0
	s_waitcnt vmcnt(0)
	v_sub_u32_e32 v3, v60, v11
	v_sub_u32_e32 v0, v10, v0
	v_addc_co_u32_e64 v23, vcc, 0, v0, s[28:29]
	v_add_co_u32_e32 v10, vcc, v15, v11
	v_addc_co_u32_e32 v11, vcc, 0, v16, vcc
	v_cmp_lt_i32_e32 vcc, 15, v3
	s_and_saveexec_b64 s[88:89], vcc
	s_cbranch_execz .LBB4_2227
; %bb.2084:                             ;   in Loop: Header=BB4_1416 Depth=2
	buffer_load_dword v13, off, s[0:3], s33 offset:212 ; 4-byte Folded Reload
	s_trap 2
	ds_read_b32 v0, v0
	s_mov_b64 s[94:95], 0
                                        ; implicit-def: $sgpr92_sgpr93
	s_waitcnt lgkmcnt(0)
	v_lshlrev_b32_e32 v29, 16, v0
	s_waitcnt vmcnt(0)
	v_add_co_u32_e32 v24, vcc, v18, v13
	v_addc_co_u32_e32 v25, vcc, 0, v19, vcc
	v_add_co_u32_e32 v26, vcc, v8, v13
	v_addc_co_u32_e32 v27, vcc, 0, v9, vcc
	s_branch .LBB4_2086
.LBB4_2085:                             ;   in Loop: Header=BB4_2086 Depth=3
	s_or_b64 exec, exec, s[40:41]
	v_cmp_gt_i32_e32 vcc, 16, v3
	s_or_b64 s[90:91], vcc, s[90:91]
	s_andn2_b64 s[8:9], s[92:93], exec
	s_and_b64 s[40:41], s[94:95], exec
	s_or_b64 s[92:93], s[8:9], s[40:41]
	s_andn2_b64 exec, exec, s[90:91]
	s_cbranch_execz .LBB4_2226
.LBB4_2086:                             ;   Parent Loop BB4_47 Depth=1
                                        ;     Parent Loop BB4_1416 Depth=2
                                        ; =>    This Loop Header: Depth=3
                                        ;         Child Loop BB4_2087 Depth 4
                                        ;         Child Loop BB4_2156 Depth 4
	s_lshr_b32 s8, s33, 6
	s_add_i32 s8, s8, 64
	s_mov_b64 s[30:31], -1
	s_mov_b64 s[34:35], 0
.LBB4_2087:                             ;   Parent Loop BB4_47 Depth=1
                                        ;     Parent Loop BB4_1416 Depth=2
                                        ;       Parent Loop BB4_2086 Depth=3
                                        ; =>      This Inner Loop Header: Depth=4
	s_cmp_eq_u32 s34, 1
	s_cselect_b64 s[40:41], -1, 0
	v_cndmask_b32_e64 v16, v25, v27, s[40:41]
	v_cndmask_b32_e64 v15, v24, v26, s[40:41]
	global_load_dwordx4 v[50:53], v[15:16], off glc slc
	v_mov_b32_e32 v0, s8
	s_cmp_eq_u32 s34, 0
	s_mov_b64 s[34:35], 1
	s_mov_b32 s8, s84
	s_waitcnt vmcnt(0)
	buffer_store_dword v51, v0, s[0:3], 0 offen offset:4
	buffer_store_dword v50, v0, s[0:3], 0 offen
	buffer_store_dword v53, v0, s[0:3], 0 offen offset:12
	buffer_store_dword v52, v0, s[0:3], 0 offen offset:8
	v_add_co_u32_e32 v0, vcc, s52, v15
	v_addc_co_u32_e32 v13, vcc, 0, v16, vcc
	s_cselect_b64 vcc, -1, 0
	v_cndmask_b32_e32 v25, v25, v13, vcc
	v_cndmask_b32_e32 v24, v24, v0, vcc
	v_cndmask_b32_e64 v27, v27, v13, s[40:41]
	v_cndmask_b32_e64 v26, v26, v0, s[40:41]
	s_and_b64 vcc, exec, s[30:31]
	s_mov_b64 s[30:31], 0
	s_cbranch_vccnz .LBB4_2087
; %bb.2088:                             ;   in Loop: Header=BB4_2086 Depth=3
	s_and_saveexec_b64 s[40:41], s[94:95]
	s_cbranch_execz .LBB4_2154
; %bb.2089:                             ;   in Loop: Header=BB4_2086 Depth=3
	buffer_load_dword v16, off, s[0:3], s33 offset:96
	buffer_load_dword v15, off, s[0:3], s33 offset:100
	;; [unrolled: 1-line block ×4, first 2 shown]
	s_waitcnt vmcnt(3)
	v_lshlrev_b32_e32 v17, 16, v16
	v_mul_f32_e32 v17, v29, v17
	v_and_b32_e32 v20, 0x7f800000, v17
	v_cmp_ne_u32_e32 vcc, s46, v20
                                        ; implicit-def: $vgpr20
	s_and_saveexec_b64 s[8:9], vcc
	s_xor_b64 s[94:95], exec, s[8:9]
; %bb.2090:                             ;   in Loop: Header=BB4_2086 Depth=3
	v_bfe_u32 v20, v17, 16, 1
	v_add3_u32 v20, v17, v20, s47
                                        ; implicit-def: $vgpr17
; %bb.2091:                             ;   in Loop: Header=BB4_2086 Depth=3
	s_andn2_saveexec_b64 s[94:95], s[94:95]
; %bb.2092:                             ;   in Loop: Header=BB4_2086 Depth=3
	v_or_b32_e32 v20, 0x10000, v17
	v_cmp_eq_u32_sdwa vcc, v17, v2 src0_sel:WORD_0 src1_sel:DWORD
	v_cndmask_b32_e32 v20, v20, v17, vcc
; %bb.2093:                             ;   in Loop: Header=BB4_2086 Depth=3
	s_or_b64 exec, exec, s[94:95]
	v_and_b32_e32 v16, 0xffff0000, v16
	v_mul_f32_e32 v16, v29, v16
	v_and_b32_e32 v17, 0x7f800000, v16
	v_cmp_ne_u32_e32 vcc, s46, v17
                                        ; implicit-def: $vgpr31
	s_and_saveexec_b64 s[8:9], vcc
	s_xor_b64 s[94:95], exec, s[8:9]
; %bb.2094:                             ;   in Loop: Header=BB4_2086 Depth=3
	v_bfe_u32 v17, v16, 16, 1
	v_add3_u32 v31, v16, v17, s47
                                        ; implicit-def: $vgpr16
; %bb.2095:                             ;   in Loop: Header=BB4_2086 Depth=3
	s_andn2_saveexec_b64 s[94:95], s[94:95]
; %bb.2096:                             ;   in Loop: Header=BB4_2086 Depth=3
	v_or_b32_e32 v17, 0x10000, v16
	v_cmp_eq_u32_sdwa vcc, v16, v2 src0_sel:WORD_0 src1_sel:DWORD
	v_cndmask_b32_e32 v31, v17, v16, vcc
; %bb.2097:                             ;   in Loop: Header=BB4_2086 Depth=3
	s_or_b64 exec, exec, s[94:95]
	s_waitcnt vmcnt(2)
	v_lshlrev_b32_e32 v16, 16, v15
	v_mul_f32_e32 v16, v29, v16
	v_and_b32_e32 v17, 0x7f800000, v16
	v_cmp_ne_u32_e32 vcc, s46, v17
                                        ; implicit-def: $vgpr30
	s_and_saveexec_b64 s[8:9], vcc
	s_xor_b64 s[94:95], exec, s[8:9]
; %bb.2098:                             ;   in Loop: Header=BB4_2086 Depth=3
	v_bfe_u32 v17, v16, 16, 1
	v_add3_u32 v30, v16, v17, s47
                                        ; implicit-def: $vgpr16
; %bb.2099:                             ;   in Loop: Header=BB4_2086 Depth=3
	s_andn2_saveexec_b64 s[94:95], s[94:95]
; %bb.2100:                             ;   in Loop: Header=BB4_2086 Depth=3
	v_or_b32_e32 v17, 0x10000, v16
	v_cmp_eq_u32_sdwa vcc, v16, v2 src0_sel:WORD_0 src1_sel:DWORD
	v_cndmask_b32_e32 v30, v17, v16, vcc
; %bb.2101:                             ;   in Loop: Header=BB4_2086 Depth=3
	s_or_b64 exec, exec, s[94:95]
	v_and_b32_e32 v15, 0xffff0000, v15
	v_mul_f32_e32 v15, v29, v15
	v_and_b32_e32 v16, 0x7f800000, v15
	v_cmp_ne_u32_e32 vcc, s46, v16
                                        ; implicit-def: $vgpr21
	s_and_saveexec_b64 s[8:9], vcc
	s_xor_b64 s[94:95], exec, s[8:9]
; %bb.2102:                             ;   in Loop: Header=BB4_2086 Depth=3
	v_bfe_u32 v16, v15, 16, 1
	v_add3_u32 v21, v15, v16, s47
                                        ; implicit-def: $vgpr15
; %bb.2103:                             ;   in Loop: Header=BB4_2086 Depth=3
	s_andn2_saveexec_b64 s[94:95], s[94:95]
; %bb.2104:                             ;   in Loop: Header=BB4_2086 Depth=3
	v_or_b32_e32 v16, 0x10000, v15
	v_cmp_eq_u32_sdwa vcc, v15, v2 src0_sel:WORD_0 src1_sel:DWORD
	v_cndmask_b32_e32 v21, v16, v15, vcc
; %bb.2105:                             ;   in Loop: Header=BB4_2086 Depth=3
	s_or_b64 exec, exec, s[94:95]
	s_waitcnt vmcnt(1)
	v_lshlrev_b32_e32 v15, 16, v13
	v_mul_f32_e32 v15, v29, v15
	v_and_b32_e32 v16, 0x7f800000, v15
	v_cmp_ne_u32_e32 vcc, s46, v16
                                        ; implicit-def: $vgpr28
	s_and_saveexec_b64 s[8:9], vcc
	s_xor_b64 s[94:95], exec, s[8:9]
; %bb.2106:                             ;   in Loop: Header=BB4_2086 Depth=3
	v_bfe_u32 v16, v15, 16, 1
	v_add3_u32 v28, v15, v16, s47
                                        ; implicit-def: $vgpr15
; %bb.2107:                             ;   in Loop: Header=BB4_2086 Depth=3
	s_andn2_saveexec_b64 s[94:95], s[94:95]
; %bb.2108:                             ;   in Loop: Header=BB4_2086 Depth=3
	v_or_b32_e32 v16, 0x10000, v15
	v_cmp_eq_u32_sdwa vcc, v15, v2 src0_sel:WORD_0 src1_sel:DWORD
	v_cndmask_b32_e32 v28, v16, v15, vcc
; %bb.2109:                             ;   in Loop: Header=BB4_2086 Depth=3
	s_or_b64 exec, exec, s[94:95]
	v_and_b32_e32 v13, 0xffff0000, v13
	v_mul_f32_e32 v15, v29, v13
	v_and_b32_e32 v13, 0x7f800000, v15
	v_cmp_ne_u32_e32 vcc, s46, v13
                                        ; implicit-def: $vgpr13
	s_and_saveexec_b64 s[8:9], vcc
	s_xor_b64 s[94:95], exec, s[8:9]
; %bb.2110:                             ;   in Loop: Header=BB4_2086 Depth=3
	v_bfe_u32 v13, v15, 16, 1
	v_add3_u32 v13, v15, v13, s47
                                        ; implicit-def: $vgpr15
; %bb.2111:                             ;   in Loop: Header=BB4_2086 Depth=3
	s_andn2_saveexec_b64 s[94:95], s[94:95]
; %bb.2112:                             ;   in Loop: Header=BB4_2086 Depth=3
	v_or_b32_e32 v13, 0x10000, v15
	v_cmp_eq_u32_sdwa vcc, v15, v2 src0_sel:WORD_0 src1_sel:DWORD
	v_cndmask_b32_e32 v13, v13, v15, vcc
; %bb.2113:                             ;   in Loop: Header=BB4_2086 Depth=3
	s_or_b64 exec, exec, s[94:95]
	s_waitcnt vmcnt(0)
	v_lshlrev_b32_e32 v15, 16, v0
	v_mul_f32_e32 v16, v29, v15
	v_and_b32_e32 v15, 0x7f800000, v16
	v_cmp_ne_u32_e32 vcc, s46, v15
                                        ; implicit-def: $vgpr15
	s_and_saveexec_b64 s[8:9], vcc
	s_xor_b64 s[94:95], exec, s[8:9]
; %bb.2114:                             ;   in Loop: Header=BB4_2086 Depth=3
	v_bfe_u32 v15, v16, 16, 1
	v_add3_u32 v15, v16, v15, s47
                                        ; implicit-def: $vgpr16
; %bb.2115:                             ;   in Loop: Header=BB4_2086 Depth=3
	s_andn2_saveexec_b64 s[94:95], s[94:95]
; %bb.2116:                             ;   in Loop: Header=BB4_2086 Depth=3
	v_or_b32_e32 v15, 0x10000, v16
	v_cmp_eq_u32_sdwa vcc, v16, v2 src0_sel:WORD_0 src1_sel:DWORD
	v_cndmask_b32_e32 v15, v15, v16, vcc
; %bb.2117:                             ;   in Loop: Header=BB4_2086 Depth=3
	s_or_b64 exec, exec, s[94:95]
	v_and_b32_e32 v0, 0xffff0000, v0
	v_mul_f32_e32 v16, v29, v0
	v_and_b32_e32 v0, 0x7f800000, v16
	v_cmp_ne_u32_e32 vcc, s46, v0
                                        ; implicit-def: $vgpr0
	s_and_saveexec_b64 s[8:9], vcc
	s_xor_b64 s[94:95], exec, s[8:9]
; %bb.2118:                             ;   in Loop: Header=BB4_2086 Depth=3
	v_bfe_u32 v0, v16, 16, 1
	v_add3_u32 v0, v16, v0, s47
                                        ; implicit-def: $vgpr16
; %bb.2119:                             ;   in Loop: Header=BB4_2086 Depth=3
	s_andn2_saveexec_b64 s[94:95], s[94:95]
; %bb.2120:                             ;   in Loop: Header=BB4_2086 Depth=3
	v_or_b32_e32 v0, 0x10000, v16
	v_cmp_eq_u32_sdwa vcc, v16, v2 src0_sel:WORD_0 src1_sel:DWORD
	v_cndmask_b32_e32 v0, v0, v16, vcc
; %bb.2121:                             ;   in Loop: Header=BB4_2086 Depth=3
	s_or_b64 exec, exec, s[94:95]
	buffer_load_dword v17, off, s[0:3], s33 offset:112
	buffer_load_dword v16, off, s[0:3], s33 offset:116
	;; [unrolled: 1-line block ×4, first 2 shown]
	v_and_b32_e32 v20, 0xffff0000, v20
	s_waitcnt vmcnt(3)
	v_lshlrev_b32_e32 v48, 16, v17
	v_add_f32_e32 v50, v20, v48
	v_and_b32_e32 v20, 0x7f800000, v50
	v_cmp_ne_u32_e32 vcc, s46, v20
                                        ; implicit-def: $vgpr20
	s_and_saveexec_b64 s[8:9], vcc
	s_xor_b64 s[94:95], exec, s[8:9]
; %bb.2122:                             ;   in Loop: Header=BB4_2086 Depth=3
	v_bfe_u32 v20, v50, 16, 1
	v_add3_u32 v20, v50, v20, s47
                                        ; implicit-def: $vgpr50
; %bb.2123:                             ;   in Loop: Header=BB4_2086 Depth=3
	s_andn2_saveexec_b64 s[94:95], s[94:95]
; %bb.2124:                             ;   in Loop: Header=BB4_2086 Depth=3
	v_or_b32_e32 v20, 0x10000, v50
	v_cmp_eq_u32_sdwa vcc, v50, v2 src0_sel:WORD_0 src1_sel:DWORD
	v_cndmask_b32_e32 v20, v20, v50, vcc
; %bb.2125:                             ;   in Loop: Header=BB4_2086 Depth=3
	s_or_b64 exec, exec, s[94:95]
	v_and_b32_e32 v31, 0xffff0000, v31
	v_and_b32_e32 v17, 0xffff0000, v17
	v_add_f32_e32 v17, v31, v17
	v_and_b32_e32 v31, 0x7f800000, v17
	v_cmp_ne_u32_e32 vcc, s46, v31
                                        ; implicit-def: $vgpr31
	s_and_saveexec_b64 s[8:9], vcc
	s_xor_b64 s[94:95], exec, s[8:9]
; %bb.2126:                             ;   in Loop: Header=BB4_2086 Depth=3
	v_bfe_u32 v31, v17, 16, 1
	v_add3_u32 v31, v17, v31, s47
                                        ; implicit-def: $vgpr17
; %bb.2127:                             ;   in Loop: Header=BB4_2086 Depth=3
	s_andn2_saveexec_b64 s[94:95], s[94:95]
; %bb.2128:                             ;   in Loop: Header=BB4_2086 Depth=3
	v_or_b32_e32 v31, 0x10000, v17
	v_cmp_eq_u32_sdwa vcc, v17, v2 src0_sel:WORD_0 src1_sel:DWORD
	v_cndmask_b32_e32 v31, v31, v17, vcc
; %bb.2129:                             ;   in Loop: Header=BB4_2086 Depth=3
	s_or_b64 exec, exec, s[94:95]
	v_and_b32_e32 v17, 0xffff0000, v30
	s_waitcnt vmcnt(2)
	v_lshlrev_b32_e32 v30, 16, v16
	v_add_f32_e32 v17, v17, v30
	v_and_b32_e32 v30, 0x7f800000, v17
	v_cmp_ne_u32_e32 vcc, s46, v30
                                        ; implicit-def: $vgpr30
	s_and_saveexec_b64 s[8:9], vcc
	s_xor_b64 s[94:95], exec, s[8:9]
; %bb.2130:                             ;   in Loop: Header=BB4_2086 Depth=3
	v_bfe_u32 v30, v17, 16, 1
	v_add3_u32 v30, v17, v30, s47
                                        ; implicit-def: $vgpr17
; %bb.2131:                             ;   in Loop: Header=BB4_2086 Depth=3
	s_andn2_saveexec_b64 s[94:95], s[94:95]
; %bb.2132:                             ;   in Loop: Header=BB4_2086 Depth=3
	v_or_b32_e32 v30, 0x10000, v17
	v_cmp_eq_u32_sdwa vcc, v17, v2 src0_sel:WORD_0 src1_sel:DWORD
	v_cndmask_b32_e32 v30, v30, v17, vcc
; %bb.2133:                             ;   in Loop: Header=BB4_2086 Depth=3
	s_or_b64 exec, exec, s[94:95]
	v_and_b32_e32 v16, 0xffff0000, v16
	v_and_b32_e32 v17, 0xffff0000, v21
	v_add_f32_e32 v16, v17, v16
	v_and_b32_e32 v17, 0x7f800000, v16
	v_cmp_ne_u32_e32 vcc, s46, v17
                                        ; implicit-def: $vgpr21
	s_and_saveexec_b64 s[8:9], vcc
	s_xor_b64 s[94:95], exec, s[8:9]
; %bb.2134:                             ;   in Loop: Header=BB4_2086 Depth=3
	v_bfe_u32 v17, v16, 16, 1
	v_add3_u32 v21, v16, v17, s47
                                        ; implicit-def: $vgpr16
; %bb.2135:                             ;   in Loop: Header=BB4_2086 Depth=3
	s_andn2_saveexec_b64 s[94:95], s[94:95]
; %bb.2136:                             ;   in Loop: Header=BB4_2086 Depth=3
	v_or_b32_e32 v17, 0x10000, v16
	v_cmp_eq_u32_sdwa vcc, v16, v2 src0_sel:WORD_0 src1_sel:DWORD
	v_cndmask_b32_e32 v21, v17, v16, vcc
; %bb.2137:                             ;   in Loop: Header=BB4_2086 Depth=3
	s_or_b64 exec, exec, s[94:95]
	v_and_b32_e32 v16, 0xffff0000, v28
	s_waitcnt vmcnt(1)
	v_lshlrev_b32_e32 v17, 16, v35
	v_add_f32_e32 v16, v16, v17
	v_and_b32_e32 v17, 0x7f800000, v16
	v_cmp_ne_u32_e32 vcc, s46, v17
                                        ; implicit-def: $vgpr28
	s_and_saveexec_b64 s[8:9], vcc
	s_xor_b64 s[94:95], exec, s[8:9]
; %bb.2138:                             ;   in Loop: Header=BB4_2086 Depth=3
	v_bfe_u32 v17, v16, 16, 1
	v_add3_u32 v28, v16, v17, s47
                                        ; implicit-def: $vgpr16
; %bb.2139:                             ;   in Loop: Header=BB4_2086 Depth=3
	s_andn2_saveexec_b64 s[94:95], s[94:95]
; %bb.2140:                             ;   in Loop: Header=BB4_2086 Depth=3
	v_or_b32_e32 v17, 0x10000, v16
	v_cmp_eq_u32_sdwa vcc, v16, v2 src0_sel:WORD_0 src1_sel:DWORD
	v_cndmask_b32_e32 v28, v17, v16, vcc
; %bb.2141:                             ;   in Loop: Header=BB4_2086 Depth=3
	s_or_b64 exec, exec, s[94:95]
	v_and_b32_e32 v16, 0xffff0000, v35
	v_and_b32_e32 v13, 0xffff0000, v13
	v_add_f32_e32 v16, v13, v16
	v_and_b32_e32 v13, 0x7f800000, v16
	v_cmp_ne_u32_e32 vcc, s46, v13
                                        ; implicit-def: $vgpr13
	s_and_saveexec_b64 s[8:9], vcc
	s_xor_b64 s[94:95], exec, s[8:9]
; %bb.2142:                             ;   in Loop: Header=BB4_2086 Depth=3
	v_bfe_u32 v13, v16, 16, 1
	v_add3_u32 v13, v16, v13, s47
                                        ; implicit-def: $vgpr16
; %bb.2143:                             ;   in Loop: Header=BB4_2086 Depth=3
	s_andn2_saveexec_b64 s[94:95], s[94:95]
; %bb.2144:                             ;   in Loop: Header=BB4_2086 Depth=3
	v_or_b32_e32 v13, 0x10000, v16
	v_cmp_eq_u32_sdwa vcc, v16, v2 src0_sel:WORD_0 src1_sel:DWORD
	v_cndmask_b32_e32 v13, v13, v16, vcc
; %bb.2145:                             ;   in Loop: Header=BB4_2086 Depth=3
	s_or_b64 exec, exec, s[94:95]
	v_and_b32_e32 v15, 0xffff0000, v15
	s_waitcnt vmcnt(0)
	v_lshlrev_b32_e32 v16, 16, v34
	v_add_f32_e32 v16, v15, v16
	v_and_b32_e32 v15, 0x7f800000, v16
	v_cmp_ne_u32_e32 vcc, s46, v15
                                        ; implicit-def: $vgpr15
	s_and_saveexec_b64 s[8:9], vcc
	s_xor_b64 s[94:95], exec, s[8:9]
; %bb.2146:                             ;   in Loop: Header=BB4_2086 Depth=3
	v_bfe_u32 v15, v16, 16, 1
	v_add3_u32 v15, v16, v15, s47
                                        ; implicit-def: $vgpr16
; %bb.2147:                             ;   in Loop: Header=BB4_2086 Depth=3
	s_andn2_saveexec_b64 s[94:95], s[94:95]
; %bb.2148:                             ;   in Loop: Header=BB4_2086 Depth=3
	v_or_b32_e32 v15, 0x10000, v16
	v_cmp_eq_u32_sdwa vcc, v16, v2 src0_sel:WORD_0 src1_sel:DWORD
	v_cndmask_b32_e32 v15, v15, v16, vcc
; %bb.2149:                             ;   in Loop: Header=BB4_2086 Depth=3
	s_or_b64 exec, exec, s[94:95]
	v_and_b32_e32 v16, 0xffff0000, v34
	v_and_b32_e32 v0, 0xffff0000, v0
	v_add_f32_e32 v16, v0, v16
	v_and_b32_e32 v0, 0x7f800000, v16
	v_cmp_ne_u32_e32 vcc, s46, v0
                                        ; implicit-def: $vgpr0
	s_and_saveexec_b64 s[8:9], vcc
	s_xor_b64 s[94:95], exec, s[8:9]
; %bb.2150:                             ;   in Loop: Header=BB4_2086 Depth=3
	v_bfe_u32 v0, v16, 16, 1
	v_add3_u32 v0, v16, v0, s47
                                        ; implicit-def: $vgpr16
; %bb.2151:                             ;   in Loop: Header=BB4_2086 Depth=3
	s_andn2_saveexec_b64 s[94:95], s[94:95]
; %bb.2152:                             ;   in Loop: Header=BB4_2086 Depth=3
	v_or_b32_e32 v0, 0x10000, v16
	v_cmp_eq_u32_sdwa vcc, v16, v2 src0_sel:WORD_0 src1_sel:DWORD
	v_cndmask_b32_e32 v0, v0, v16, vcc
; %bb.2153:                             ;   in Loop: Header=BB4_2086 Depth=3
	s_or_b64 exec, exec, s[94:95]
	v_lshrrev_b32_e32 v16, 16, v30
	v_and_or_b32 v51, v21, s44, v16
	v_lshrrev_b32_e32 v16, 16, v20
	v_and_or_b32 v50, v31, s44, v16
	;; [unrolled: 2-line block ×4, first 2 shown]
	buffer_store_dword v51, off, s[0:3], s33 offset:100
	buffer_store_dword v50, off, s[0:3], s33 offset:96
	buffer_store_dword v53, off, s[0:3], s33 offset:108
	buffer_store_dword v52, off, s[0:3], s33 offset:104
	buffer_load_dword v0, off, s[0:3], s33 offset:132 ; 4-byte Folded Reload
	s_nop 0
	global_store_dwordx4 v[10:11], v[50:53], off glc slc
	s_waitcnt vmcnt(1)
	v_add_co_u32_e32 v10, vcc, v0, v10
	buffer_load_dword v0, off, s[0:3], s33 offset:136 ; 4-byte Folded Reload
	s_waitcnt vmcnt(0)
	v_addc_co_u32_e32 v11, vcc, v0, v11, vcc
.LBB4_2154:                             ;   in Loop: Header=BB4_2086 Depth=3
	s_or_b64 exec, exec, s[40:41]
	buffer_load_dword v0, off, s[0:3], s33 offset:128 ; 4-byte Folded Reload
	s_waitcnt vmcnt(0)
	v_add_co_u32_e32 v24, vcc, v24, v0
	v_addc_co_u32_e32 v25, vcc, v25, v49, vcc
	v_add_co_u32_e32 v26, vcc, v26, v0
	v_lshlrev_b32_e32 v0, 10, v59
	v_sub_u32_e32 v3, v3, v0
	v_addc_co_u32_e32 v27, vcc, v27, v49, vcc
	v_cmp_lt_i32_e64 s[94:95], 15, v3
	s_and_saveexec_b64 s[30:31], s[94:95]
	s_cbranch_execz .LBB4_2157
; %bb.2155:                             ;   in Loop: Header=BB4_2086 Depth=3
	s_lshr_b32 s8, s33, 6
	s_addk_i32 s8, 0x60
	s_mov_b64 s[36:37], 0
	s_mov_b64 s[34:35], -1
.LBB4_2156:                             ;   Parent Loop BB4_47 Depth=1
                                        ;     Parent Loop BB4_1416 Depth=2
                                        ;       Parent Loop BB4_2086 Depth=3
                                        ; =>      This Inner Loop Header: Depth=4
	s_cmp_eq_u32 s36, 1
	s_cselect_b64 s[40:41], -1, 0
	v_cndmask_b32_e64 v16, v25, v27, s[40:41]
	v_cndmask_b32_e64 v15, v24, v26, s[40:41]
	global_load_dwordx4 v[50:53], v[15:16], off glc slc
	v_mov_b32_e32 v0, s8
	s_cmp_eq_u32 s36, 0
	s_mov_b64 s[36:37], 1
	s_mov_b32 s8, s83
	s_waitcnt vmcnt(0)
	buffer_store_dword v51, v0, s[0:3], 0 offen offset:4
	buffer_store_dword v50, v0, s[0:3], 0 offen
	buffer_store_dword v53, v0, s[0:3], 0 offen offset:12
	buffer_store_dword v52, v0, s[0:3], 0 offen offset:8
	v_add_co_u32_e32 v0, vcc, s52, v15
	v_addc_co_u32_e32 v13, vcc, 0, v16, vcc
	s_cselect_b64 vcc, -1, 0
	v_cndmask_b32_e32 v25, v25, v13, vcc
	v_cndmask_b32_e32 v24, v24, v0, vcc
	v_cndmask_b32_e64 v27, v27, v13, s[40:41]
	v_cndmask_b32_e64 v26, v26, v0, s[40:41]
	s_and_b64 vcc, exec, s[34:35]
	s_mov_b64 s[34:35], 0
	s_cbranch_vccnz .LBB4_2156
.LBB4_2157:                             ;   in Loop: Header=BB4_2086 Depth=3
	s_or_b64 exec, exec, s[30:31]
	buffer_load_dword v16, off, s[0:3], s33 offset:64
	buffer_load_dword v15, off, s[0:3], s33 offset:68
	;; [unrolled: 1-line block ×4, first 2 shown]
	s_waitcnt vmcnt(3)
	v_lshlrev_b32_e32 v17, 16, v16
	v_mul_f32_e32 v17, v29, v17
	v_and_b32_e32 v20, 0x7f800000, v17
	v_cmp_ne_u32_e32 vcc, s46, v20
                                        ; implicit-def: $vgpr20
	s_and_saveexec_b64 s[8:9], vcc
	s_xor_b64 s[40:41], exec, s[8:9]
; %bb.2158:                             ;   in Loop: Header=BB4_2086 Depth=3
	v_bfe_u32 v20, v17, 16, 1
	v_add3_u32 v20, v17, v20, s47
                                        ; implicit-def: $vgpr17
; %bb.2159:                             ;   in Loop: Header=BB4_2086 Depth=3
	s_andn2_saveexec_b64 s[40:41], s[40:41]
; %bb.2160:                             ;   in Loop: Header=BB4_2086 Depth=3
	v_or_b32_e32 v20, 0x10000, v17
	v_cmp_eq_u32_sdwa vcc, v17, v2 src0_sel:WORD_0 src1_sel:DWORD
	v_cndmask_b32_e32 v20, v20, v17, vcc
; %bb.2161:                             ;   in Loop: Header=BB4_2086 Depth=3
	s_or_b64 exec, exec, s[40:41]
	v_and_b32_e32 v16, 0xffff0000, v16
	v_mul_f32_e32 v16, v29, v16
	v_and_b32_e32 v17, 0x7f800000, v16
	v_cmp_ne_u32_e32 vcc, s46, v17
                                        ; implicit-def: $vgpr31
	s_and_saveexec_b64 s[8:9], vcc
	s_xor_b64 s[40:41], exec, s[8:9]
; %bb.2162:                             ;   in Loop: Header=BB4_2086 Depth=3
	v_bfe_u32 v17, v16, 16, 1
	v_add3_u32 v31, v16, v17, s47
                                        ; implicit-def: $vgpr16
; %bb.2163:                             ;   in Loop: Header=BB4_2086 Depth=3
	s_andn2_saveexec_b64 s[40:41], s[40:41]
; %bb.2164:                             ;   in Loop: Header=BB4_2086 Depth=3
	v_or_b32_e32 v17, 0x10000, v16
	v_cmp_eq_u32_sdwa vcc, v16, v2 src0_sel:WORD_0 src1_sel:DWORD
	v_cndmask_b32_e32 v31, v17, v16, vcc
; %bb.2165:                             ;   in Loop: Header=BB4_2086 Depth=3
	s_or_b64 exec, exec, s[40:41]
	s_waitcnt vmcnt(2)
	v_lshlrev_b32_e32 v16, 16, v15
	v_mul_f32_e32 v16, v29, v16
	v_and_b32_e32 v17, 0x7f800000, v16
	v_cmp_ne_u32_e32 vcc, s46, v17
                                        ; implicit-def: $vgpr30
	s_and_saveexec_b64 s[8:9], vcc
	s_xor_b64 s[40:41], exec, s[8:9]
; %bb.2166:                             ;   in Loop: Header=BB4_2086 Depth=3
	v_bfe_u32 v17, v16, 16, 1
	v_add3_u32 v30, v16, v17, s47
                                        ; implicit-def: $vgpr16
; %bb.2167:                             ;   in Loop: Header=BB4_2086 Depth=3
	s_andn2_saveexec_b64 s[40:41], s[40:41]
; %bb.2168:                             ;   in Loop: Header=BB4_2086 Depth=3
	v_or_b32_e32 v17, 0x10000, v16
	v_cmp_eq_u32_sdwa vcc, v16, v2 src0_sel:WORD_0 src1_sel:DWORD
	v_cndmask_b32_e32 v30, v17, v16, vcc
; %bb.2169:                             ;   in Loop: Header=BB4_2086 Depth=3
	s_or_b64 exec, exec, s[40:41]
	v_and_b32_e32 v15, 0xffff0000, v15
	v_mul_f32_e32 v15, v29, v15
	v_and_b32_e32 v16, 0x7f800000, v15
	v_cmp_ne_u32_e32 vcc, s46, v16
                                        ; implicit-def: $vgpr21
	s_and_saveexec_b64 s[8:9], vcc
	s_xor_b64 s[40:41], exec, s[8:9]
; %bb.2170:                             ;   in Loop: Header=BB4_2086 Depth=3
	v_bfe_u32 v16, v15, 16, 1
	v_add3_u32 v21, v15, v16, s47
                                        ; implicit-def: $vgpr15
; %bb.2171:                             ;   in Loop: Header=BB4_2086 Depth=3
	s_andn2_saveexec_b64 s[40:41], s[40:41]
; %bb.2172:                             ;   in Loop: Header=BB4_2086 Depth=3
	v_or_b32_e32 v16, 0x10000, v15
	v_cmp_eq_u32_sdwa vcc, v15, v2 src0_sel:WORD_0 src1_sel:DWORD
	v_cndmask_b32_e32 v21, v16, v15, vcc
; %bb.2173:                             ;   in Loop: Header=BB4_2086 Depth=3
	s_or_b64 exec, exec, s[40:41]
	s_waitcnt vmcnt(1)
	v_lshlrev_b32_e32 v15, 16, v13
	v_mul_f32_e32 v15, v29, v15
	v_and_b32_e32 v16, 0x7f800000, v15
	v_cmp_ne_u32_e32 vcc, s46, v16
                                        ; implicit-def: $vgpr28
	s_and_saveexec_b64 s[8:9], vcc
	s_xor_b64 s[40:41], exec, s[8:9]
; %bb.2174:                             ;   in Loop: Header=BB4_2086 Depth=3
	v_bfe_u32 v16, v15, 16, 1
	v_add3_u32 v28, v15, v16, s47
                                        ; implicit-def: $vgpr15
; %bb.2175:                             ;   in Loop: Header=BB4_2086 Depth=3
	s_andn2_saveexec_b64 s[40:41], s[40:41]
; %bb.2176:                             ;   in Loop: Header=BB4_2086 Depth=3
	v_or_b32_e32 v16, 0x10000, v15
	v_cmp_eq_u32_sdwa vcc, v15, v2 src0_sel:WORD_0 src1_sel:DWORD
	v_cndmask_b32_e32 v28, v16, v15, vcc
; %bb.2177:                             ;   in Loop: Header=BB4_2086 Depth=3
	s_or_b64 exec, exec, s[40:41]
	v_and_b32_e32 v13, 0xffff0000, v13
	v_mul_f32_e32 v15, v29, v13
	v_and_b32_e32 v13, 0x7f800000, v15
	v_cmp_ne_u32_e32 vcc, s46, v13
                                        ; implicit-def: $vgpr13
	s_and_saveexec_b64 s[8:9], vcc
	s_xor_b64 s[40:41], exec, s[8:9]
; %bb.2178:                             ;   in Loop: Header=BB4_2086 Depth=3
	v_bfe_u32 v13, v15, 16, 1
	v_add3_u32 v13, v15, v13, s47
                                        ; implicit-def: $vgpr15
; %bb.2179:                             ;   in Loop: Header=BB4_2086 Depth=3
	s_andn2_saveexec_b64 s[40:41], s[40:41]
; %bb.2180:                             ;   in Loop: Header=BB4_2086 Depth=3
	v_or_b32_e32 v13, 0x10000, v15
	v_cmp_eq_u32_sdwa vcc, v15, v2 src0_sel:WORD_0 src1_sel:DWORD
	v_cndmask_b32_e32 v13, v13, v15, vcc
; %bb.2181:                             ;   in Loop: Header=BB4_2086 Depth=3
	s_or_b64 exec, exec, s[40:41]
	s_waitcnt vmcnt(0)
	v_lshlrev_b32_e32 v15, 16, v0
	v_mul_f32_e32 v16, v29, v15
	v_and_b32_e32 v15, 0x7f800000, v16
	v_cmp_ne_u32_e32 vcc, s46, v15
                                        ; implicit-def: $vgpr15
	s_and_saveexec_b64 s[8:9], vcc
	s_xor_b64 s[40:41], exec, s[8:9]
; %bb.2182:                             ;   in Loop: Header=BB4_2086 Depth=3
	v_bfe_u32 v15, v16, 16, 1
	v_add3_u32 v15, v16, v15, s47
                                        ; implicit-def: $vgpr16
; %bb.2183:                             ;   in Loop: Header=BB4_2086 Depth=3
	s_andn2_saveexec_b64 s[40:41], s[40:41]
; %bb.2184:                             ;   in Loop: Header=BB4_2086 Depth=3
	v_or_b32_e32 v15, 0x10000, v16
	v_cmp_eq_u32_sdwa vcc, v16, v2 src0_sel:WORD_0 src1_sel:DWORD
	v_cndmask_b32_e32 v15, v15, v16, vcc
; %bb.2185:                             ;   in Loop: Header=BB4_2086 Depth=3
	s_or_b64 exec, exec, s[40:41]
	v_and_b32_e32 v0, 0xffff0000, v0
	v_mul_f32_e32 v16, v29, v0
	v_and_b32_e32 v0, 0x7f800000, v16
	v_cmp_ne_u32_e32 vcc, s46, v0
                                        ; implicit-def: $vgpr0
	s_and_saveexec_b64 s[8:9], vcc
	s_xor_b64 s[40:41], exec, s[8:9]
; %bb.2186:                             ;   in Loop: Header=BB4_2086 Depth=3
	v_bfe_u32 v0, v16, 16, 1
	v_add3_u32 v0, v16, v0, s47
                                        ; implicit-def: $vgpr16
; %bb.2187:                             ;   in Loop: Header=BB4_2086 Depth=3
	s_andn2_saveexec_b64 s[40:41], s[40:41]
; %bb.2188:                             ;   in Loop: Header=BB4_2086 Depth=3
	v_or_b32_e32 v0, 0x10000, v16
	v_cmp_eq_u32_sdwa vcc, v16, v2 src0_sel:WORD_0 src1_sel:DWORD
	v_cndmask_b32_e32 v0, v0, v16, vcc
; %bb.2189:                             ;   in Loop: Header=BB4_2086 Depth=3
	s_or_b64 exec, exec, s[40:41]
	buffer_load_dword v17, off, s[0:3], s33 offset:80
	buffer_load_dword v16, off, s[0:3], s33 offset:84
	;; [unrolled: 1-line block ×4, first 2 shown]
	v_and_b32_e32 v20, 0xffff0000, v20
	s_waitcnt vmcnt(3)
	v_lshlrev_b32_e32 v48, 16, v17
	v_add_f32_e32 v50, v20, v48
	v_and_b32_e32 v20, 0x7f800000, v50
	v_cmp_ne_u32_e32 vcc, s46, v20
                                        ; implicit-def: $vgpr20
	s_and_saveexec_b64 s[8:9], vcc
	s_xor_b64 s[40:41], exec, s[8:9]
; %bb.2190:                             ;   in Loop: Header=BB4_2086 Depth=3
	v_bfe_u32 v20, v50, 16, 1
	v_add3_u32 v20, v50, v20, s47
                                        ; implicit-def: $vgpr50
; %bb.2191:                             ;   in Loop: Header=BB4_2086 Depth=3
	s_andn2_saveexec_b64 s[40:41], s[40:41]
; %bb.2192:                             ;   in Loop: Header=BB4_2086 Depth=3
	v_or_b32_e32 v20, 0x10000, v50
	v_cmp_eq_u32_sdwa vcc, v50, v2 src0_sel:WORD_0 src1_sel:DWORD
	v_cndmask_b32_e32 v20, v20, v50, vcc
; %bb.2193:                             ;   in Loop: Header=BB4_2086 Depth=3
	s_or_b64 exec, exec, s[40:41]
	v_and_b32_e32 v31, 0xffff0000, v31
	v_and_b32_e32 v17, 0xffff0000, v17
	v_add_f32_e32 v17, v31, v17
	v_and_b32_e32 v31, 0x7f800000, v17
	v_cmp_ne_u32_e32 vcc, s46, v31
                                        ; implicit-def: $vgpr31
	s_and_saveexec_b64 s[8:9], vcc
	s_xor_b64 s[40:41], exec, s[8:9]
; %bb.2194:                             ;   in Loop: Header=BB4_2086 Depth=3
	v_bfe_u32 v31, v17, 16, 1
	v_add3_u32 v31, v17, v31, s47
                                        ; implicit-def: $vgpr17
; %bb.2195:                             ;   in Loop: Header=BB4_2086 Depth=3
	s_andn2_saveexec_b64 s[40:41], s[40:41]
; %bb.2196:                             ;   in Loop: Header=BB4_2086 Depth=3
	v_or_b32_e32 v31, 0x10000, v17
	v_cmp_eq_u32_sdwa vcc, v17, v2 src0_sel:WORD_0 src1_sel:DWORD
	v_cndmask_b32_e32 v31, v31, v17, vcc
; %bb.2197:                             ;   in Loop: Header=BB4_2086 Depth=3
	s_or_b64 exec, exec, s[40:41]
	v_and_b32_e32 v17, 0xffff0000, v30
	s_waitcnt vmcnt(2)
	v_lshlrev_b32_e32 v30, 16, v16
	v_add_f32_e32 v17, v17, v30
	v_and_b32_e32 v30, 0x7f800000, v17
	v_cmp_ne_u32_e32 vcc, s46, v30
                                        ; implicit-def: $vgpr30
	s_and_saveexec_b64 s[8:9], vcc
	s_xor_b64 s[40:41], exec, s[8:9]
; %bb.2198:                             ;   in Loop: Header=BB4_2086 Depth=3
	v_bfe_u32 v30, v17, 16, 1
	v_add3_u32 v30, v17, v30, s47
                                        ; implicit-def: $vgpr17
; %bb.2199:                             ;   in Loop: Header=BB4_2086 Depth=3
	s_andn2_saveexec_b64 s[40:41], s[40:41]
; %bb.2200:                             ;   in Loop: Header=BB4_2086 Depth=3
	v_or_b32_e32 v30, 0x10000, v17
	v_cmp_eq_u32_sdwa vcc, v17, v2 src0_sel:WORD_0 src1_sel:DWORD
	v_cndmask_b32_e32 v30, v30, v17, vcc
; %bb.2201:                             ;   in Loop: Header=BB4_2086 Depth=3
	s_or_b64 exec, exec, s[40:41]
	v_and_b32_e32 v16, 0xffff0000, v16
	v_and_b32_e32 v17, 0xffff0000, v21
	v_add_f32_e32 v16, v17, v16
	v_and_b32_e32 v17, 0x7f800000, v16
	v_cmp_ne_u32_e32 vcc, s46, v17
                                        ; implicit-def: $vgpr21
	s_and_saveexec_b64 s[8:9], vcc
	s_xor_b64 s[40:41], exec, s[8:9]
; %bb.2202:                             ;   in Loop: Header=BB4_2086 Depth=3
	v_bfe_u32 v17, v16, 16, 1
	v_add3_u32 v21, v16, v17, s47
                                        ; implicit-def: $vgpr16
; %bb.2203:                             ;   in Loop: Header=BB4_2086 Depth=3
	s_andn2_saveexec_b64 s[40:41], s[40:41]
; %bb.2204:                             ;   in Loop: Header=BB4_2086 Depth=3
	v_or_b32_e32 v17, 0x10000, v16
	v_cmp_eq_u32_sdwa vcc, v16, v2 src0_sel:WORD_0 src1_sel:DWORD
	v_cndmask_b32_e32 v21, v17, v16, vcc
; %bb.2205:                             ;   in Loop: Header=BB4_2086 Depth=3
	s_or_b64 exec, exec, s[40:41]
	v_and_b32_e32 v16, 0xffff0000, v28
	s_waitcnt vmcnt(1)
	v_lshlrev_b32_e32 v17, 16, v35
	v_add_f32_e32 v16, v16, v17
	v_and_b32_e32 v17, 0x7f800000, v16
	v_cmp_ne_u32_e32 vcc, s46, v17
                                        ; implicit-def: $vgpr28
	s_and_saveexec_b64 s[8:9], vcc
	s_xor_b64 s[40:41], exec, s[8:9]
; %bb.2206:                             ;   in Loop: Header=BB4_2086 Depth=3
	v_bfe_u32 v17, v16, 16, 1
	v_add3_u32 v28, v16, v17, s47
                                        ; implicit-def: $vgpr16
; %bb.2207:                             ;   in Loop: Header=BB4_2086 Depth=3
	s_andn2_saveexec_b64 s[40:41], s[40:41]
; %bb.2208:                             ;   in Loop: Header=BB4_2086 Depth=3
	v_or_b32_e32 v17, 0x10000, v16
	v_cmp_eq_u32_sdwa vcc, v16, v2 src0_sel:WORD_0 src1_sel:DWORD
	v_cndmask_b32_e32 v28, v17, v16, vcc
; %bb.2209:                             ;   in Loop: Header=BB4_2086 Depth=3
	s_or_b64 exec, exec, s[40:41]
	v_and_b32_e32 v16, 0xffff0000, v35
	v_and_b32_e32 v13, 0xffff0000, v13
	v_add_f32_e32 v16, v13, v16
	v_and_b32_e32 v13, 0x7f800000, v16
	v_cmp_ne_u32_e32 vcc, s46, v13
                                        ; implicit-def: $vgpr13
	s_and_saveexec_b64 s[8:9], vcc
	s_xor_b64 s[40:41], exec, s[8:9]
; %bb.2210:                             ;   in Loop: Header=BB4_2086 Depth=3
	v_bfe_u32 v13, v16, 16, 1
	v_add3_u32 v13, v16, v13, s47
                                        ; implicit-def: $vgpr16
; %bb.2211:                             ;   in Loop: Header=BB4_2086 Depth=3
	s_andn2_saveexec_b64 s[40:41], s[40:41]
; %bb.2212:                             ;   in Loop: Header=BB4_2086 Depth=3
	v_or_b32_e32 v13, 0x10000, v16
	v_cmp_eq_u32_sdwa vcc, v16, v2 src0_sel:WORD_0 src1_sel:DWORD
	v_cndmask_b32_e32 v13, v13, v16, vcc
; %bb.2213:                             ;   in Loop: Header=BB4_2086 Depth=3
	s_or_b64 exec, exec, s[40:41]
	v_and_b32_e32 v15, 0xffff0000, v15
	s_waitcnt vmcnt(0)
	v_lshlrev_b32_e32 v16, 16, v34
	v_add_f32_e32 v16, v15, v16
	v_and_b32_e32 v15, 0x7f800000, v16
	v_cmp_ne_u32_e32 vcc, s46, v15
                                        ; implicit-def: $vgpr15
	s_and_saveexec_b64 s[8:9], vcc
	s_xor_b64 s[40:41], exec, s[8:9]
; %bb.2214:                             ;   in Loop: Header=BB4_2086 Depth=3
	v_bfe_u32 v15, v16, 16, 1
	v_add3_u32 v15, v16, v15, s47
                                        ; implicit-def: $vgpr16
; %bb.2215:                             ;   in Loop: Header=BB4_2086 Depth=3
	s_andn2_saveexec_b64 s[40:41], s[40:41]
; %bb.2216:                             ;   in Loop: Header=BB4_2086 Depth=3
	v_or_b32_e32 v15, 0x10000, v16
	v_cmp_eq_u32_sdwa vcc, v16, v2 src0_sel:WORD_0 src1_sel:DWORD
	v_cndmask_b32_e32 v15, v15, v16, vcc
; %bb.2217:                             ;   in Loop: Header=BB4_2086 Depth=3
	s_or_b64 exec, exec, s[40:41]
	v_and_b32_e32 v16, 0xffff0000, v34
	v_and_b32_e32 v0, 0xffff0000, v0
	v_add_f32_e32 v16, v0, v16
	v_and_b32_e32 v0, 0x7f800000, v16
	v_cmp_ne_u32_e32 vcc, s46, v0
                                        ; implicit-def: $vgpr0
	s_and_saveexec_b64 s[8:9], vcc
	s_xor_b64 s[40:41], exec, s[8:9]
; %bb.2218:                             ;   in Loop: Header=BB4_2086 Depth=3
	v_bfe_u32 v0, v16, 16, 1
	v_add3_u32 v0, v16, v0, s47
                                        ; implicit-def: $vgpr16
; %bb.2219:                             ;   in Loop: Header=BB4_2086 Depth=3
	s_andn2_saveexec_b64 s[40:41], s[40:41]
; %bb.2220:                             ;   in Loop: Header=BB4_2086 Depth=3
	v_or_b32_e32 v0, 0x10000, v16
	v_cmp_eq_u32_sdwa vcc, v16, v2 src0_sel:WORD_0 src1_sel:DWORD
	v_cndmask_b32_e32 v0, v0, v16, vcc
; %bb.2221:                             ;   in Loop: Header=BB4_2086 Depth=3
	s_or_b64 exec, exec, s[40:41]
	v_lshrrev_b32_e32 v16, 16, v30
	v_and_or_b32 v51, v21, s44, v16
	v_lshrrev_b32_e32 v16, 16, v20
	v_and_or_b32 v50, v31, s44, v16
	;; [unrolled: 2-line block ×4, first 2 shown]
	buffer_store_dword v51, off, s[0:3], s33 offset:68
	buffer_store_dword v50, off, s[0:3], s33 offset:64
	;; [unrolled: 1-line block ×4, first 2 shown]
	global_store_dwordx4 v[10:11], v[50:53], off glc slc
	v_add_co_u32_e32 v10, vcc, 0x400, v10
	v_sub_u32_e32 v23, v23, v59
	v_addc_co_u32_e32 v11, vcc, 0, v11, vcc
	s_and_saveexec_b64 s[40:41], s[94:95]
	s_cbranch_execz .LBB4_2085
; %bb.2222:                             ;   in Loop: Header=BB4_2086 Depth=3
	buffer_load_dword v0, off, s[0:3], s33 offset:128 ; 4-byte Folded Reload
	v_sub_u32_e32 v23, v23, v59
	s_waitcnt vmcnt(0)
	v_add_co_u32_e32 v24, vcc, v24, v0
	v_addc_co_u32_e32 v25, vcc, v25, v49, vcc
	v_add_co_u32_e32 v26, vcc, v26, v0
	v_addc_co_u32_e32 v27, vcc, v27, v49, vcc
	v_add_co_u32_e32 v10, vcc, v10, v0
	v_lshlrev_b32_e32 v0, 10, v59
	v_addc_co_u32_e32 v11, vcc, v11, v49, vcc
	v_sub_u32_e32 v3, v3, v0
	s_branch .LBB4_2085
.LBB4_2223:                             ;   in Loop: Header=BB4_1416 Depth=2
	v_cmp_lt_i32_e64 s[28:29], 0, v58
	s_and_saveexec_b64 s[40:41], s[10:11]
	s_cbranch_execnz .LBB4_2649
	s_branch .LBB4_2667
.LBB4_2224:                             ;   in Loop: Header=BB4_1416 Depth=2
	s_mov_b64 s[42:43], 0
	s_andn2_b64 vcc, exec, s[40:41]
	v_mov_b32_e32 v26, 0
	s_cbranch_vccz .LBB4_2083
.LBB4_2225:                             ;   in Loop: Header=BB4_1416 Depth=2
	buffer_load_dword v0, off, s[0:3], s33 offset:216 ; 4-byte Folded Reload
	buffer_load_dword v27, off, s[0:3], s33 offset:200 ; 4-byte Folded Reload
	s_and_saveexec_b64 s[40:41], s[42:43]
	s_cbranch_execnz .LBB4_2505
	s_branch .LBB4_2648
.LBB4_2226:                             ;   in Loop: Header=BB4_1416 Depth=2
	s_or_b64 exec, exec, s[90:91]
	s_and_b64 s[90:91], s[92:93], exec
.LBB4_2227:                             ;   in Loop: Header=BB4_1416 Depth=2
	s_or_b64 exec, exec, s[88:89]
	s_and_saveexec_b64 s[40:41], s[90:91]
	s_cbranch_execz .LBB4_2293
; %bb.2228:                             ;   in Loop: Header=BB4_1416 Depth=2
	s_trap 2
	buffer_load_dword v16, off, s[0:3], s33 offset:96
	buffer_load_dword v13, off, s[0:3], s33 offset:100
	;; [unrolled: 1-line block ×4, first 2 shown]
	s_waitcnt vmcnt(0)
	ds_read_b32 v15, v0
	s_waitcnt lgkmcnt(0)
	v_lshlrev_b32_e32 v26, 16, v15
	v_lshlrev_b32_e32 v15, 16, v16
	v_mul_f32_e32 v17, v26, v15
	v_and_b32_e32 v15, 0x7f800000, v17
	v_cmp_ne_u32_e32 vcc, s46, v15
                                        ; implicit-def: $vgpr15
	s_and_saveexec_b64 s[8:9], vcc
	s_xor_b64 s[88:89], exec, s[8:9]
; %bb.2229:                             ;   in Loop: Header=BB4_1416 Depth=2
	v_bfe_u32 v15, v17, 16, 1
	v_add3_u32 v15, v17, v15, s47
                                        ; implicit-def: $vgpr17
; %bb.2230:                             ;   in Loop: Header=BB4_1416 Depth=2
	s_andn2_saveexec_b64 s[88:89], s[88:89]
; %bb.2231:                             ;   in Loop: Header=BB4_1416 Depth=2
	v_or_b32_e32 v15, 0x10000, v17
	v_cmp_eq_u32_sdwa vcc, v17, v2 src0_sel:WORD_0 src1_sel:DWORD
	v_cndmask_b32_e32 v15, v15, v17, vcc
; %bb.2232:                             ;   in Loop: Header=BB4_1416 Depth=2
	s_or_b64 exec, exec, s[88:89]
	v_and_b32_e32 v16, 0xffff0000, v16
	v_mul_f32_e32 v16, v26, v16
	v_and_b32_e32 v17, 0x7f800000, v16
	v_cmp_ne_u32_e32 vcc, s46, v17
                                        ; implicit-def: $vgpr25
	s_and_saveexec_b64 s[8:9], vcc
	s_xor_b64 s[88:89], exec, s[8:9]
; %bb.2233:                             ;   in Loop: Header=BB4_1416 Depth=2
	v_bfe_u32 v17, v16, 16, 1
	v_add3_u32 v25, v16, v17, s47
                                        ; implicit-def: $vgpr16
; %bb.2234:                             ;   in Loop: Header=BB4_1416 Depth=2
	s_andn2_saveexec_b64 s[88:89], s[88:89]
; %bb.2235:                             ;   in Loop: Header=BB4_1416 Depth=2
	v_or_b32_e32 v17, 0x10000, v16
	v_cmp_eq_u32_sdwa vcc, v16, v2 src0_sel:WORD_0 src1_sel:DWORD
	v_cndmask_b32_e32 v25, v17, v16, vcc
; %bb.2236:                             ;   in Loop: Header=BB4_1416 Depth=2
	s_or_b64 exec, exec, s[88:89]
	v_lshlrev_b32_e32 v16, 16, v13
	v_mul_f32_e32 v16, v26, v16
	v_and_b32_e32 v17, 0x7f800000, v16
	v_cmp_ne_u32_e32 vcc, s46, v17
                                        ; implicit-def: $vgpr24
	s_and_saveexec_b64 s[8:9], vcc
	s_xor_b64 s[88:89], exec, s[8:9]
; %bb.2237:                             ;   in Loop: Header=BB4_1416 Depth=2
	v_bfe_u32 v17, v16, 16, 1
	v_add3_u32 v24, v16, v17, s47
                                        ; implicit-def: $vgpr16
; %bb.2238:                             ;   in Loop: Header=BB4_1416 Depth=2
	s_andn2_saveexec_b64 s[88:89], s[88:89]
; %bb.2239:                             ;   in Loop: Header=BB4_1416 Depth=2
	v_or_b32_e32 v17, 0x10000, v16
	v_cmp_eq_u32_sdwa vcc, v16, v2 src0_sel:WORD_0 src1_sel:DWORD
	v_cndmask_b32_e32 v24, v17, v16, vcc
; %bb.2240:                             ;   in Loop: Header=BB4_1416 Depth=2
	s_or_b64 exec, exec, s[88:89]
	v_and_b32_e32 v13, 0xffff0000, v13
	v_mul_f32_e32 v13, v26, v13
	v_and_b32_e32 v16, 0x7f800000, v13
	v_cmp_ne_u32_e32 vcc, s46, v16
                                        ; implicit-def: $vgpr20
	s_and_saveexec_b64 s[8:9], vcc
	s_xor_b64 s[88:89], exec, s[8:9]
; %bb.2241:                             ;   in Loop: Header=BB4_1416 Depth=2
	v_bfe_u32 v16, v13, 16, 1
	v_add3_u32 v20, v13, v16, s47
                                        ; implicit-def: $vgpr13
; %bb.2242:                             ;   in Loop: Header=BB4_1416 Depth=2
	s_andn2_saveexec_b64 s[88:89], s[88:89]
; %bb.2243:                             ;   in Loop: Header=BB4_1416 Depth=2
	v_or_b32_e32 v16, 0x10000, v13
	v_cmp_eq_u32_sdwa vcc, v13, v2 src0_sel:WORD_0 src1_sel:DWORD
	v_cndmask_b32_e32 v20, v16, v13, vcc
; %bb.2244:                             ;   in Loop: Header=BB4_1416 Depth=2
	s_or_b64 exec, exec, s[88:89]
	v_lshlrev_b32_e32 v13, 16, v3
	v_mul_f32_e32 v13, v26, v13
	v_and_b32_e32 v16, 0x7f800000, v13
	v_cmp_ne_u32_e32 vcc, s46, v16
                                        ; implicit-def: $vgpr21
	s_and_saveexec_b64 s[8:9], vcc
	s_xor_b64 s[88:89], exec, s[8:9]
; %bb.2245:                             ;   in Loop: Header=BB4_1416 Depth=2
	v_bfe_u32 v16, v13, 16, 1
	v_add3_u32 v21, v13, v16, s47
                                        ; implicit-def: $vgpr13
; %bb.2246:                             ;   in Loop: Header=BB4_1416 Depth=2
	s_andn2_saveexec_b64 s[88:89], s[88:89]
; %bb.2247:                             ;   in Loop: Header=BB4_1416 Depth=2
	v_or_b32_e32 v16, 0x10000, v13
	v_cmp_eq_u32_sdwa vcc, v13, v2 src0_sel:WORD_0 src1_sel:DWORD
	v_cndmask_b32_e32 v21, v16, v13, vcc
; %bb.2248:                             ;   in Loop: Header=BB4_1416 Depth=2
	s_or_b64 exec, exec, s[88:89]
	v_and_b32_e32 v3, 0xffff0000, v3
	v_mul_f32_e32 v13, v26, v3
	v_and_b32_e32 v3, 0x7f800000, v13
	v_cmp_ne_u32_e32 vcc, s46, v3
                                        ; implicit-def: $vgpr3
	s_and_saveexec_b64 s[8:9], vcc
	s_xor_b64 s[88:89], exec, s[8:9]
; %bb.2249:                             ;   in Loop: Header=BB4_1416 Depth=2
	v_bfe_u32 v3, v13, 16, 1
	v_add3_u32 v3, v13, v3, s47
                                        ; implicit-def: $vgpr13
; %bb.2250:                             ;   in Loop: Header=BB4_1416 Depth=2
	s_andn2_saveexec_b64 s[88:89], s[88:89]
; %bb.2251:                             ;   in Loop: Header=BB4_1416 Depth=2
	v_or_b32_e32 v3, 0x10000, v13
	v_cmp_eq_u32_sdwa vcc, v13, v2 src0_sel:WORD_0 src1_sel:DWORD
	v_cndmask_b32_e32 v3, v3, v13, vcc
; %bb.2252:                             ;   in Loop: Header=BB4_1416 Depth=2
	s_or_b64 exec, exec, s[88:89]
	v_lshlrev_b32_e32 v13, 16, v0
	v_mul_f32_e32 v16, v26, v13
	v_and_b32_e32 v13, 0x7f800000, v16
	v_cmp_ne_u32_e32 vcc, s46, v13
                                        ; implicit-def: $vgpr13
	s_and_saveexec_b64 s[8:9], vcc
	s_xor_b64 s[88:89], exec, s[8:9]
; %bb.2253:                             ;   in Loop: Header=BB4_1416 Depth=2
	v_bfe_u32 v13, v16, 16, 1
	v_add3_u32 v13, v16, v13, s47
                                        ; implicit-def: $vgpr16
; %bb.2254:                             ;   in Loop: Header=BB4_1416 Depth=2
	s_andn2_saveexec_b64 s[88:89], s[88:89]
; %bb.2255:                             ;   in Loop: Header=BB4_1416 Depth=2
	v_or_b32_e32 v13, 0x10000, v16
	v_cmp_eq_u32_sdwa vcc, v16, v2 src0_sel:WORD_0 src1_sel:DWORD
	v_cndmask_b32_e32 v13, v13, v16, vcc
; %bb.2256:                             ;   in Loop: Header=BB4_1416 Depth=2
	s_or_b64 exec, exec, s[88:89]
	v_and_b32_e32 v0, 0xffff0000, v0
	v_mul_f32_e32 v16, v26, v0
	v_and_b32_e32 v0, 0x7f800000, v16
	v_cmp_ne_u32_e32 vcc, s46, v0
                                        ; implicit-def: $vgpr0
	s_and_saveexec_b64 s[8:9], vcc
	s_xor_b64 s[88:89], exec, s[8:9]
; %bb.2257:                             ;   in Loop: Header=BB4_1416 Depth=2
	v_bfe_u32 v0, v16, 16, 1
	v_add3_u32 v0, v16, v0, s47
                                        ; implicit-def: $vgpr16
; %bb.2258:                             ;   in Loop: Header=BB4_1416 Depth=2
	s_andn2_saveexec_b64 s[88:89], s[88:89]
; %bb.2259:                             ;   in Loop: Header=BB4_1416 Depth=2
	v_or_b32_e32 v0, 0x10000, v16
	v_cmp_eq_u32_sdwa vcc, v16, v2 src0_sel:WORD_0 src1_sel:DWORD
	v_cndmask_b32_e32 v0, v0, v16, vcc
; %bb.2260:                             ;   in Loop: Header=BB4_1416 Depth=2
	s_or_b64 exec, exec, s[88:89]
	buffer_load_dword v17, off, s[0:3], s33 offset:112
	buffer_load_dword v16, off, s[0:3], s33 offset:116
	;; [unrolled: 1-line block ×4, first 2 shown]
	v_and_b32_e32 v15, 0xffff0000, v15
	s_waitcnt vmcnt(3)
	v_lshlrev_b32_e32 v28, 16, v17
	v_add_f32_e32 v28, v15, v28
	v_and_b32_e32 v15, 0x7f800000, v28
	v_cmp_ne_u32_e32 vcc, s46, v15
                                        ; implicit-def: $vgpr15
	s_and_saveexec_b64 s[8:9], vcc
	s_xor_b64 s[88:89], exec, s[8:9]
; %bb.2261:                             ;   in Loop: Header=BB4_1416 Depth=2
	v_bfe_u32 v15, v28, 16, 1
	v_add3_u32 v15, v28, v15, s47
                                        ; implicit-def: $vgpr28
; %bb.2262:                             ;   in Loop: Header=BB4_1416 Depth=2
	s_andn2_saveexec_b64 s[88:89], s[88:89]
; %bb.2263:                             ;   in Loop: Header=BB4_1416 Depth=2
	v_or_b32_e32 v15, 0x10000, v28
	v_cmp_eq_u32_sdwa vcc, v28, v2 src0_sel:WORD_0 src1_sel:DWORD
	v_cndmask_b32_e32 v15, v15, v28, vcc
; %bb.2264:                             ;   in Loop: Header=BB4_1416 Depth=2
	s_or_b64 exec, exec, s[88:89]
	v_and_b32_e32 v25, 0xffff0000, v25
	v_and_b32_e32 v17, 0xffff0000, v17
	v_add_f32_e32 v17, v25, v17
	v_and_b32_e32 v25, 0x7f800000, v17
	v_cmp_ne_u32_e32 vcc, s46, v25
                                        ; implicit-def: $vgpr25
	s_and_saveexec_b64 s[8:9], vcc
	s_xor_b64 s[88:89], exec, s[8:9]
; %bb.2265:                             ;   in Loop: Header=BB4_1416 Depth=2
	v_bfe_u32 v25, v17, 16, 1
	v_add3_u32 v25, v17, v25, s47
                                        ; implicit-def: $vgpr17
; %bb.2266:                             ;   in Loop: Header=BB4_1416 Depth=2
	s_andn2_saveexec_b64 s[88:89], s[88:89]
; %bb.2267:                             ;   in Loop: Header=BB4_1416 Depth=2
	v_or_b32_e32 v25, 0x10000, v17
	v_cmp_eq_u32_sdwa vcc, v17, v2 src0_sel:WORD_0 src1_sel:DWORD
	v_cndmask_b32_e32 v25, v25, v17, vcc
; %bb.2268:                             ;   in Loop: Header=BB4_1416 Depth=2
	s_or_b64 exec, exec, s[88:89]
	v_and_b32_e32 v17, 0xffff0000, v24
	s_waitcnt vmcnt(2)
	v_lshlrev_b32_e32 v24, 16, v16
	v_add_f32_e32 v17, v17, v24
	v_and_b32_e32 v24, 0x7f800000, v17
	v_cmp_ne_u32_e32 vcc, s46, v24
                                        ; implicit-def: $vgpr24
	s_and_saveexec_b64 s[8:9], vcc
	s_xor_b64 s[88:89], exec, s[8:9]
; %bb.2269:                             ;   in Loop: Header=BB4_1416 Depth=2
	v_bfe_u32 v24, v17, 16, 1
	v_add3_u32 v24, v17, v24, s47
                                        ; implicit-def: $vgpr17
; %bb.2270:                             ;   in Loop: Header=BB4_1416 Depth=2
	s_andn2_saveexec_b64 s[88:89], s[88:89]
; %bb.2271:                             ;   in Loop: Header=BB4_1416 Depth=2
	v_or_b32_e32 v24, 0x10000, v17
	v_cmp_eq_u32_sdwa vcc, v17, v2 src0_sel:WORD_0 src1_sel:DWORD
	v_cndmask_b32_e32 v24, v24, v17, vcc
; %bb.2272:                             ;   in Loop: Header=BB4_1416 Depth=2
	s_or_b64 exec, exec, s[88:89]
	v_and_b32_e32 v16, 0xffff0000, v16
	v_and_b32_e32 v17, 0xffff0000, v20
	v_add_f32_e32 v16, v17, v16
	v_and_b32_e32 v17, 0x7f800000, v16
	v_cmp_ne_u32_e32 vcc, s46, v17
                                        ; implicit-def: $vgpr20
	s_and_saveexec_b64 s[8:9], vcc
	s_xor_b64 s[88:89], exec, s[8:9]
; %bb.2273:                             ;   in Loop: Header=BB4_1416 Depth=2
	v_bfe_u32 v17, v16, 16, 1
	v_add3_u32 v20, v16, v17, s47
                                        ; implicit-def: $vgpr16
; %bb.2274:                             ;   in Loop: Header=BB4_1416 Depth=2
	s_andn2_saveexec_b64 s[88:89], s[88:89]
; %bb.2275:                             ;   in Loop: Header=BB4_1416 Depth=2
	v_or_b32_e32 v17, 0x10000, v16
	v_cmp_eq_u32_sdwa vcc, v16, v2 src0_sel:WORD_0 src1_sel:DWORD
	v_cndmask_b32_e32 v20, v17, v16, vcc
; %bb.2276:                             ;   in Loop: Header=BB4_1416 Depth=2
	s_or_b64 exec, exec, s[88:89]
	v_and_b32_e32 v16, 0xffff0000, v21
	s_waitcnt vmcnt(1)
	v_lshlrev_b32_e32 v17, 16, v27
	v_add_f32_e32 v16, v16, v17
	v_and_b32_e32 v17, 0x7f800000, v16
	v_cmp_ne_u32_e32 vcc, s46, v17
                                        ; implicit-def: $vgpr21
	s_and_saveexec_b64 s[8:9], vcc
	s_xor_b64 s[88:89], exec, s[8:9]
; %bb.2277:                             ;   in Loop: Header=BB4_1416 Depth=2
	v_bfe_u32 v17, v16, 16, 1
	v_add3_u32 v21, v16, v17, s47
                                        ; implicit-def: $vgpr16
; %bb.2278:                             ;   in Loop: Header=BB4_1416 Depth=2
	s_andn2_saveexec_b64 s[88:89], s[88:89]
; %bb.2279:                             ;   in Loop: Header=BB4_1416 Depth=2
	v_or_b32_e32 v17, 0x10000, v16
	v_cmp_eq_u32_sdwa vcc, v16, v2 src0_sel:WORD_0 src1_sel:DWORD
	v_cndmask_b32_e32 v21, v17, v16, vcc
; %bb.2280:                             ;   in Loop: Header=BB4_1416 Depth=2
	s_or_b64 exec, exec, s[88:89]
	v_and_b32_e32 v16, 0xffff0000, v27
	v_and_b32_e32 v3, 0xffff0000, v3
	v_add_f32_e32 v16, v3, v16
	v_and_b32_e32 v3, 0x7f800000, v16
	v_cmp_ne_u32_e32 vcc, s46, v3
                                        ; implicit-def: $vgpr3
	s_and_saveexec_b64 s[8:9], vcc
	s_xor_b64 s[88:89], exec, s[8:9]
; %bb.2281:                             ;   in Loop: Header=BB4_1416 Depth=2
	v_bfe_u32 v3, v16, 16, 1
	v_add3_u32 v3, v16, v3, s47
                                        ; implicit-def: $vgpr16
; %bb.2282:                             ;   in Loop: Header=BB4_1416 Depth=2
	s_andn2_saveexec_b64 s[88:89], s[88:89]
; %bb.2283:                             ;   in Loop: Header=BB4_1416 Depth=2
	v_or_b32_e32 v3, 0x10000, v16
	v_cmp_eq_u32_sdwa vcc, v16, v2 src0_sel:WORD_0 src1_sel:DWORD
	v_cndmask_b32_e32 v3, v3, v16, vcc
; %bb.2284:                             ;   in Loop: Header=BB4_1416 Depth=2
	s_or_b64 exec, exec, s[88:89]
	v_and_b32_e32 v13, 0xffff0000, v13
	s_waitcnt vmcnt(0)
	v_lshlrev_b32_e32 v16, 16, v26
	v_add_f32_e32 v16, v13, v16
	v_and_b32_e32 v13, 0x7f800000, v16
	v_cmp_ne_u32_e32 vcc, s46, v13
                                        ; implicit-def: $vgpr13
	s_and_saveexec_b64 s[8:9], vcc
	s_xor_b64 s[88:89], exec, s[8:9]
; %bb.2285:                             ;   in Loop: Header=BB4_1416 Depth=2
	v_bfe_u32 v13, v16, 16, 1
	v_add3_u32 v13, v16, v13, s47
                                        ; implicit-def: $vgpr16
; %bb.2286:                             ;   in Loop: Header=BB4_1416 Depth=2
	s_andn2_saveexec_b64 s[88:89], s[88:89]
; %bb.2287:                             ;   in Loop: Header=BB4_1416 Depth=2
	v_or_b32_e32 v13, 0x10000, v16
	v_cmp_eq_u32_sdwa vcc, v16, v2 src0_sel:WORD_0 src1_sel:DWORD
	v_cndmask_b32_e32 v13, v13, v16, vcc
; %bb.2288:                             ;   in Loop: Header=BB4_1416 Depth=2
	s_or_b64 exec, exec, s[88:89]
	v_and_b32_e32 v16, 0xffff0000, v26
	v_and_b32_e32 v0, 0xffff0000, v0
	v_add_f32_e32 v16, v0, v16
	v_and_b32_e32 v0, 0x7f800000, v16
	v_cmp_ne_u32_e32 vcc, s46, v0
                                        ; implicit-def: $vgpr0
	s_and_saveexec_b64 s[8:9], vcc
	s_xor_b64 s[88:89], exec, s[8:9]
; %bb.2289:                             ;   in Loop: Header=BB4_1416 Depth=2
	v_bfe_u32 v0, v16, 16, 1
	v_add3_u32 v0, v16, v0, s47
                                        ; implicit-def: $vgpr16
; %bb.2290:                             ;   in Loop: Header=BB4_1416 Depth=2
	s_andn2_saveexec_b64 s[88:89], s[88:89]
; %bb.2291:                             ;   in Loop: Header=BB4_1416 Depth=2
	v_or_b32_e32 v0, 0x10000, v16
	v_cmp_eq_u32_sdwa vcc, v16, v2 src0_sel:WORD_0 src1_sel:DWORD
	v_cndmask_b32_e32 v0, v0, v16, vcc
; %bb.2292:                             ;   in Loop: Header=BB4_1416 Depth=2
	s_or_b64 exec, exec, s[88:89]
	v_lshrrev_b32_e32 v15, 16, v15
	v_and_or_b32 v25, v25, s44, v15
	v_lshrrev_b32_e32 v15, 16, v21
	v_lshrrev_b32_e32 v16, 16, v24
	v_and_or_b32 v27, v3, s44, v15
	v_lshrrev_b32_e32 v3, 16, v13
	v_and_or_b32 v26, v20, s44, v16
	v_and_or_b32 v28, v0, s44, v3
	global_store_dwordx4 v[10:11], v[25:28], off glc slc
.LBB4_2293:                             ;   in Loop: Header=BB4_1416 Depth=2
	s_or_b64 exec, exec, s[40:41]
	v_and_b32_e32 v10, 14, v60
	v_cndmask_b32_e64 v3, v22, v10, s[28:29]
	v_cmp_ne_u32_e32 vcc, 0, v3
                                        ; implicit-def: $vgpr60
                                        ; implicit-def: $vgpr26
                                        ; implicit-def: $vgpr0
                                        ; implicit-def: $vgpr27
	s_and_saveexec_b64 s[88:89], vcc
	s_cbranch_execz .LBB4_2504
; %bb.2294:                             ;   in Loop: Header=BB4_1416 Depth=2
	v_sub_u32_e32 v0, v22, v10
	buffer_load_dword v10, off, s[0:3], s33 offset:200 ; 4-byte Folded Reload
	v_cndmask_b32_e64 v0, 0, v0, s[28:29]
	v_cmp_lt_i32_e32 vcc, 0, v23
	v_add_u32_e32 v4, v0, v4
	v_cndmask_b32_e32 v0, 0, v59, vcc
	v_sub_u32_e32 v0, v0, v23
	s_mov_b64 s[92:93], 0
	s_waitcnt vmcnt(0)
	v_lshl_or_b32 v0, v0, 6, v10
	v_ashrrev_i32_e32 v10, 31, v0
	v_lshrrev_b32_e32 v10, 26, v10
	v_add_u32_e32 v10, v0, v10
	v_ashrrev_i32_e32 v11, 6, v10
	v_and_b32_e32 v10, 0xffffffc0, v10
	v_sub_u32_e32 v22, v0, v10
	v_lshlrev_b32_e32 v0, 4, v22
	v_lshl_add_u32 v10, v11, 10, v0
	v_add_u32_e32 v0, v10, v4
	v_sub_u32_e32 v15, v3, v10
	v_ashrrev_i32_e32 v10, 31, v3
	v_lshrrev_b32_e32 v10, 22, v10
	v_add_u32_e32 v10, v3, v10
	v_and_b32_e32 v23, 0xfffffc00, v10
	s_waitcnt lgkmcnt(0)
	v_sub_u32_e32 v24, v3, v23
	v_ashrrev_i32_e32 v13, 10, v10
	v_cmp_lt_i32_e64 s[28:29], 15, v24
	v_addc_co_u32_e64 v10, vcc, 0, v13, s[28:29]
	v_sub_u32_e32 v25, v10, v11
	buffer_load_dword v10, off, s[0:3], s33 offset:244 ; 4-byte Folded Reload
	buffer_load_dword v11, off, s[0:3], s33 offset:248 ; 4-byte Folded Reload
	v_ashrrev_i32_e32 v13, 31, v0
	s_waitcnt vmcnt(1)
	v_add_co_u32_e32 v10, vcc, v0, v10
	s_waitcnt vmcnt(0)
	v_addc_co_u32_e32 v11, vcc, v13, v11, vcc
	v_cmp_lt_i32_e32 vcc, 15, v15
	s_and_saveexec_b64 s[90:91], vcc
	s_cbranch_execz .LBB4_2435
; %bb.2295:                             ;   in Loop: Header=BB4_1416 Depth=2
	v_add_co_u32_e32 v26, vcc, v0, v18
	v_addc_co_u32_e32 v27, vcc, v13, v19, vcc
	v_add_co_u32_e32 v8, vcc, v0, v8
	s_trap 2
	ds_read_b32 v0, v0
	v_addc_co_u32_e32 v9, vcc, v13, v9, vcc
	s_mov_b64 s[30:31], 0
                                        ; implicit-def: $sgpr94_sgpr95
	s_waitcnt lgkmcnt(0)
	v_lshlrev_b32_e32 v29, 16, v0
	s_branch .LBB4_2297
.LBB4_2296:                             ;   in Loop: Header=BB4_2297 Depth=3
	s_or_b64 exec, exec, s[40:41]
	v_cmp_gt_i32_e32 vcc, 16, v15
	s_or_b64 s[92:93], vcc, s[92:93]
	s_andn2_b64 s[8:9], s[94:95], exec
	s_and_b64 s[40:41], s[30:31], exec
	s_or_b64 s[94:95], s[8:9], s[40:41]
	s_andn2_b64 exec, exec, s[92:93]
	s_cbranch_execz .LBB4_2434
.LBB4_2297:                             ;   Parent Loop BB4_47 Depth=1
                                        ;     Parent Loop BB4_1416 Depth=2
                                        ; =>    This Loop Header: Depth=3
                                        ;         Child Loop BB4_2298 Depth 4
                                        ;         Child Loop BB4_2367 Depth 4
	s_lshr_b32 s8, s33, 6
	s_add_i32 s8, s8, 64
	s_mov_b64 s[34:35], -1
	s_mov_b64 s[36:37], 0
.LBB4_2298:                             ;   Parent Loop BB4_47 Depth=1
                                        ;     Parent Loop BB4_1416 Depth=2
                                        ;       Parent Loop BB4_2297 Depth=3
                                        ; =>      This Inner Loop Header: Depth=4
	s_cmp_eq_u32 s36, 1
	s_cselect_b64 s[40:41], -1, 0
	v_cndmask_b32_e64 v17, v27, v9, s[40:41]
	v_cndmask_b32_e64 v16, v26, v8, s[40:41]
	global_load_dwordx4 v[50:53], v[16:17], off glc slc
	v_mov_b32_e32 v0, s8
	s_cmp_eq_u32 s36, 0
	s_mov_b64 s[36:37], 1
	s_mov_b32 s8, s86
	s_waitcnt vmcnt(0)
	buffer_store_dword v51, v0, s[0:3], 0 offen offset:4
	buffer_store_dword v50, v0, s[0:3], 0 offen
	buffer_store_dword v53, v0, s[0:3], 0 offen offset:12
	buffer_store_dword v52, v0, s[0:3], 0 offen offset:8
	v_add_co_u32_e32 v0, vcc, s52, v16
	v_addc_co_u32_e32 v13, vcc, 0, v17, vcc
	s_cselect_b64 vcc, -1, 0
	v_cndmask_b32_e32 v27, v27, v13, vcc
	v_cndmask_b32_e32 v26, v26, v0, vcc
	v_cndmask_b32_e64 v9, v9, v13, s[40:41]
	v_cndmask_b32_e64 v8, v8, v0, s[40:41]
	s_and_b64 vcc, exec, s[34:35]
	s_mov_b64 s[34:35], 0
	s_cbranch_vccnz .LBB4_2298
; %bb.2299:                             ;   in Loop: Header=BB4_2297 Depth=3
	s_and_saveexec_b64 s[40:41], s[30:31]
	s_cbranch_execz .LBB4_2365
; %bb.2300:                             ;   in Loop: Header=BB4_2297 Depth=3
	buffer_load_dword v17, off, s[0:3], s33 offset:96
	buffer_load_dword v16, off, s[0:3], s33 offset:100
	;; [unrolled: 1-line block ×4, first 2 shown]
	s_waitcnt vmcnt(3)
	v_lshlrev_b32_e32 v20, 16, v17
	v_mul_f32_e32 v20, v29, v20
	v_and_b32_e32 v21, 0x7f800000, v20
	v_cmp_ne_u32_e32 vcc, s46, v21
                                        ; implicit-def: $vgpr21
	s_and_saveexec_b64 s[8:9], vcc
	s_xor_b64 vcc, exec, s[8:9]
; %bb.2301:                             ;   in Loop: Header=BB4_2297 Depth=3
	v_bfe_u32 v21, v20, 16, 1
	v_add3_u32 v21, v20, v21, s47
                                        ; implicit-def: $vgpr20
; %bb.2302:                             ;   in Loop: Header=BB4_2297 Depth=3
	s_andn2_saveexec_b64 s[30:31], vcc
; %bb.2303:                             ;   in Loop: Header=BB4_2297 Depth=3
	v_or_b32_e32 v21, 0x10000, v20
	v_cmp_eq_u32_sdwa vcc, v20, v2 src0_sel:WORD_0 src1_sel:DWORD
	v_cndmask_b32_e32 v21, v21, v20, vcc
; %bb.2304:                             ;   in Loop: Header=BB4_2297 Depth=3
	s_or_b64 exec, exec, s[30:31]
	v_and_b32_e32 v17, 0xffff0000, v17
	v_mul_f32_e32 v17, v29, v17
	v_and_b32_e32 v20, 0x7f800000, v17
	v_cmp_ne_u32_e32 vcc, s46, v20
                                        ; implicit-def: $vgpr34
	s_and_saveexec_b64 s[8:9], vcc
	s_xor_b64 vcc, exec, s[8:9]
; %bb.2305:                             ;   in Loop: Header=BB4_2297 Depth=3
	v_bfe_u32 v20, v17, 16, 1
	v_add3_u32 v34, v17, v20, s47
                                        ; implicit-def: $vgpr17
; %bb.2306:                             ;   in Loop: Header=BB4_2297 Depth=3
	s_andn2_saveexec_b64 s[30:31], vcc
; %bb.2307:                             ;   in Loop: Header=BB4_2297 Depth=3
	v_or_b32_e32 v20, 0x10000, v17
	v_cmp_eq_u32_sdwa vcc, v17, v2 src0_sel:WORD_0 src1_sel:DWORD
	v_cndmask_b32_e32 v34, v20, v17, vcc
; %bb.2308:                             ;   in Loop: Header=BB4_2297 Depth=3
	s_or_b64 exec, exec, s[30:31]
	s_waitcnt vmcnt(2)
	v_lshlrev_b32_e32 v17, 16, v16
	v_mul_f32_e32 v17, v29, v17
	v_and_b32_e32 v20, 0x7f800000, v17
	v_cmp_ne_u32_e32 vcc, s46, v20
                                        ; implicit-def: $vgpr31
	s_and_saveexec_b64 s[8:9], vcc
	s_xor_b64 vcc, exec, s[8:9]
; %bb.2309:                             ;   in Loop: Header=BB4_2297 Depth=3
	v_bfe_u32 v20, v17, 16, 1
	v_add3_u32 v31, v17, v20, s47
                                        ; implicit-def: $vgpr17
; %bb.2310:                             ;   in Loop: Header=BB4_2297 Depth=3
	s_andn2_saveexec_b64 s[30:31], vcc
; %bb.2311:                             ;   in Loop: Header=BB4_2297 Depth=3
	v_or_b32_e32 v20, 0x10000, v17
	v_cmp_eq_u32_sdwa vcc, v17, v2 src0_sel:WORD_0 src1_sel:DWORD
	v_cndmask_b32_e32 v31, v20, v17, vcc
; %bb.2312:                             ;   in Loop: Header=BB4_2297 Depth=3
	s_or_b64 exec, exec, s[30:31]
	v_and_b32_e32 v16, 0xffff0000, v16
	v_mul_f32_e32 v16, v29, v16
	v_and_b32_e32 v17, 0x7f800000, v16
	v_cmp_ne_u32_e32 vcc, s46, v17
                                        ; implicit-def: $vgpr28
	s_and_saveexec_b64 s[8:9], vcc
	s_xor_b64 vcc, exec, s[8:9]
; %bb.2313:                             ;   in Loop: Header=BB4_2297 Depth=3
	v_bfe_u32 v17, v16, 16, 1
	v_add3_u32 v28, v16, v17, s47
                                        ; implicit-def: $vgpr16
; %bb.2314:                             ;   in Loop: Header=BB4_2297 Depth=3
	s_andn2_saveexec_b64 s[30:31], vcc
; %bb.2315:                             ;   in Loop: Header=BB4_2297 Depth=3
	v_or_b32_e32 v17, 0x10000, v16
	v_cmp_eq_u32_sdwa vcc, v16, v2 src0_sel:WORD_0 src1_sel:DWORD
	v_cndmask_b32_e32 v28, v17, v16, vcc
; %bb.2316:                             ;   in Loop: Header=BB4_2297 Depth=3
	s_or_b64 exec, exec, s[30:31]
	s_waitcnt vmcnt(1)
	v_lshlrev_b32_e32 v16, 16, v13
	v_mul_f32_e32 v16, v29, v16
	v_and_b32_e32 v17, 0x7f800000, v16
	v_cmp_ne_u32_e32 vcc, s46, v17
                                        ; implicit-def: $vgpr30
	s_and_saveexec_b64 s[8:9], vcc
	s_xor_b64 vcc, exec, s[8:9]
; %bb.2317:                             ;   in Loop: Header=BB4_2297 Depth=3
	v_bfe_u32 v17, v16, 16, 1
	v_add3_u32 v30, v16, v17, s47
                                        ; implicit-def: $vgpr16
; %bb.2318:                             ;   in Loop: Header=BB4_2297 Depth=3
	s_andn2_saveexec_b64 s[30:31], vcc
; %bb.2319:                             ;   in Loop: Header=BB4_2297 Depth=3
	v_or_b32_e32 v17, 0x10000, v16
	v_cmp_eq_u32_sdwa vcc, v16, v2 src0_sel:WORD_0 src1_sel:DWORD
	v_cndmask_b32_e32 v30, v17, v16, vcc
; %bb.2320:                             ;   in Loop: Header=BB4_2297 Depth=3
	s_or_b64 exec, exec, s[30:31]
	v_and_b32_e32 v13, 0xffff0000, v13
	v_mul_f32_e32 v16, v29, v13
	v_and_b32_e32 v13, 0x7f800000, v16
	v_cmp_ne_u32_e32 vcc, s46, v13
                                        ; implicit-def: $vgpr13
	s_and_saveexec_b64 s[8:9], vcc
	s_xor_b64 vcc, exec, s[8:9]
; %bb.2321:                             ;   in Loop: Header=BB4_2297 Depth=3
	v_bfe_u32 v13, v16, 16, 1
	v_add3_u32 v13, v16, v13, s47
                                        ; implicit-def: $vgpr16
; %bb.2322:                             ;   in Loop: Header=BB4_2297 Depth=3
	s_andn2_saveexec_b64 s[30:31], vcc
; %bb.2323:                             ;   in Loop: Header=BB4_2297 Depth=3
	v_or_b32_e32 v13, 0x10000, v16
	v_cmp_eq_u32_sdwa vcc, v16, v2 src0_sel:WORD_0 src1_sel:DWORD
	v_cndmask_b32_e32 v13, v13, v16, vcc
; %bb.2324:                             ;   in Loop: Header=BB4_2297 Depth=3
	s_or_b64 exec, exec, s[30:31]
	s_waitcnt vmcnt(0)
	v_lshlrev_b32_e32 v16, 16, v0
	v_mul_f32_e32 v16, v29, v16
	v_and_b32_e32 v17, 0x7f800000, v16
	v_cmp_ne_u32_e32 vcc, s46, v17
                                        ; implicit-def: $vgpr20
	s_and_saveexec_b64 s[8:9], vcc
	s_xor_b64 vcc, exec, s[8:9]
; %bb.2325:                             ;   in Loop: Header=BB4_2297 Depth=3
	v_bfe_u32 v17, v16, 16, 1
	v_add3_u32 v20, v16, v17, s47
                                        ; implicit-def: $vgpr16
; %bb.2326:                             ;   in Loop: Header=BB4_2297 Depth=3
	s_andn2_saveexec_b64 s[30:31], vcc
; %bb.2327:                             ;   in Loop: Header=BB4_2297 Depth=3
	v_or_b32_e32 v17, 0x10000, v16
	v_cmp_eq_u32_sdwa vcc, v16, v2 src0_sel:WORD_0 src1_sel:DWORD
	v_cndmask_b32_e32 v20, v17, v16, vcc
; %bb.2328:                             ;   in Loop: Header=BB4_2297 Depth=3
	s_or_b64 exec, exec, s[30:31]
	v_and_b32_e32 v0, 0xffff0000, v0
	v_mul_f32_e32 v16, v29, v0
	v_and_b32_e32 v0, 0x7f800000, v16
	v_cmp_ne_u32_e32 vcc, s46, v0
                                        ; implicit-def: $vgpr0
	s_and_saveexec_b64 s[8:9], vcc
	s_xor_b64 vcc, exec, s[8:9]
; %bb.2329:                             ;   in Loop: Header=BB4_2297 Depth=3
	v_bfe_u32 v0, v16, 16, 1
	v_add3_u32 v0, v16, v0, s47
                                        ; implicit-def: $vgpr16
; %bb.2330:                             ;   in Loop: Header=BB4_2297 Depth=3
	s_andn2_saveexec_b64 s[30:31], vcc
; %bb.2331:                             ;   in Loop: Header=BB4_2297 Depth=3
	v_or_b32_e32 v0, 0x10000, v16
	v_cmp_eq_u32_sdwa vcc, v16, v2 src0_sel:WORD_0 src1_sel:DWORD
	v_cndmask_b32_e32 v0, v0, v16, vcc
; %bb.2332:                             ;   in Loop: Header=BB4_2297 Depth=3
	s_or_b64 exec, exec, s[30:31]
	buffer_load_dword v17, off, s[0:3], s33 offset:112
	buffer_load_dword v16, off, s[0:3], s33 offset:116
	;; [unrolled: 1-line block ×4, first 2 shown]
	v_and_b32_e32 v21, 0xffff0000, v21
	s_waitcnt vmcnt(3)
	v_lshlrev_b32_e32 v48, 16, v17
	v_add_f32_e32 v51, v21, v48
	v_and_b32_e32 v21, 0x7f800000, v51
	v_cmp_ne_u32_e32 vcc, s46, v21
                                        ; implicit-def: $vgpr21
	s_and_saveexec_b64 s[8:9], vcc
	s_xor_b64 vcc, exec, s[8:9]
; %bb.2333:                             ;   in Loop: Header=BB4_2297 Depth=3
	v_bfe_u32 v21, v51, 16, 1
	v_add3_u32 v21, v51, v21, s47
                                        ; implicit-def: $vgpr51
; %bb.2334:                             ;   in Loop: Header=BB4_2297 Depth=3
	s_andn2_saveexec_b64 s[30:31], vcc
; %bb.2335:                             ;   in Loop: Header=BB4_2297 Depth=3
	v_or_b32_e32 v21, 0x10000, v51
	v_cmp_eq_u32_sdwa vcc, v51, v2 src0_sel:WORD_0 src1_sel:DWORD
	v_cndmask_b32_e32 v21, v21, v51, vcc
; %bb.2336:                             ;   in Loop: Header=BB4_2297 Depth=3
	s_or_b64 exec, exec, s[30:31]
	v_and_b32_e32 v34, 0xffff0000, v34
	v_and_b32_e32 v17, 0xffff0000, v17
	v_add_f32_e32 v17, v34, v17
	v_and_b32_e32 v34, 0x7f800000, v17
	v_cmp_ne_u32_e32 vcc, s46, v34
                                        ; implicit-def: $vgpr34
	s_and_saveexec_b64 s[8:9], vcc
	s_xor_b64 vcc, exec, s[8:9]
; %bb.2337:                             ;   in Loop: Header=BB4_2297 Depth=3
	v_bfe_u32 v34, v17, 16, 1
	v_add3_u32 v34, v17, v34, s47
                                        ; implicit-def: $vgpr17
; %bb.2338:                             ;   in Loop: Header=BB4_2297 Depth=3
	s_andn2_saveexec_b64 s[30:31], vcc
; %bb.2339:                             ;   in Loop: Header=BB4_2297 Depth=3
	v_or_b32_e32 v34, 0x10000, v17
	v_cmp_eq_u32_sdwa vcc, v17, v2 src0_sel:WORD_0 src1_sel:DWORD
	v_cndmask_b32_e32 v34, v34, v17, vcc
; %bb.2340:                             ;   in Loop: Header=BB4_2297 Depth=3
	s_or_b64 exec, exec, s[30:31]
	v_and_b32_e32 v17, 0xffff0000, v31
	s_waitcnt vmcnt(2)
	v_lshlrev_b32_e32 v31, 16, v16
	v_add_f32_e32 v17, v17, v31
	v_and_b32_e32 v31, 0x7f800000, v17
	v_cmp_ne_u32_e32 vcc, s46, v31
                                        ; implicit-def: $vgpr31
	s_and_saveexec_b64 s[8:9], vcc
	s_xor_b64 vcc, exec, s[8:9]
; %bb.2341:                             ;   in Loop: Header=BB4_2297 Depth=3
	v_bfe_u32 v31, v17, 16, 1
	v_add3_u32 v31, v17, v31, s47
                                        ; implicit-def: $vgpr17
; %bb.2342:                             ;   in Loop: Header=BB4_2297 Depth=3
	s_andn2_saveexec_b64 s[30:31], vcc
; %bb.2343:                             ;   in Loop: Header=BB4_2297 Depth=3
	v_or_b32_e32 v31, 0x10000, v17
	v_cmp_eq_u32_sdwa vcc, v17, v2 src0_sel:WORD_0 src1_sel:DWORD
	v_cndmask_b32_e32 v31, v31, v17, vcc
; %bb.2344:                             ;   in Loop: Header=BB4_2297 Depth=3
	s_or_b64 exec, exec, s[30:31]
	v_and_b32_e32 v16, 0xffff0000, v16
	v_and_b32_e32 v17, 0xffff0000, v28
	v_add_f32_e32 v16, v17, v16
	v_and_b32_e32 v17, 0x7f800000, v16
	v_cmp_ne_u32_e32 vcc, s46, v17
                                        ; implicit-def: $vgpr28
	s_and_saveexec_b64 s[8:9], vcc
	s_xor_b64 vcc, exec, s[8:9]
; %bb.2345:                             ;   in Loop: Header=BB4_2297 Depth=3
	v_bfe_u32 v17, v16, 16, 1
	v_add3_u32 v28, v16, v17, s47
                                        ; implicit-def: $vgpr16
; %bb.2346:                             ;   in Loop: Header=BB4_2297 Depth=3
	s_andn2_saveexec_b64 s[30:31], vcc
; %bb.2347:                             ;   in Loop: Header=BB4_2297 Depth=3
	v_or_b32_e32 v17, 0x10000, v16
	v_cmp_eq_u32_sdwa vcc, v16, v2 src0_sel:WORD_0 src1_sel:DWORD
	v_cndmask_b32_e32 v28, v17, v16, vcc
; %bb.2348:                             ;   in Loop: Header=BB4_2297 Depth=3
	s_or_b64 exec, exec, s[30:31]
	v_and_b32_e32 v16, 0xffff0000, v30
	s_waitcnt vmcnt(1)
	v_lshlrev_b32_e32 v17, 16, v50
	v_add_f32_e32 v16, v16, v17
	v_and_b32_e32 v17, 0x7f800000, v16
	v_cmp_ne_u32_e32 vcc, s46, v17
                                        ; implicit-def: $vgpr30
	s_and_saveexec_b64 s[8:9], vcc
	s_xor_b64 vcc, exec, s[8:9]
; %bb.2349:                             ;   in Loop: Header=BB4_2297 Depth=3
	v_bfe_u32 v17, v16, 16, 1
	v_add3_u32 v30, v16, v17, s47
                                        ; implicit-def: $vgpr16
; %bb.2350:                             ;   in Loop: Header=BB4_2297 Depth=3
	s_andn2_saveexec_b64 s[30:31], vcc
; %bb.2351:                             ;   in Loop: Header=BB4_2297 Depth=3
	v_or_b32_e32 v17, 0x10000, v16
	v_cmp_eq_u32_sdwa vcc, v16, v2 src0_sel:WORD_0 src1_sel:DWORD
	v_cndmask_b32_e32 v30, v17, v16, vcc
; %bb.2352:                             ;   in Loop: Header=BB4_2297 Depth=3
	s_or_b64 exec, exec, s[30:31]
	v_and_b32_e32 v16, 0xffff0000, v50
	v_and_b32_e32 v13, 0xffff0000, v13
	v_add_f32_e32 v16, v13, v16
	v_and_b32_e32 v13, 0x7f800000, v16
	v_cmp_ne_u32_e32 vcc, s46, v13
                                        ; implicit-def: $vgpr13
	s_and_saveexec_b64 s[8:9], vcc
	s_xor_b64 vcc, exec, s[8:9]
; %bb.2353:                             ;   in Loop: Header=BB4_2297 Depth=3
	v_bfe_u32 v13, v16, 16, 1
	v_add3_u32 v13, v16, v13, s47
                                        ; implicit-def: $vgpr16
; %bb.2354:                             ;   in Loop: Header=BB4_2297 Depth=3
	s_andn2_saveexec_b64 s[30:31], vcc
; %bb.2355:                             ;   in Loop: Header=BB4_2297 Depth=3
	v_or_b32_e32 v13, 0x10000, v16
	v_cmp_eq_u32_sdwa vcc, v16, v2 src0_sel:WORD_0 src1_sel:DWORD
	v_cndmask_b32_e32 v13, v13, v16, vcc
; %bb.2356:                             ;   in Loop: Header=BB4_2297 Depth=3
	s_or_b64 exec, exec, s[30:31]
	v_and_b32_e32 v16, 0xffff0000, v20
	s_waitcnt vmcnt(0)
	v_lshlrev_b32_e32 v17, 16, v35
	v_add_f32_e32 v17, v16, v17
	v_and_b32_e32 v16, 0x7f800000, v17
	v_cmp_ne_u32_e32 vcc, s46, v16
                                        ; implicit-def: $vgpr16
	s_and_saveexec_b64 s[8:9], vcc
	s_xor_b64 vcc, exec, s[8:9]
; %bb.2357:                             ;   in Loop: Header=BB4_2297 Depth=3
	v_bfe_u32 v16, v17, 16, 1
	v_add3_u32 v16, v17, v16, s47
                                        ; implicit-def: $vgpr17
; %bb.2358:                             ;   in Loop: Header=BB4_2297 Depth=3
	s_andn2_saveexec_b64 s[30:31], vcc
; %bb.2359:                             ;   in Loop: Header=BB4_2297 Depth=3
	v_or_b32_e32 v16, 0x10000, v17
	v_cmp_eq_u32_sdwa vcc, v17, v2 src0_sel:WORD_0 src1_sel:DWORD
	v_cndmask_b32_e32 v16, v16, v17, vcc
; %bb.2360:                             ;   in Loop: Header=BB4_2297 Depth=3
	s_or_b64 exec, exec, s[30:31]
	v_and_b32_e32 v17, 0xffff0000, v35
	v_and_b32_e32 v0, 0xffff0000, v0
	v_add_f32_e32 v17, v0, v17
	v_and_b32_e32 v0, 0x7f800000, v17
	v_cmp_ne_u32_e32 vcc, s46, v0
                                        ; implicit-def: $vgpr0
	s_and_saveexec_b64 s[8:9], vcc
	s_xor_b64 vcc, exec, s[8:9]
; %bb.2361:                             ;   in Loop: Header=BB4_2297 Depth=3
	v_bfe_u32 v0, v17, 16, 1
	v_add3_u32 v0, v17, v0, s47
                                        ; implicit-def: $vgpr17
; %bb.2362:                             ;   in Loop: Header=BB4_2297 Depth=3
	s_andn2_saveexec_b64 s[30:31], vcc
; %bb.2363:                             ;   in Loop: Header=BB4_2297 Depth=3
	v_or_b32_e32 v0, 0x10000, v17
	v_cmp_eq_u32_sdwa vcc, v17, v2 src0_sel:WORD_0 src1_sel:DWORD
	v_cndmask_b32_e32 v0, v0, v17, vcc
; %bb.2364:                             ;   in Loop: Header=BB4_2297 Depth=3
	s_or_b64 exec, exec, s[30:31]
	v_lshrrev_b32_e32 v17, 16, v31
	v_and_or_b32 v51, v28, s44, v17
	v_lshrrev_b32_e32 v17, 16, v21
	v_and_or_b32 v50, v34, s44, v17
	;; [unrolled: 2-line block ×4, first 2 shown]
	buffer_store_dword v51, off, s[0:3], s33 offset:100
	buffer_store_dword v50, off, s[0:3], s33 offset:96
	buffer_store_dword v53, off, s[0:3], s33 offset:108
	buffer_store_dword v52, off, s[0:3], s33 offset:104
	buffer_load_dword v0, off, s[0:3], s33 offset:132 ; 4-byte Folded Reload
	s_nop 0
	global_store_dwordx4 v[10:11], v[50:53], off glc slc
	s_waitcnt vmcnt(1)
	v_add_co_u32_e32 v10, vcc, v0, v10
	buffer_load_dword v0, off, s[0:3], s33 offset:136 ; 4-byte Folded Reload
	s_waitcnt vmcnt(0)
	v_addc_co_u32_e32 v11, vcc, v0, v11, vcc
.LBB4_2365:                             ;   in Loop: Header=BB4_2297 Depth=3
	s_or_b64 exec, exec, s[40:41]
	buffer_load_dword v0, off, s[0:3], s33 offset:128 ; 4-byte Folded Reload
	s_waitcnt vmcnt(0)
	v_add_co_u32_e32 v26, vcc, v26, v0
	v_addc_co_u32_e32 v27, vcc, v27, v49, vcc
	v_add_co_u32_e32 v8, vcc, v8, v0
	v_lshlrev_b32_e32 v0, 10, v59
	v_sub_u32_e32 v15, v15, v0
	v_addc_co_u32_e32 v9, vcc, v9, v49, vcc
	v_cmp_lt_i32_e64 s[30:31], 15, v15
	s_and_saveexec_b64 s[34:35], s[30:31]
	s_cbranch_execz .LBB4_2368
; %bb.2366:                             ;   in Loop: Header=BB4_2297 Depth=3
	s_lshr_b32 s8, s33, 6
	s_addk_i32 s8, 0x60
	s_mov_b64 s[38:39], 0
	s_mov_b64 s[36:37], -1
.LBB4_2367:                             ;   Parent Loop BB4_47 Depth=1
                                        ;     Parent Loop BB4_1416 Depth=2
                                        ;       Parent Loop BB4_2297 Depth=3
                                        ; =>      This Inner Loop Header: Depth=4
	s_cmp_eq_u32 s38, 1
	s_cselect_b64 s[40:41], -1, 0
	v_cndmask_b32_e64 v17, v27, v9, s[40:41]
	v_cndmask_b32_e64 v16, v26, v8, s[40:41]
	global_load_dwordx4 v[50:53], v[16:17], off glc slc
	v_mov_b32_e32 v0, s8
	s_cmp_eq_u32 s38, 0
	s_mov_b64 s[38:39], 1
	s_mov_b32 s8, s85
	s_waitcnt vmcnt(0)
	buffer_store_dword v51, v0, s[0:3], 0 offen offset:4
	buffer_store_dword v50, v0, s[0:3], 0 offen
	buffer_store_dword v53, v0, s[0:3], 0 offen offset:12
	buffer_store_dword v52, v0, s[0:3], 0 offen offset:8
	v_add_co_u32_e32 v0, vcc, s52, v16
	v_addc_co_u32_e32 v13, vcc, 0, v17, vcc
	s_cselect_b64 vcc, -1, 0
	v_cndmask_b32_e32 v27, v27, v13, vcc
	v_cndmask_b32_e32 v26, v26, v0, vcc
	v_cndmask_b32_e64 v9, v9, v13, s[40:41]
	v_cndmask_b32_e64 v8, v8, v0, s[40:41]
	s_and_b64 vcc, exec, s[36:37]
	s_mov_b64 s[36:37], 0
	s_cbranch_vccnz .LBB4_2367
.LBB4_2368:                             ;   in Loop: Header=BB4_2297 Depth=3
	s_or_b64 exec, exec, s[34:35]
	buffer_load_dword v17, off, s[0:3], s33 offset:64
	buffer_load_dword v16, off, s[0:3], s33 offset:68
	;; [unrolled: 1-line block ×4, first 2 shown]
	s_waitcnt vmcnt(3)
	v_lshlrev_b32_e32 v20, 16, v17
	v_mul_f32_e32 v20, v29, v20
	v_and_b32_e32 v21, 0x7f800000, v20
	v_cmp_ne_u32_e32 vcc, s46, v21
                                        ; implicit-def: $vgpr21
	s_and_saveexec_b64 s[8:9], vcc
	s_xor_b64 s[40:41], exec, s[8:9]
; %bb.2369:                             ;   in Loop: Header=BB4_2297 Depth=3
	v_bfe_u32 v21, v20, 16, 1
	v_add3_u32 v21, v20, v21, s47
                                        ; implicit-def: $vgpr20
; %bb.2370:                             ;   in Loop: Header=BB4_2297 Depth=3
	s_andn2_saveexec_b64 s[40:41], s[40:41]
; %bb.2371:                             ;   in Loop: Header=BB4_2297 Depth=3
	v_or_b32_e32 v21, 0x10000, v20
	v_cmp_eq_u32_sdwa vcc, v20, v2 src0_sel:WORD_0 src1_sel:DWORD
	v_cndmask_b32_e32 v21, v21, v20, vcc
; %bb.2372:                             ;   in Loop: Header=BB4_2297 Depth=3
	s_or_b64 exec, exec, s[40:41]
	v_and_b32_e32 v17, 0xffff0000, v17
	v_mul_f32_e32 v17, v29, v17
	v_and_b32_e32 v20, 0x7f800000, v17
	v_cmp_ne_u32_e32 vcc, s46, v20
                                        ; implicit-def: $vgpr34
	s_and_saveexec_b64 s[8:9], vcc
	s_xor_b64 s[40:41], exec, s[8:9]
; %bb.2373:                             ;   in Loop: Header=BB4_2297 Depth=3
	v_bfe_u32 v20, v17, 16, 1
	v_add3_u32 v34, v17, v20, s47
                                        ; implicit-def: $vgpr17
; %bb.2374:                             ;   in Loop: Header=BB4_2297 Depth=3
	s_andn2_saveexec_b64 s[40:41], s[40:41]
; %bb.2375:                             ;   in Loop: Header=BB4_2297 Depth=3
	v_or_b32_e32 v20, 0x10000, v17
	v_cmp_eq_u32_sdwa vcc, v17, v2 src0_sel:WORD_0 src1_sel:DWORD
	v_cndmask_b32_e32 v34, v20, v17, vcc
; %bb.2376:                             ;   in Loop: Header=BB4_2297 Depth=3
	s_or_b64 exec, exec, s[40:41]
	s_waitcnt vmcnt(2)
	v_lshlrev_b32_e32 v17, 16, v16
	v_mul_f32_e32 v17, v29, v17
	v_and_b32_e32 v20, 0x7f800000, v17
	v_cmp_ne_u32_e32 vcc, s46, v20
                                        ; implicit-def: $vgpr31
	s_and_saveexec_b64 s[8:9], vcc
	s_xor_b64 s[40:41], exec, s[8:9]
; %bb.2377:                             ;   in Loop: Header=BB4_2297 Depth=3
	v_bfe_u32 v20, v17, 16, 1
	v_add3_u32 v31, v17, v20, s47
                                        ; implicit-def: $vgpr17
; %bb.2378:                             ;   in Loop: Header=BB4_2297 Depth=3
	s_andn2_saveexec_b64 s[40:41], s[40:41]
; %bb.2379:                             ;   in Loop: Header=BB4_2297 Depth=3
	v_or_b32_e32 v20, 0x10000, v17
	v_cmp_eq_u32_sdwa vcc, v17, v2 src0_sel:WORD_0 src1_sel:DWORD
	v_cndmask_b32_e32 v31, v20, v17, vcc
; %bb.2380:                             ;   in Loop: Header=BB4_2297 Depth=3
	s_or_b64 exec, exec, s[40:41]
	v_and_b32_e32 v16, 0xffff0000, v16
	v_mul_f32_e32 v16, v29, v16
	v_and_b32_e32 v17, 0x7f800000, v16
	v_cmp_ne_u32_e32 vcc, s46, v17
                                        ; implicit-def: $vgpr28
	s_and_saveexec_b64 s[8:9], vcc
	s_xor_b64 s[40:41], exec, s[8:9]
; %bb.2381:                             ;   in Loop: Header=BB4_2297 Depth=3
	v_bfe_u32 v17, v16, 16, 1
	v_add3_u32 v28, v16, v17, s47
                                        ; implicit-def: $vgpr16
; %bb.2382:                             ;   in Loop: Header=BB4_2297 Depth=3
	s_andn2_saveexec_b64 s[40:41], s[40:41]
; %bb.2383:                             ;   in Loop: Header=BB4_2297 Depth=3
	v_or_b32_e32 v17, 0x10000, v16
	v_cmp_eq_u32_sdwa vcc, v16, v2 src0_sel:WORD_0 src1_sel:DWORD
	v_cndmask_b32_e32 v28, v17, v16, vcc
; %bb.2384:                             ;   in Loop: Header=BB4_2297 Depth=3
	s_or_b64 exec, exec, s[40:41]
	s_waitcnt vmcnt(1)
	v_lshlrev_b32_e32 v16, 16, v13
	v_mul_f32_e32 v16, v29, v16
	v_and_b32_e32 v17, 0x7f800000, v16
	v_cmp_ne_u32_e32 vcc, s46, v17
                                        ; implicit-def: $vgpr30
	s_and_saveexec_b64 s[8:9], vcc
	s_xor_b64 s[40:41], exec, s[8:9]
; %bb.2385:                             ;   in Loop: Header=BB4_2297 Depth=3
	v_bfe_u32 v17, v16, 16, 1
	v_add3_u32 v30, v16, v17, s47
                                        ; implicit-def: $vgpr16
; %bb.2386:                             ;   in Loop: Header=BB4_2297 Depth=3
	s_andn2_saveexec_b64 s[40:41], s[40:41]
; %bb.2387:                             ;   in Loop: Header=BB4_2297 Depth=3
	v_or_b32_e32 v17, 0x10000, v16
	v_cmp_eq_u32_sdwa vcc, v16, v2 src0_sel:WORD_0 src1_sel:DWORD
	v_cndmask_b32_e32 v30, v17, v16, vcc
; %bb.2388:                             ;   in Loop: Header=BB4_2297 Depth=3
	s_or_b64 exec, exec, s[40:41]
	v_and_b32_e32 v13, 0xffff0000, v13
	v_mul_f32_e32 v16, v29, v13
	v_and_b32_e32 v13, 0x7f800000, v16
	v_cmp_ne_u32_e32 vcc, s46, v13
                                        ; implicit-def: $vgpr13
	s_and_saveexec_b64 s[8:9], vcc
	s_xor_b64 s[40:41], exec, s[8:9]
; %bb.2389:                             ;   in Loop: Header=BB4_2297 Depth=3
	v_bfe_u32 v13, v16, 16, 1
	v_add3_u32 v13, v16, v13, s47
                                        ; implicit-def: $vgpr16
; %bb.2390:                             ;   in Loop: Header=BB4_2297 Depth=3
	s_andn2_saveexec_b64 s[40:41], s[40:41]
; %bb.2391:                             ;   in Loop: Header=BB4_2297 Depth=3
	v_or_b32_e32 v13, 0x10000, v16
	v_cmp_eq_u32_sdwa vcc, v16, v2 src0_sel:WORD_0 src1_sel:DWORD
	v_cndmask_b32_e32 v13, v13, v16, vcc
; %bb.2392:                             ;   in Loop: Header=BB4_2297 Depth=3
	s_or_b64 exec, exec, s[40:41]
	s_waitcnt vmcnt(0)
	v_lshlrev_b32_e32 v16, 16, v0
	v_mul_f32_e32 v16, v29, v16
	v_and_b32_e32 v17, 0x7f800000, v16
	v_cmp_ne_u32_e32 vcc, s46, v17
                                        ; implicit-def: $vgpr20
	s_and_saveexec_b64 s[8:9], vcc
	s_xor_b64 s[40:41], exec, s[8:9]
; %bb.2393:                             ;   in Loop: Header=BB4_2297 Depth=3
	v_bfe_u32 v17, v16, 16, 1
	v_add3_u32 v20, v16, v17, s47
                                        ; implicit-def: $vgpr16
; %bb.2394:                             ;   in Loop: Header=BB4_2297 Depth=3
	s_andn2_saveexec_b64 s[40:41], s[40:41]
; %bb.2395:                             ;   in Loop: Header=BB4_2297 Depth=3
	v_or_b32_e32 v17, 0x10000, v16
	v_cmp_eq_u32_sdwa vcc, v16, v2 src0_sel:WORD_0 src1_sel:DWORD
	v_cndmask_b32_e32 v20, v17, v16, vcc
; %bb.2396:                             ;   in Loop: Header=BB4_2297 Depth=3
	s_or_b64 exec, exec, s[40:41]
	v_and_b32_e32 v0, 0xffff0000, v0
	v_mul_f32_e32 v16, v29, v0
	v_and_b32_e32 v0, 0x7f800000, v16
	v_cmp_ne_u32_e32 vcc, s46, v0
                                        ; implicit-def: $vgpr0
	s_and_saveexec_b64 s[8:9], vcc
	s_xor_b64 s[40:41], exec, s[8:9]
; %bb.2397:                             ;   in Loop: Header=BB4_2297 Depth=3
	v_bfe_u32 v0, v16, 16, 1
	v_add3_u32 v0, v16, v0, s47
                                        ; implicit-def: $vgpr16
; %bb.2398:                             ;   in Loop: Header=BB4_2297 Depth=3
	s_andn2_saveexec_b64 s[40:41], s[40:41]
; %bb.2399:                             ;   in Loop: Header=BB4_2297 Depth=3
	v_or_b32_e32 v0, 0x10000, v16
	v_cmp_eq_u32_sdwa vcc, v16, v2 src0_sel:WORD_0 src1_sel:DWORD
	v_cndmask_b32_e32 v0, v0, v16, vcc
; %bb.2400:                             ;   in Loop: Header=BB4_2297 Depth=3
	s_or_b64 exec, exec, s[40:41]
	buffer_load_dword v17, off, s[0:3], s33 offset:80
	buffer_load_dword v16, off, s[0:3], s33 offset:84
	;; [unrolled: 1-line block ×4, first 2 shown]
	v_and_b32_e32 v21, 0xffff0000, v21
	s_waitcnt vmcnt(3)
	v_lshlrev_b32_e32 v48, 16, v17
	v_add_f32_e32 v51, v21, v48
	v_and_b32_e32 v21, 0x7f800000, v51
	v_cmp_ne_u32_e32 vcc, s46, v21
                                        ; implicit-def: $vgpr21
	s_and_saveexec_b64 s[8:9], vcc
	s_xor_b64 s[40:41], exec, s[8:9]
; %bb.2401:                             ;   in Loop: Header=BB4_2297 Depth=3
	v_bfe_u32 v21, v51, 16, 1
	v_add3_u32 v21, v51, v21, s47
                                        ; implicit-def: $vgpr51
; %bb.2402:                             ;   in Loop: Header=BB4_2297 Depth=3
	s_andn2_saveexec_b64 s[40:41], s[40:41]
; %bb.2403:                             ;   in Loop: Header=BB4_2297 Depth=3
	v_or_b32_e32 v21, 0x10000, v51
	v_cmp_eq_u32_sdwa vcc, v51, v2 src0_sel:WORD_0 src1_sel:DWORD
	v_cndmask_b32_e32 v21, v21, v51, vcc
; %bb.2404:                             ;   in Loop: Header=BB4_2297 Depth=3
	s_or_b64 exec, exec, s[40:41]
	v_and_b32_e32 v34, 0xffff0000, v34
	v_and_b32_e32 v17, 0xffff0000, v17
	v_add_f32_e32 v17, v34, v17
	v_and_b32_e32 v34, 0x7f800000, v17
	v_cmp_ne_u32_e32 vcc, s46, v34
                                        ; implicit-def: $vgpr34
	s_and_saveexec_b64 s[8:9], vcc
	s_xor_b64 s[40:41], exec, s[8:9]
; %bb.2405:                             ;   in Loop: Header=BB4_2297 Depth=3
	v_bfe_u32 v34, v17, 16, 1
	v_add3_u32 v34, v17, v34, s47
                                        ; implicit-def: $vgpr17
; %bb.2406:                             ;   in Loop: Header=BB4_2297 Depth=3
	s_andn2_saveexec_b64 s[40:41], s[40:41]
; %bb.2407:                             ;   in Loop: Header=BB4_2297 Depth=3
	v_or_b32_e32 v34, 0x10000, v17
	v_cmp_eq_u32_sdwa vcc, v17, v2 src0_sel:WORD_0 src1_sel:DWORD
	v_cndmask_b32_e32 v34, v34, v17, vcc
; %bb.2408:                             ;   in Loop: Header=BB4_2297 Depth=3
	s_or_b64 exec, exec, s[40:41]
	v_and_b32_e32 v17, 0xffff0000, v31
	s_waitcnt vmcnt(2)
	v_lshlrev_b32_e32 v31, 16, v16
	v_add_f32_e32 v17, v17, v31
	v_and_b32_e32 v31, 0x7f800000, v17
	v_cmp_ne_u32_e32 vcc, s46, v31
                                        ; implicit-def: $vgpr31
	s_and_saveexec_b64 s[8:9], vcc
	s_xor_b64 s[40:41], exec, s[8:9]
; %bb.2409:                             ;   in Loop: Header=BB4_2297 Depth=3
	v_bfe_u32 v31, v17, 16, 1
	v_add3_u32 v31, v17, v31, s47
                                        ; implicit-def: $vgpr17
; %bb.2410:                             ;   in Loop: Header=BB4_2297 Depth=3
	s_andn2_saveexec_b64 s[40:41], s[40:41]
; %bb.2411:                             ;   in Loop: Header=BB4_2297 Depth=3
	v_or_b32_e32 v31, 0x10000, v17
	v_cmp_eq_u32_sdwa vcc, v17, v2 src0_sel:WORD_0 src1_sel:DWORD
	v_cndmask_b32_e32 v31, v31, v17, vcc
; %bb.2412:                             ;   in Loop: Header=BB4_2297 Depth=3
	s_or_b64 exec, exec, s[40:41]
	v_and_b32_e32 v16, 0xffff0000, v16
	v_and_b32_e32 v17, 0xffff0000, v28
	v_add_f32_e32 v16, v17, v16
	v_and_b32_e32 v17, 0x7f800000, v16
	v_cmp_ne_u32_e32 vcc, s46, v17
                                        ; implicit-def: $vgpr28
	s_and_saveexec_b64 s[8:9], vcc
	s_xor_b64 s[40:41], exec, s[8:9]
; %bb.2413:                             ;   in Loop: Header=BB4_2297 Depth=3
	v_bfe_u32 v17, v16, 16, 1
	v_add3_u32 v28, v16, v17, s47
                                        ; implicit-def: $vgpr16
; %bb.2414:                             ;   in Loop: Header=BB4_2297 Depth=3
	s_andn2_saveexec_b64 s[40:41], s[40:41]
; %bb.2415:                             ;   in Loop: Header=BB4_2297 Depth=3
	v_or_b32_e32 v17, 0x10000, v16
	v_cmp_eq_u32_sdwa vcc, v16, v2 src0_sel:WORD_0 src1_sel:DWORD
	v_cndmask_b32_e32 v28, v17, v16, vcc
; %bb.2416:                             ;   in Loop: Header=BB4_2297 Depth=3
	s_or_b64 exec, exec, s[40:41]
	v_and_b32_e32 v16, 0xffff0000, v30
	s_waitcnt vmcnt(1)
	v_lshlrev_b32_e32 v17, 16, v50
	v_add_f32_e32 v16, v16, v17
	v_and_b32_e32 v17, 0x7f800000, v16
	v_cmp_ne_u32_e32 vcc, s46, v17
                                        ; implicit-def: $vgpr30
	s_and_saveexec_b64 s[8:9], vcc
	s_xor_b64 s[40:41], exec, s[8:9]
; %bb.2417:                             ;   in Loop: Header=BB4_2297 Depth=3
	v_bfe_u32 v17, v16, 16, 1
	v_add3_u32 v30, v16, v17, s47
                                        ; implicit-def: $vgpr16
; %bb.2418:                             ;   in Loop: Header=BB4_2297 Depth=3
	s_andn2_saveexec_b64 s[40:41], s[40:41]
; %bb.2419:                             ;   in Loop: Header=BB4_2297 Depth=3
	v_or_b32_e32 v17, 0x10000, v16
	v_cmp_eq_u32_sdwa vcc, v16, v2 src0_sel:WORD_0 src1_sel:DWORD
	v_cndmask_b32_e32 v30, v17, v16, vcc
; %bb.2420:                             ;   in Loop: Header=BB4_2297 Depth=3
	s_or_b64 exec, exec, s[40:41]
	v_and_b32_e32 v16, 0xffff0000, v50
	v_and_b32_e32 v13, 0xffff0000, v13
	v_add_f32_e32 v16, v13, v16
	v_and_b32_e32 v13, 0x7f800000, v16
	v_cmp_ne_u32_e32 vcc, s46, v13
                                        ; implicit-def: $vgpr13
	s_and_saveexec_b64 s[8:9], vcc
	s_xor_b64 s[40:41], exec, s[8:9]
; %bb.2421:                             ;   in Loop: Header=BB4_2297 Depth=3
	v_bfe_u32 v13, v16, 16, 1
	v_add3_u32 v13, v16, v13, s47
                                        ; implicit-def: $vgpr16
; %bb.2422:                             ;   in Loop: Header=BB4_2297 Depth=3
	s_andn2_saveexec_b64 s[40:41], s[40:41]
; %bb.2423:                             ;   in Loop: Header=BB4_2297 Depth=3
	v_or_b32_e32 v13, 0x10000, v16
	v_cmp_eq_u32_sdwa vcc, v16, v2 src0_sel:WORD_0 src1_sel:DWORD
	v_cndmask_b32_e32 v13, v13, v16, vcc
; %bb.2424:                             ;   in Loop: Header=BB4_2297 Depth=3
	s_or_b64 exec, exec, s[40:41]
	v_and_b32_e32 v16, 0xffff0000, v20
	s_waitcnt vmcnt(0)
	v_lshlrev_b32_e32 v17, 16, v35
	v_add_f32_e32 v17, v16, v17
	v_and_b32_e32 v16, 0x7f800000, v17
	v_cmp_ne_u32_e32 vcc, s46, v16
                                        ; implicit-def: $vgpr16
	s_and_saveexec_b64 s[8:9], vcc
	s_xor_b64 s[40:41], exec, s[8:9]
; %bb.2425:                             ;   in Loop: Header=BB4_2297 Depth=3
	v_bfe_u32 v16, v17, 16, 1
	v_add3_u32 v16, v17, v16, s47
                                        ; implicit-def: $vgpr17
; %bb.2426:                             ;   in Loop: Header=BB4_2297 Depth=3
	s_andn2_saveexec_b64 s[40:41], s[40:41]
; %bb.2427:                             ;   in Loop: Header=BB4_2297 Depth=3
	v_or_b32_e32 v16, 0x10000, v17
	v_cmp_eq_u32_sdwa vcc, v17, v2 src0_sel:WORD_0 src1_sel:DWORD
	v_cndmask_b32_e32 v16, v16, v17, vcc
; %bb.2428:                             ;   in Loop: Header=BB4_2297 Depth=3
	s_or_b64 exec, exec, s[40:41]
	v_and_b32_e32 v17, 0xffff0000, v35
	v_and_b32_e32 v0, 0xffff0000, v0
	v_add_f32_e32 v17, v0, v17
	v_and_b32_e32 v0, 0x7f800000, v17
	v_cmp_ne_u32_e32 vcc, s46, v0
                                        ; implicit-def: $vgpr0
	s_and_saveexec_b64 s[8:9], vcc
	s_xor_b64 s[40:41], exec, s[8:9]
; %bb.2429:                             ;   in Loop: Header=BB4_2297 Depth=3
	v_bfe_u32 v0, v17, 16, 1
	v_add3_u32 v0, v17, v0, s47
                                        ; implicit-def: $vgpr17
; %bb.2430:                             ;   in Loop: Header=BB4_2297 Depth=3
	s_andn2_saveexec_b64 s[40:41], s[40:41]
; %bb.2431:                             ;   in Loop: Header=BB4_2297 Depth=3
	v_or_b32_e32 v0, 0x10000, v17
	v_cmp_eq_u32_sdwa vcc, v17, v2 src0_sel:WORD_0 src1_sel:DWORD
	v_cndmask_b32_e32 v0, v0, v17, vcc
; %bb.2432:                             ;   in Loop: Header=BB4_2297 Depth=3
	s_or_b64 exec, exec, s[40:41]
	v_lshrrev_b32_e32 v17, 16, v31
	v_and_or_b32 v51, v28, s44, v17
	v_lshrrev_b32_e32 v17, 16, v21
	v_and_or_b32 v50, v34, s44, v17
	;; [unrolled: 2-line block ×4, first 2 shown]
	buffer_store_dword v51, off, s[0:3], s33 offset:68
	buffer_store_dword v50, off, s[0:3], s33 offset:64
	;; [unrolled: 1-line block ×4, first 2 shown]
	global_store_dwordx4 v[10:11], v[50:53], off glc slc
	v_add_co_u32_e32 v10, vcc, 0x400, v10
	v_sub_u32_e32 v25, v25, v59
	v_addc_co_u32_e32 v11, vcc, 0, v11, vcc
	s_and_saveexec_b64 s[40:41], s[30:31]
	s_cbranch_execz .LBB4_2296
; %bb.2433:                             ;   in Loop: Header=BB4_2297 Depth=3
	buffer_load_dword v0, off, s[0:3], s33 offset:128 ; 4-byte Folded Reload
	v_sub_u32_e32 v25, v25, v59
	s_waitcnt vmcnt(0)
	v_add_co_u32_e32 v26, vcc, v26, v0
	v_addc_co_u32_e32 v27, vcc, v27, v49, vcc
	v_add_co_u32_e32 v8, vcc, v8, v0
	v_addc_co_u32_e32 v9, vcc, v9, v49, vcc
	v_add_co_u32_e32 v10, vcc, v10, v0
	v_lshlrev_b32_e32 v0, 10, v59
	v_addc_co_u32_e32 v11, vcc, v11, v49, vcc
	v_sub_u32_e32 v15, v15, v0
	s_branch .LBB4_2296
.LBB4_2434:                             ;   in Loop: Header=BB4_1416 Depth=2
	s_or_b64 exec, exec, s[92:93]
	s_and_b64 s[92:93], s[94:95], exec
.LBB4_2435:                             ;   in Loop: Header=BB4_1416 Depth=2
	s_or_b64 exec, exec, s[90:91]
	s_and_saveexec_b64 s[40:41], s[92:93]
	s_cbranch_execz .LBB4_2501
; %bb.2436:                             ;   in Loop: Header=BB4_1416 Depth=2
	s_trap 2
	buffer_load_dword v15, off, s[0:3], s33 offset:96
	buffer_load_dword v9, off, s[0:3], s33 offset:100
	;; [unrolled: 1-line block ×4, first 2 shown]
	s_waitcnt vmcnt(0)
	ds_read_b32 v13, v0
	s_waitcnt lgkmcnt(0)
	v_lshlrev_b32_e32 v27, 16, v13
	v_lshlrev_b32_e32 v13, 16, v15
	v_mul_f32_e32 v16, v27, v13
	v_and_b32_e32 v13, 0x7f800000, v16
	v_cmp_ne_u32_e32 vcc, s46, v13
                                        ; implicit-def: $vgpr13
	s_and_saveexec_b64 s[8:9], vcc
	s_xor_b64 s[90:91], exec, s[8:9]
; %bb.2437:                             ;   in Loop: Header=BB4_1416 Depth=2
	v_bfe_u32 v13, v16, 16, 1
	v_add3_u32 v13, v16, v13, s47
                                        ; implicit-def: $vgpr16
; %bb.2438:                             ;   in Loop: Header=BB4_1416 Depth=2
	s_andn2_saveexec_b64 s[90:91], s[90:91]
; %bb.2439:                             ;   in Loop: Header=BB4_1416 Depth=2
	v_or_b32_e32 v13, 0x10000, v16
	v_cmp_eq_u32_sdwa vcc, v16, v2 src0_sel:WORD_0 src1_sel:DWORD
	v_cndmask_b32_e32 v13, v13, v16, vcc
; %bb.2440:                             ;   in Loop: Header=BB4_1416 Depth=2
	s_or_b64 exec, exec, s[90:91]
	v_and_b32_e32 v15, 0xffff0000, v15
	v_mul_f32_e32 v15, v27, v15
	v_and_b32_e32 v16, 0x7f800000, v15
	v_cmp_ne_u32_e32 vcc, s46, v16
                                        ; implicit-def: $vgpr26
	s_and_saveexec_b64 s[8:9], vcc
	s_xor_b64 s[90:91], exec, s[8:9]
; %bb.2441:                             ;   in Loop: Header=BB4_1416 Depth=2
	v_bfe_u32 v16, v15, 16, 1
	v_add3_u32 v26, v15, v16, s47
                                        ; implicit-def: $vgpr15
; %bb.2442:                             ;   in Loop: Header=BB4_1416 Depth=2
	s_andn2_saveexec_b64 s[90:91], s[90:91]
; %bb.2443:                             ;   in Loop: Header=BB4_1416 Depth=2
	v_or_b32_e32 v16, 0x10000, v15
	v_cmp_eq_u32_sdwa vcc, v15, v2 src0_sel:WORD_0 src1_sel:DWORD
	v_cndmask_b32_e32 v26, v16, v15, vcc
; %bb.2444:                             ;   in Loop: Header=BB4_1416 Depth=2
	s_or_b64 exec, exec, s[90:91]
	v_lshlrev_b32_e32 v15, 16, v9
	v_mul_f32_e32 v15, v27, v15
	v_and_b32_e32 v16, 0x7f800000, v15
	v_cmp_ne_u32_e32 vcc, s46, v16
                                        ; implicit-def: $vgpr21
	s_and_saveexec_b64 s[8:9], vcc
	s_xor_b64 s[90:91], exec, s[8:9]
; %bb.2445:                             ;   in Loop: Header=BB4_1416 Depth=2
	v_bfe_u32 v16, v15, 16, 1
	v_add3_u32 v21, v15, v16, s47
                                        ; implicit-def: $vgpr15
; %bb.2446:                             ;   in Loop: Header=BB4_1416 Depth=2
	s_andn2_saveexec_b64 s[90:91], s[90:91]
; %bb.2447:                             ;   in Loop: Header=BB4_1416 Depth=2
	v_or_b32_e32 v16, 0x10000, v15
	v_cmp_eq_u32_sdwa vcc, v15, v2 src0_sel:WORD_0 src1_sel:DWORD
	v_cndmask_b32_e32 v21, v16, v15, vcc
; %bb.2448:                             ;   in Loop: Header=BB4_1416 Depth=2
	s_or_b64 exec, exec, s[90:91]
	v_and_b32_e32 v9, 0xffff0000, v9
	v_mul_f32_e32 v9, v27, v9
	v_and_b32_e32 v15, 0x7f800000, v9
	v_cmp_ne_u32_e32 vcc, s46, v15
                                        ; implicit-def: $vgpr15
	s_and_saveexec_b64 s[8:9], vcc
	s_xor_b64 s[90:91], exec, s[8:9]
; %bb.2449:                             ;   in Loop: Header=BB4_1416 Depth=2
	v_bfe_u32 v15, v9, 16, 1
	v_add3_u32 v15, v9, v15, s47
                                        ; implicit-def: $vgpr9
; %bb.2450:                             ;   in Loop: Header=BB4_1416 Depth=2
	s_andn2_saveexec_b64 s[90:91], s[90:91]
; %bb.2451:                             ;   in Loop: Header=BB4_1416 Depth=2
	v_or_b32_e32 v15, 0x10000, v9
	v_cmp_eq_u32_sdwa vcc, v9, v2 src0_sel:WORD_0 src1_sel:DWORD
	v_cndmask_b32_e32 v15, v15, v9, vcc
; %bb.2452:                             ;   in Loop: Header=BB4_1416 Depth=2
	s_or_b64 exec, exec, s[90:91]
	v_lshlrev_b32_e32 v9, 16, v8
	v_mul_f32_e32 v9, v27, v9
	v_and_b32_e32 v16, 0x7f800000, v9
	v_cmp_ne_u32_e32 vcc, s46, v16
                                        ; implicit-def: $vgpr20
	s_and_saveexec_b64 s[8:9], vcc
	s_xor_b64 s[90:91], exec, s[8:9]
; %bb.2453:                             ;   in Loop: Header=BB4_1416 Depth=2
	v_bfe_u32 v16, v9, 16, 1
	v_add3_u32 v20, v9, v16, s47
                                        ; implicit-def: $vgpr9
; %bb.2454:                             ;   in Loop: Header=BB4_1416 Depth=2
	s_andn2_saveexec_b64 s[90:91], s[90:91]
; %bb.2455:                             ;   in Loop: Header=BB4_1416 Depth=2
	v_or_b32_e32 v16, 0x10000, v9
	v_cmp_eq_u32_sdwa vcc, v9, v2 src0_sel:WORD_0 src1_sel:DWORD
	v_cndmask_b32_e32 v20, v16, v9, vcc
; %bb.2456:                             ;   in Loop: Header=BB4_1416 Depth=2
	s_or_b64 exec, exec, s[90:91]
	v_and_b32_e32 v8, 0xffff0000, v8
	v_mul_f32_e32 v9, v27, v8
	v_and_b32_e32 v8, 0x7f800000, v9
	v_cmp_ne_u32_e32 vcc, s46, v8
                                        ; implicit-def: $vgpr8
	s_and_saveexec_b64 s[8:9], vcc
	s_xor_b64 s[90:91], exec, s[8:9]
; %bb.2457:                             ;   in Loop: Header=BB4_1416 Depth=2
	v_bfe_u32 v8, v9, 16, 1
	v_add3_u32 v8, v9, v8, s47
                                        ; implicit-def: $vgpr9
; %bb.2458:                             ;   in Loop: Header=BB4_1416 Depth=2
	s_andn2_saveexec_b64 s[90:91], s[90:91]
; %bb.2459:                             ;   in Loop: Header=BB4_1416 Depth=2
	v_or_b32_e32 v8, 0x10000, v9
	v_cmp_eq_u32_sdwa vcc, v9, v2 src0_sel:WORD_0 src1_sel:DWORD
	v_cndmask_b32_e32 v8, v8, v9, vcc
; %bb.2460:                             ;   in Loop: Header=BB4_1416 Depth=2
	s_or_b64 exec, exec, s[90:91]
	v_lshlrev_b32_e32 v9, 16, v0
	v_mul_f32_e32 v16, v27, v9
	v_and_b32_e32 v9, 0x7f800000, v16
	v_cmp_ne_u32_e32 vcc, s46, v9
                                        ; implicit-def: $vgpr9
	s_and_saveexec_b64 s[8:9], vcc
	s_xor_b64 s[90:91], exec, s[8:9]
; %bb.2461:                             ;   in Loop: Header=BB4_1416 Depth=2
	v_bfe_u32 v9, v16, 16, 1
	v_add3_u32 v9, v16, v9, s47
                                        ; implicit-def: $vgpr16
; %bb.2462:                             ;   in Loop: Header=BB4_1416 Depth=2
	s_andn2_saveexec_b64 s[90:91], s[90:91]
; %bb.2463:                             ;   in Loop: Header=BB4_1416 Depth=2
	v_or_b32_e32 v9, 0x10000, v16
	v_cmp_eq_u32_sdwa vcc, v16, v2 src0_sel:WORD_0 src1_sel:DWORD
	v_cndmask_b32_e32 v9, v9, v16, vcc
; %bb.2464:                             ;   in Loop: Header=BB4_1416 Depth=2
	s_or_b64 exec, exec, s[90:91]
	v_and_b32_e32 v0, 0xffff0000, v0
	v_mul_f32_e32 v16, v27, v0
	v_and_b32_e32 v0, 0x7f800000, v16
	v_cmp_ne_u32_e32 vcc, s46, v0
                                        ; implicit-def: $vgpr0
	s_and_saveexec_b64 s[8:9], vcc
	s_xor_b64 s[90:91], exec, s[8:9]
; %bb.2465:                             ;   in Loop: Header=BB4_1416 Depth=2
	v_bfe_u32 v0, v16, 16, 1
	v_add3_u32 v0, v16, v0, s47
                                        ; implicit-def: $vgpr16
; %bb.2466:                             ;   in Loop: Header=BB4_1416 Depth=2
	s_andn2_saveexec_b64 s[90:91], s[90:91]
; %bb.2467:                             ;   in Loop: Header=BB4_1416 Depth=2
	v_or_b32_e32 v0, 0x10000, v16
	v_cmp_eq_u32_sdwa vcc, v16, v2 src0_sel:WORD_0 src1_sel:DWORD
	v_cndmask_b32_e32 v0, v0, v16, vcc
; %bb.2468:                             ;   in Loop: Header=BB4_1416 Depth=2
	s_or_b64 exec, exec, s[90:91]
	buffer_load_dword v17, off, s[0:3], s33 offset:112
	buffer_load_dword v16, off, s[0:3], s33 offset:116
	;; [unrolled: 1-line block ×4, first 2 shown]
	v_and_b32_e32 v13, 0xffff0000, v13
	s_waitcnt vmcnt(3)
	v_lshlrev_b32_e32 v29, 16, v17
	v_add_f32_e32 v29, v13, v29
	v_and_b32_e32 v13, 0x7f800000, v29
	v_cmp_ne_u32_e32 vcc, s46, v13
                                        ; implicit-def: $vgpr13
	s_and_saveexec_b64 s[8:9], vcc
	s_xor_b64 s[90:91], exec, s[8:9]
; %bb.2469:                             ;   in Loop: Header=BB4_1416 Depth=2
	v_bfe_u32 v13, v29, 16, 1
	v_add3_u32 v13, v29, v13, s47
                                        ; implicit-def: $vgpr29
; %bb.2470:                             ;   in Loop: Header=BB4_1416 Depth=2
	s_andn2_saveexec_b64 s[90:91], s[90:91]
; %bb.2471:                             ;   in Loop: Header=BB4_1416 Depth=2
	v_or_b32_e32 v13, 0x10000, v29
	v_cmp_eq_u32_sdwa vcc, v29, v2 src0_sel:WORD_0 src1_sel:DWORD
	v_cndmask_b32_e32 v13, v13, v29, vcc
; %bb.2472:                             ;   in Loop: Header=BB4_1416 Depth=2
	s_or_b64 exec, exec, s[90:91]
	v_and_b32_e32 v26, 0xffff0000, v26
	v_and_b32_e32 v17, 0xffff0000, v17
	v_add_f32_e32 v17, v26, v17
	v_and_b32_e32 v26, 0x7f800000, v17
	v_cmp_ne_u32_e32 vcc, s46, v26
                                        ; implicit-def: $vgpr26
	s_and_saveexec_b64 s[8:9], vcc
	s_xor_b64 s[90:91], exec, s[8:9]
; %bb.2473:                             ;   in Loop: Header=BB4_1416 Depth=2
	v_bfe_u32 v26, v17, 16, 1
	v_add3_u32 v26, v17, v26, s47
                                        ; implicit-def: $vgpr17
; %bb.2474:                             ;   in Loop: Header=BB4_1416 Depth=2
	s_andn2_saveexec_b64 s[90:91], s[90:91]
; %bb.2475:                             ;   in Loop: Header=BB4_1416 Depth=2
	v_or_b32_e32 v26, 0x10000, v17
	v_cmp_eq_u32_sdwa vcc, v17, v2 src0_sel:WORD_0 src1_sel:DWORD
	v_cndmask_b32_e32 v26, v26, v17, vcc
; %bb.2476:                             ;   in Loop: Header=BB4_1416 Depth=2
	s_or_b64 exec, exec, s[90:91]
	v_and_b32_e32 v17, 0xffff0000, v21
	s_waitcnt vmcnt(2)
	v_lshlrev_b32_e32 v21, 16, v16
	v_add_f32_e32 v17, v17, v21
	v_and_b32_e32 v21, 0x7f800000, v17
	v_cmp_ne_u32_e32 vcc, s46, v21
                                        ; implicit-def: $vgpr21
	s_and_saveexec_b64 s[8:9], vcc
	s_xor_b64 s[90:91], exec, s[8:9]
; %bb.2477:                             ;   in Loop: Header=BB4_1416 Depth=2
	v_bfe_u32 v21, v17, 16, 1
	v_add3_u32 v21, v17, v21, s47
                                        ; implicit-def: $vgpr17
; %bb.2478:                             ;   in Loop: Header=BB4_1416 Depth=2
	s_andn2_saveexec_b64 s[90:91], s[90:91]
; %bb.2479:                             ;   in Loop: Header=BB4_1416 Depth=2
	v_or_b32_e32 v21, 0x10000, v17
	v_cmp_eq_u32_sdwa vcc, v17, v2 src0_sel:WORD_0 src1_sel:DWORD
	v_cndmask_b32_e32 v21, v21, v17, vcc
; %bb.2480:                             ;   in Loop: Header=BB4_1416 Depth=2
	s_or_b64 exec, exec, s[90:91]
	v_and_b32_e32 v16, 0xffff0000, v16
	v_and_b32_e32 v15, 0xffff0000, v15
	v_add_f32_e32 v16, v15, v16
	v_and_b32_e32 v15, 0x7f800000, v16
	v_cmp_ne_u32_e32 vcc, s46, v15
                                        ; implicit-def: $vgpr15
	s_and_saveexec_b64 s[8:9], vcc
	s_xor_b64 s[90:91], exec, s[8:9]
; %bb.2481:                             ;   in Loop: Header=BB4_1416 Depth=2
	v_bfe_u32 v15, v16, 16, 1
	v_add3_u32 v15, v16, v15, s47
                                        ; implicit-def: $vgpr16
; %bb.2482:                             ;   in Loop: Header=BB4_1416 Depth=2
	s_andn2_saveexec_b64 s[90:91], s[90:91]
; %bb.2483:                             ;   in Loop: Header=BB4_1416 Depth=2
	v_or_b32_e32 v15, 0x10000, v16
	v_cmp_eq_u32_sdwa vcc, v16, v2 src0_sel:WORD_0 src1_sel:DWORD
	v_cndmask_b32_e32 v15, v15, v16, vcc
; %bb.2484:                             ;   in Loop: Header=BB4_1416 Depth=2
	s_or_b64 exec, exec, s[90:91]
	v_and_b32_e32 v16, 0xffff0000, v20
	s_waitcnt vmcnt(1)
	v_lshlrev_b32_e32 v17, 16, v28
	v_add_f32_e32 v16, v16, v17
	v_and_b32_e32 v17, 0x7f800000, v16
	v_cmp_ne_u32_e32 vcc, s46, v17
                                        ; implicit-def: $vgpr20
	s_and_saveexec_b64 s[8:9], vcc
	s_xor_b64 s[90:91], exec, s[8:9]
; %bb.2485:                             ;   in Loop: Header=BB4_1416 Depth=2
	v_bfe_u32 v17, v16, 16, 1
	v_add3_u32 v20, v16, v17, s47
                                        ; implicit-def: $vgpr16
; %bb.2486:                             ;   in Loop: Header=BB4_1416 Depth=2
	s_andn2_saveexec_b64 s[90:91], s[90:91]
; %bb.2487:                             ;   in Loop: Header=BB4_1416 Depth=2
	v_or_b32_e32 v17, 0x10000, v16
	v_cmp_eq_u32_sdwa vcc, v16, v2 src0_sel:WORD_0 src1_sel:DWORD
	v_cndmask_b32_e32 v20, v17, v16, vcc
; %bb.2488:                             ;   in Loop: Header=BB4_1416 Depth=2
	s_or_b64 exec, exec, s[90:91]
	v_and_b32_e32 v16, 0xffff0000, v28
	v_and_b32_e32 v8, 0xffff0000, v8
	v_add_f32_e32 v16, v8, v16
	v_and_b32_e32 v8, 0x7f800000, v16
	v_cmp_ne_u32_e32 vcc, s46, v8
                                        ; implicit-def: $vgpr8
	s_and_saveexec_b64 s[8:9], vcc
	s_xor_b64 s[90:91], exec, s[8:9]
; %bb.2489:                             ;   in Loop: Header=BB4_1416 Depth=2
	v_bfe_u32 v8, v16, 16, 1
	v_add3_u32 v8, v16, v8, s47
                                        ; implicit-def: $vgpr16
; %bb.2490:                             ;   in Loop: Header=BB4_1416 Depth=2
	s_andn2_saveexec_b64 s[90:91], s[90:91]
; %bb.2491:                             ;   in Loop: Header=BB4_1416 Depth=2
	v_or_b32_e32 v8, 0x10000, v16
	v_cmp_eq_u32_sdwa vcc, v16, v2 src0_sel:WORD_0 src1_sel:DWORD
	v_cndmask_b32_e32 v8, v8, v16, vcc
; %bb.2492:                             ;   in Loop: Header=BB4_1416 Depth=2
	s_or_b64 exec, exec, s[90:91]
	v_and_b32_e32 v9, 0xffff0000, v9
	s_waitcnt vmcnt(0)
	v_lshlrev_b32_e32 v16, 16, v27
	v_add_f32_e32 v16, v9, v16
	v_and_b32_e32 v9, 0x7f800000, v16
	v_cmp_ne_u32_e32 vcc, s46, v9
                                        ; implicit-def: $vgpr9
	s_and_saveexec_b64 s[8:9], vcc
	s_xor_b64 s[90:91], exec, s[8:9]
; %bb.2493:                             ;   in Loop: Header=BB4_1416 Depth=2
	v_bfe_u32 v9, v16, 16, 1
	v_add3_u32 v9, v16, v9, s47
                                        ; implicit-def: $vgpr16
; %bb.2494:                             ;   in Loop: Header=BB4_1416 Depth=2
	s_andn2_saveexec_b64 s[90:91], s[90:91]
; %bb.2495:                             ;   in Loop: Header=BB4_1416 Depth=2
	v_or_b32_e32 v9, 0x10000, v16
	v_cmp_eq_u32_sdwa vcc, v16, v2 src0_sel:WORD_0 src1_sel:DWORD
	v_cndmask_b32_e32 v9, v9, v16, vcc
; %bb.2496:                             ;   in Loop: Header=BB4_1416 Depth=2
	s_or_b64 exec, exec, s[90:91]
	v_and_b32_e32 v16, 0xffff0000, v27
	v_and_b32_e32 v0, 0xffff0000, v0
	v_add_f32_e32 v16, v0, v16
	v_and_b32_e32 v0, 0x7f800000, v16
	v_cmp_ne_u32_e32 vcc, s46, v0
                                        ; implicit-def: $vgpr0
	s_and_saveexec_b64 s[8:9], vcc
	s_xor_b64 s[90:91], exec, s[8:9]
; %bb.2497:                             ;   in Loop: Header=BB4_1416 Depth=2
	v_bfe_u32 v0, v16, 16, 1
	v_add3_u32 v0, v16, v0, s47
                                        ; implicit-def: $vgpr16
; %bb.2498:                             ;   in Loop: Header=BB4_1416 Depth=2
	s_andn2_saveexec_b64 s[90:91], s[90:91]
; %bb.2499:                             ;   in Loop: Header=BB4_1416 Depth=2
	v_or_b32_e32 v0, 0x10000, v16
	v_cmp_eq_u32_sdwa vcc, v16, v2 src0_sel:WORD_0 src1_sel:DWORD
	v_cndmask_b32_e32 v0, v0, v16, vcc
; %bb.2500:                             ;   in Loop: Header=BB4_1416 Depth=2
	s_or_b64 exec, exec, s[90:91]
	v_lshrrev_b32_e32 v13, 16, v13
	v_and_or_b32 v26, v26, s44, v13
	v_lshrrev_b32_e32 v13, 16, v20
	v_lshrrev_b32_e32 v16, 16, v21
	v_and_or_b32 v28, v8, s44, v13
	v_lshrrev_b32_e32 v8, 16, v9
	v_and_or_b32 v27, v15, s44, v16
	v_and_or_b32 v29, v0, s44, v8
	global_store_dwordx4 v[10:11], v[26:29], off glc slc
.LBB4_2501:                             ;   in Loop: Header=BB4_1416 Depth=2
	s_or_b64 exec, exec, s[40:41]
	v_and_b32_e32 v3, 14, v3
	v_cndmask_b32_e64 v60, v24, v3, s[28:29]
	v_cmp_ne_u32_e32 vcc, 0, v60
	s_mov_b64 s[90:91], s[42:43]
                                        ; implicit-def: $vgpr26
                                        ; implicit-def: $vgpr0
                                        ; implicit-def: $vgpr27
	s_and_saveexec_b64 s[40:41], vcc
	s_cbranch_execz .LBB4_2503
; %bb.2502:                             ;   in Loop: Header=BB4_1416 Depth=2
	v_sub_u32_e32 v0, v24, v3
	v_cndmask_b32_e64 v0, 0, v0, s[28:29]
	v_cmp_lt_i32_e32 vcc, 0, v25
	v_add3_u32 v26, v23, v4, v0
	v_cndmask_b32_e32 v0, 0, v59, vcc
	v_sub_u32_e32 v0, v0, v25
	v_lshl_add_u32 v0, v0, 6, v22
	v_ashrrev_i32_e32 v3, 31, v0
	v_lshrrev_b32_e32 v3, 26, v3
	v_add_u32_e32 v3, v0, v3
	v_and_b32_e32 v3, 0xffffffc0, v3
	v_sub_u32_e32 v27, v0, v3
	s_or_b64 s[90:91], s[42:43], exec
.LBB4_2503:                             ;   in Loop: Header=BB4_1416 Depth=2
	s_or_b64 exec, exec, s[40:41]
	s_andn2_b64 s[8:9], s[42:43], exec
	s_and_b64 s[28:29], s[90:91], exec
	s_or_b64 s[42:43], s[8:9], s[28:29]
.LBB4_2504:                             ;   in Loop: Header=BB4_1416 Depth=2
	s_or_b64 exec, exec, s[88:89]
	s_and_saveexec_b64 s[40:41], s[42:43]
	s_cbranch_execz .LBB4_2648
.LBB4_2505:                             ;   in Loop: Header=BB4_1416 Depth=2
	s_waitcnt vmcnt(0)
	v_ashrrev_i32_e32 v3, 31, v0
	v_lshrrev_b32_e32 v3, 26, v3
	v_add_u32_e32 v0, v0, v3
	v_ashrrev_i32_e32 v0, 6, v0
	v_lshlrev_b32_e32 v3, 9, v0
	v_lshlrev_b32_e32 v4, 1, v27
	v_add3_u32 v15, v26, v4, v3
	v_ashrrev_i32_e32 v3, 31, v60
	v_lshrrev_b32_e32 v3, 23, v3
	v_add_u32_e32 v3, v60, v3
	v_ashrrev_i32_e32 v22, 9, v3
	buffer_load_dword v3, off, s[0:3], s33 offset:244 ; 4-byte Folded Reload
	buffer_load_dword v4, off, s[0:3], s33 offset:248 ; 4-byte Folded Reload
	v_ashrrev_i32_e32 v17, 31, v15
	v_sub_u32_e32 v23, v22, v0
	v_mov_b32_e32 v20, 0
	s_mov_b64 s[42:43], 0
	v_mov_b32_e32 v16, 0
	v_mov_b32_e32 v13, 0
	;; [unrolled: 1-line block ×5, first 2 shown]
	s_waitcnt vmcnt(0) lgkmcnt(0)
	v_add_co_u32_e32 v8, vcc, v3, v15
	v_addc_co_u32_e32 v9, vcc, v4, v17, vcc
	v_cmp_lt_i32_e32 vcc, 0, v23
	v_mov_b32_e32 v4, 0
	v_mov_b32_e32 v3, 0
	s_and_saveexec_b64 s[28:29], vcc
	s_cbranch_execz .LBB4_2577
; %bb.2506:                             ;   in Loop: Header=BB4_1416 Depth=2
	s_trap 2
	ds_read_b64 v[10:11], v0
	v_add_co_u32_e32 v3, vcc, v15, v18
	v_addc_co_u32_e32 v4, vcc, v17, v19, vcc
	s_waitcnt lgkmcnt(0)
	v_add_co_u32_e32 v10, vcc, v10, v15
	v_addc_co_u32_e32 v11, vcc, v11, v17, vcc
	s_mov_b64 s[90:91], 0
	s_mov_b64 s[88:89], 0
                                        ; implicit-def: $sgpr42_sgpr43
                                        ; implicit-def: $vgpr28
                                        ; implicit-def: $vgpr15
                                        ; implicit-def: $vgpr13
                                        ; implicit-def: $vgpr52
                                        ; implicit-def: $vgpr24
                                        ; implicit-def: $vgpr25
                                        ; implicit-def: $vgpr29
                                        ; implicit-def: $vgpr30
	s_branch .LBB4_2508
.LBB4_2507:                             ;   in Loop: Header=BB4_2508 Depth=3
	s_or_b64 exec, exec, s[92:93]
	flat_store_short_d16_hi v[8:9], v20 glc slc
	flat_store_short_d16_hi v[8:9], v16 offset:128 glc slc
	flat_store_short_d16_hi v[8:9], v17 offset:256 glc slc
	;; [unrolled: 1-line block ×3, first 2 shown]
	v_add_co_u32_e32 v0, vcc, v3, v54
	v_addc_co_u32_e32 v16, vcc, v4, v55, vcc
	v_add_co_u32_e32 v17, vcc, v10, v54
	v_mov_b32_e32 v31, 0x200
	v_addc_co_u32_e32 v20, vcc, v11, v55, vcc
	v_cndmask_b32_e64 v31, v31, v1, s[90:91]
	v_cndmask_b32_e64 v21, 0, v42, s[90:91]
	v_add_co_u32_e32 v8, vcc, v8, v31
	v_cndmask_b32_e64 v3, v3, v0, s[90:91]
	v_cndmask_b32_e64 v0, 0, v59, s[90:91]
	v_addc_co_u32_e32 v9, vcc, v9, v21, vcc
	v_sub_u32_e32 v23, v23, v0
	v_cmp_gt_i32_e32 vcc, 1, v23
	s_or_b64 s[88:89], vcc, s[88:89]
	s_andn2_b64 s[8:9], s[42:43], exec
	s_and_b64 s[42:43], s[90:91], exec
	v_cndmask_b32_e64 v4, v4, v16, s[90:91]
	v_cndmask_b32_e64 v11, v11, v20, s[90:91]
	;; [unrolled: 1-line block ×3, first 2 shown]
	s_or_b64 s[42:43], s[8:9], s[42:43]
	s_andn2_b64 exec, exec, s[88:89]
	s_cbranch_execz .LBB4_2576
.LBB4_2508:                             ;   Parent Loop BB4_47 Depth=1
                                        ;     Parent Loop BB4_1416 Depth=2
                                        ; =>    This Inner Loop Header: Depth=3
	flat_load_ushort v0, v[3:4] glc slc
	flat_load_ushort v44, v[3:4] offset:128 glc slc
	flat_load_ushort v53, v[3:4] offset:256 glc slc
	;; [unrolled: 1-line block ×3, first 2 shown]
	flat_load_ushort v20, v[10:11] glc slc
	flat_load_ushort v51, v[10:11] offset:128 glc slc
	flat_load_ushort v50, v[10:11] offset:256 glc slc
	;; [unrolled: 1-line block ×3, first 2 shown]
	s_and_saveexec_b64 s[92:93], s[90:91]
	s_cbranch_execz .LBB4_2542
; %bb.2509:                             ;   in Loop: Header=BB4_2508 Depth=3
	s_trap 2
	s_waitcnt vmcnt(0) lgkmcnt(0)
	ds_read_b32 v16, v0
	v_lshlrev_b32_e32 v17, 16, v28
	s_waitcnt lgkmcnt(0)
	v_lshlrev_b32_e32 v16, 16, v16
	v_mul_f32_e32 v17, v17, v16
	v_and_b32_e32 v28, 0x7f800000, v17
	v_cmp_ne_u32_e32 vcc, s46, v28
                                        ; implicit-def: $vgpr28
	s_and_saveexec_b64 s[8:9], vcc
	s_xor_b64 s[90:91], exec, s[8:9]
; %bb.2510:                             ;   in Loop: Header=BB4_2508 Depth=3
	v_bfe_u32 v28, v17, 16, 1
	v_add3_u32 v28, v17, v28, s47
                                        ; implicit-def: $vgpr17
; %bb.2511:                             ;   in Loop: Header=BB4_2508 Depth=3
	s_andn2_saveexec_b64 s[90:91], s[90:91]
; %bb.2512:                             ;   in Loop: Header=BB4_2508 Depth=3
	v_or_b32_e32 v28, 0x10000, v17
	v_cmp_eq_u32_sdwa vcc, v17, v2 src0_sel:WORD_0 src1_sel:DWORD
	v_cndmask_b32_e32 v28, v28, v17, vcc
; %bb.2513:                             ;   in Loop: Header=BB4_2508 Depth=3
	s_or_b64 exec, exec, s[90:91]
	v_lshlrev_b32_e32 v15, 16, v15
	v_mul_f32_e32 v15, v15, v16
	v_and_b32_e32 v17, 0x7f800000, v15
	v_cmp_ne_u32_e32 vcc, s46, v17
                                        ; implicit-def: $vgpr34
	s_and_saveexec_b64 s[8:9], vcc
	s_xor_b64 s[90:91], exec, s[8:9]
; %bb.2514:                             ;   in Loop: Header=BB4_2508 Depth=3
	v_bfe_u32 v17, v15, 16, 1
	v_add3_u32 v34, v15, v17, s47
                                        ; implicit-def: $vgpr15
; %bb.2515:                             ;   in Loop: Header=BB4_2508 Depth=3
	s_andn2_saveexec_b64 s[90:91], s[90:91]
; %bb.2516:                             ;   in Loop: Header=BB4_2508 Depth=3
	v_or_b32_e32 v17, 0x10000, v15
	v_cmp_eq_u32_sdwa vcc, v15, v2 src0_sel:WORD_0 src1_sel:DWORD
	v_cndmask_b32_e32 v34, v17, v15, vcc
; %bb.2517:                             ;   in Loop: Header=BB4_2508 Depth=3
	s_or_b64 exec, exec, s[90:91]
	v_lshlrev_b32_e32 v13, 16, v13
	v_mul_f32_e32 v13, v13, v16
	v_and_b32_e32 v15, 0x7f800000, v13
	v_cmp_ne_u32_e32 vcc, s46, v15
                                        ; implicit-def: $vgpr15
	s_and_saveexec_b64 s[8:9], vcc
	s_xor_b64 s[90:91], exec, s[8:9]
; %bb.2518:                             ;   in Loop: Header=BB4_2508 Depth=3
	v_bfe_u32 v15, v13, 16, 1
	v_add3_u32 v15, v13, v15, s47
                                        ; implicit-def: $vgpr13
; %bb.2519:                             ;   in Loop: Header=BB4_2508 Depth=3
	s_andn2_saveexec_b64 s[90:91], s[90:91]
; %bb.2520:                             ;   in Loop: Header=BB4_2508 Depth=3
	v_or_b32_e32 v15, 0x10000, v13
	v_cmp_eq_u32_sdwa vcc, v13, v2 src0_sel:WORD_0 src1_sel:DWORD
	v_cndmask_b32_e32 v15, v15, v13, vcc
; %bb.2521:                             ;   in Loop: Header=BB4_2508 Depth=3
	s_or_b64 exec, exec, s[90:91]
	v_lshlrev_b32_e32 v13, 16, v52
	v_mul_f32_e32 v16, v13, v16
	v_and_b32_e32 v13, 0x7f800000, v16
	v_cmp_ne_u32_e32 vcc, s46, v13
                                        ; implicit-def: $vgpr13
	s_and_saveexec_b64 s[8:9], vcc
	s_xor_b64 s[90:91], exec, s[8:9]
; %bb.2522:                             ;   in Loop: Header=BB4_2508 Depth=3
	v_bfe_u32 v13, v16, 16, 1
	v_add3_u32 v13, v16, v13, s47
                                        ; implicit-def: $vgpr16
; %bb.2523:                             ;   in Loop: Header=BB4_2508 Depth=3
	s_andn2_saveexec_b64 s[90:91], s[90:91]
; %bb.2524:                             ;   in Loop: Header=BB4_2508 Depth=3
	v_or_b32_e32 v13, 0x10000, v16
	v_cmp_eq_u32_sdwa vcc, v16, v2 src0_sel:WORD_0 src1_sel:DWORD
	v_cndmask_b32_e32 v13, v13, v16, vcc
; %bb.2525:                             ;   in Loop: Header=BB4_2508 Depth=3
	s_or_b64 exec, exec, s[90:91]
	v_and_b32_e32 v16, 0xffff0000, v28
	v_lshlrev_b32_e32 v17, 16, v24
	v_add_f32_e32 v16, v17, v16
	v_and_b32_e32 v17, 0x7f800000, v16
	v_cmp_ne_u32_e32 vcc, s46, v17
                                        ; implicit-def: $vgpr28
	s_and_saveexec_b64 s[8:9], vcc
	s_xor_b64 s[90:91], exec, s[8:9]
; %bb.2526:                             ;   in Loop: Header=BB4_2508 Depth=3
	v_bfe_u32 v17, v16, 16, 1
	v_add3_u32 v28, v16, v17, s47
                                        ; implicit-def: $vgpr16
; %bb.2527:                             ;   in Loop: Header=BB4_2508 Depth=3
	s_andn2_saveexec_b64 s[90:91], s[90:91]
; %bb.2528:                             ;   in Loop: Header=BB4_2508 Depth=3
	v_or_b32_e32 v17, 0x10000, v16
	v_cmp_eq_u32_sdwa vcc, v16, v2 src0_sel:WORD_0 src1_sel:DWORD
	v_cndmask_b32_e32 v28, v17, v16, vcc
; %bb.2529:                             ;   in Loop: Header=BB4_2508 Depth=3
	s_or_b64 exec, exec, s[90:91]
	v_and_b32_e32 v16, 0xffff0000, v34
	v_lshlrev_b32_e32 v17, 16, v25
	v_add_f32_e32 v17, v17, v16
	v_and_b32_e32 v16, 0x7f800000, v17
	v_cmp_ne_u32_e32 vcc, s46, v16
                                        ; implicit-def: $vgpr16
	s_and_saveexec_b64 s[8:9], vcc
	s_xor_b64 s[90:91], exec, s[8:9]
; %bb.2530:                             ;   in Loop: Header=BB4_2508 Depth=3
	v_bfe_u32 v16, v17, 16, 1
	v_add3_u32 v16, v17, v16, s47
                                        ; implicit-def: $vgpr17
; %bb.2531:                             ;   in Loop: Header=BB4_2508 Depth=3
	s_andn2_saveexec_b64 s[90:91], s[90:91]
; %bb.2532:                             ;   in Loop: Header=BB4_2508 Depth=3
	v_or_b32_e32 v16, 0x10000, v17
	v_cmp_eq_u32_sdwa vcc, v17, v2 src0_sel:WORD_0 src1_sel:DWORD
	v_cndmask_b32_e32 v16, v16, v17, vcc
; %bb.2533:                             ;   in Loop: Header=BB4_2508 Depth=3
	s_or_b64 exec, exec, s[90:91]
	v_and_b32_e32 v15, 0xffff0000, v15
	v_lshlrev_b32_e32 v17, 16, v29
	v_add_f32_e32 v17, v17, v15
	v_and_b32_e32 v15, 0x7f800000, v17
	v_cmp_ne_u32_e32 vcc, s46, v15
                                        ; implicit-def: $vgpr15
	s_and_saveexec_b64 s[8:9], vcc
	s_xor_b64 s[90:91], exec, s[8:9]
; %bb.2534:                             ;   in Loop: Header=BB4_2508 Depth=3
	v_bfe_u32 v15, v17, 16, 1
	v_add3_u32 v15, v17, v15, s47
                                        ; implicit-def: $vgpr17
; %bb.2535:                             ;   in Loop: Header=BB4_2508 Depth=3
	s_andn2_saveexec_b64 s[90:91], s[90:91]
; %bb.2536:                             ;   in Loop: Header=BB4_2508 Depth=3
	v_or_b32_e32 v15, 0x10000, v17
	v_cmp_eq_u32_sdwa vcc, v17, v2 src0_sel:WORD_0 src1_sel:DWORD
	v_cndmask_b32_e32 v15, v15, v17, vcc
; %bb.2537:                             ;   in Loop: Header=BB4_2508 Depth=3
	s_or_b64 exec, exec, s[90:91]
	v_and_b32_e32 v13, 0xffff0000, v13
	v_lshlrev_b32_e32 v17, 16, v30
	v_add_f32_e32 v13, v17, v13
	v_and_b32_e32 v17, 0x7f800000, v13
	v_cmp_ne_u32_e32 vcc, s46, v17
                                        ; implicit-def: $vgpr17
	s_and_saveexec_b64 s[8:9], vcc
	s_xor_b64 s[90:91], exec, s[8:9]
; %bb.2538:                             ;   in Loop: Header=BB4_2508 Depth=3
	v_bfe_u32 v17, v13, 16, 1
	v_add3_u32 v17, v13, v17, s47
                                        ; implicit-def: $vgpr13
; %bb.2539:                             ;   in Loop: Header=BB4_2508 Depth=3
	s_andn2_saveexec_b64 s[90:91], s[90:91]
; %bb.2540:                             ;   in Loop: Header=BB4_2508 Depth=3
	v_or_b32_e32 v17, 0x10000, v13
	v_cmp_eq_u32_sdwa vcc, v13, v2 src0_sel:WORD_0 src1_sel:DWORD
	v_cndmask_b32_e32 v17, v17, v13, vcc
; %bb.2541:                             ;   in Loop: Header=BB4_2508 Depth=3
	s_or_b64 exec, exec, s[90:91]
	v_lshrrev_b32_e32 v28, 16, v28
	v_lshrrev_b32_e32 v13, 16, v15
	;; [unrolled: 1-line block ×4, first 2 shown]
	flat_store_short v[8:9], v28 glc slc
	flat_store_short v[8:9], v15 offset:128 glc slc
	flat_store_short v[8:9], v13 offset:256 glc slc
	;; [unrolled: 1-line block ×3, first 2 shown]
	v_add_co_u32_e32 v8, vcc, v8, v1
	v_addc_co_u32_e32 v9, vcc, v9, v42, vcc
.LBB4_2542:                             ;   in Loop: Header=BB4_2508 Depth=3
	s_or_b64 exec, exec, s[92:93]
	v_add_co_u32_e32 v3, vcc, v3, v1
	v_addc_co_u32_e32 v4, vcc, v4, v42, vcc
	v_add_co_u32_e32 v10, vcc, v10, v1
	v_sub_u32_e32 v23, v23, v59
	v_addc_co_u32_e32 v11, vcc, v11, v42, vcc
	v_cmp_lt_i32_e64 s[90:91], 0, v23
	s_and_saveexec_b64 s[92:93], s[90:91]
	s_cbranch_execz .LBB4_2544
; %bb.2543:                             ;   in Loop: Header=BB4_2508 Depth=3
	flat_load_ushort v28, v[3:4] glc slc
	flat_load_ushort v15, v[3:4] offset:128 glc slc
	flat_load_ushort v13, v[3:4] offset:256 glc slc
	;; [unrolled: 1-line block ×3, first 2 shown]
	flat_load_ushort v24, v[10:11] glc slc
	flat_load_ushort v25, v[10:11] offset:128 glc slc
	flat_load_ushort v29, v[10:11] offset:256 glc slc
	;; [unrolled: 1-line block ×3, first 2 shown]
	v_add_co_u32_e32 v3, vcc, 0x200, v3
	v_addc_co_u32_e32 v4, vcc, 0, v4, vcc
	v_add_co_u32_e32 v10, vcc, 0x200, v10
	v_addc_co_u32_e32 v11, vcc, 0, v11, vcc
.LBB4_2544:                             ;   in Loop: Header=BB4_2508 Depth=3
	s_or_b64 exec, exec, s[92:93]
	s_trap 2
	s_waitcnt vmcnt(0) lgkmcnt(0)
	ds_read_b32 v16, v0
	v_lshlrev_b32_e32 v0, 16, v0
	s_waitcnt lgkmcnt(0)
	v_lshlrev_b32_e32 v17, 16, v16
	v_mul_f32_e32 v0, v0, v17
	v_and_b32_e32 v16, 0x7f800000, v0
	v_cmp_ne_u32_e32 vcc, s46, v16
                                        ; implicit-def: $vgpr16
	s_and_saveexec_b64 s[8:9], vcc
	s_xor_b64 s[92:93], exec, s[8:9]
; %bb.2545:                             ;   in Loop: Header=BB4_2508 Depth=3
	v_bfe_u32 v16, v0, 16, 1
	v_add3_u32 v16, v0, v16, s47
                                        ; implicit-def: $vgpr0
; %bb.2546:                             ;   in Loop: Header=BB4_2508 Depth=3
	s_andn2_saveexec_b64 s[92:93], s[92:93]
; %bb.2547:                             ;   in Loop: Header=BB4_2508 Depth=3
	v_or_b32_e32 v16, 0x10000, v0
	v_cmp_eq_u32_sdwa vcc, v0, v2 src0_sel:WORD_0 src1_sel:DWORD
	v_cndmask_b32_e32 v16, v16, v0, vcc
; %bb.2548:                             ;   in Loop: Header=BB4_2508 Depth=3
	s_or_b64 exec, exec, s[92:93]
	v_lshlrev_b32_e32 v0, 16, v44
	v_mul_f32_e32 v0, v0, v17
	v_and_b32_e32 v34, 0x7f800000, v0
	v_cmp_ne_u32_e32 vcc, s46, v34
                                        ; implicit-def: $vgpr35
	s_and_saveexec_b64 s[8:9], vcc
	s_xor_b64 s[92:93], exec, s[8:9]
; %bb.2549:                             ;   in Loop: Header=BB4_2508 Depth=3
	v_bfe_u32 v34, v0, 16, 1
	v_add3_u32 v35, v0, v34, s47
                                        ; implicit-def: $vgpr0
; %bb.2550:                             ;   in Loop: Header=BB4_2508 Depth=3
	s_andn2_saveexec_b64 s[92:93], s[92:93]
; %bb.2551:                             ;   in Loop: Header=BB4_2508 Depth=3
	v_or_b32_e32 v34, 0x10000, v0
	v_cmp_eq_u32_sdwa vcc, v0, v2 src0_sel:WORD_0 src1_sel:DWORD
	v_cndmask_b32_e32 v35, v34, v0, vcc
; %bb.2552:                             ;   in Loop: Header=BB4_2508 Depth=3
	s_or_b64 exec, exec, s[92:93]
	v_lshlrev_b32_e32 v0, 16, v53
	v_mul_f32_e32 v0, v0, v17
	v_and_b32_e32 v34, 0x7f800000, v0
	v_cmp_ne_u32_e32 vcc, s46, v34
                                        ; implicit-def: $vgpr34
	s_and_saveexec_b64 s[8:9], vcc
	s_xor_b64 s[92:93], exec, s[8:9]
; %bb.2553:                             ;   in Loop: Header=BB4_2508 Depth=3
	v_bfe_u32 v34, v0, 16, 1
	v_add3_u32 v34, v0, v34, s47
                                        ; implicit-def: $vgpr0
; %bb.2554:                             ;   in Loop: Header=BB4_2508 Depth=3
	s_andn2_saveexec_b64 s[92:93], s[92:93]
; %bb.2555:                             ;   in Loop: Header=BB4_2508 Depth=3
	v_or_b32_e32 v34, 0x10000, v0
	v_cmp_eq_u32_sdwa vcc, v0, v2 src0_sel:WORD_0 src1_sel:DWORD
	v_cndmask_b32_e32 v34, v34, v0, vcc
; %bb.2556:                             ;   in Loop: Header=BB4_2508 Depth=3
	s_or_b64 exec, exec, s[92:93]
	v_lshlrev_b32_e32 v0, 16, v21
	v_mul_f32_e32 v17, v0, v17
	v_and_b32_e32 v0, 0x7f800000, v17
	v_cmp_ne_u32_e32 vcc, s46, v0
                                        ; implicit-def: $vgpr0
	s_and_saveexec_b64 s[8:9], vcc
	s_xor_b64 s[92:93], exec, s[8:9]
; %bb.2557:                             ;   in Loop: Header=BB4_2508 Depth=3
	v_bfe_u32 v0, v17, 16, 1
	v_add3_u32 v0, v17, v0, s47
                                        ; implicit-def: $vgpr17
; %bb.2558:                             ;   in Loop: Header=BB4_2508 Depth=3
	s_andn2_saveexec_b64 s[92:93], s[92:93]
; %bb.2559:                             ;   in Loop: Header=BB4_2508 Depth=3
	v_or_b32_e32 v0, 0x10000, v17
	v_cmp_eq_u32_sdwa vcc, v17, v2 src0_sel:WORD_0 src1_sel:DWORD
	v_cndmask_b32_e32 v0, v0, v17, vcc
; %bb.2560:                             ;   in Loop: Header=BB4_2508 Depth=3
	s_or_b64 exec, exec, s[92:93]
	v_and_b32_e32 v16, 0xffff0000, v16
	v_lshlrev_b32_e32 v17, 16, v20
	v_add_f32_e32 v16, v17, v16
	v_and_b32_e32 v17, 0x7f800000, v16
	v_cmp_ne_u32_e32 vcc, s46, v17
                                        ; implicit-def: $vgpr20
	s_and_saveexec_b64 s[8:9], vcc
	s_xor_b64 s[92:93], exec, s[8:9]
; %bb.2561:                             ;   in Loop: Header=BB4_2508 Depth=3
	v_bfe_u32 v17, v16, 16, 1
	v_add3_u32 v20, v16, v17, s47
                                        ; implicit-def: $vgpr16
; %bb.2562:                             ;   in Loop: Header=BB4_2508 Depth=3
	s_andn2_saveexec_b64 s[92:93], s[92:93]
; %bb.2563:                             ;   in Loop: Header=BB4_2508 Depth=3
	v_or_b32_e32 v17, 0x10000, v16
	v_cmp_eq_u32_sdwa vcc, v16, v2 src0_sel:WORD_0 src1_sel:DWORD
	v_cndmask_b32_e32 v20, v17, v16, vcc
; %bb.2564:                             ;   in Loop: Header=BB4_2508 Depth=3
	s_or_b64 exec, exec, s[92:93]
	v_and_b32_e32 v16, 0xffff0000, v35
	v_lshlrev_b32_e32 v17, 16, v51
	v_add_f32_e32 v17, v17, v16
	v_and_b32_e32 v16, 0x7f800000, v17
	v_cmp_ne_u32_e32 vcc, s46, v16
                                        ; implicit-def: $vgpr16
	s_and_saveexec_b64 s[8:9], vcc
	s_xor_b64 s[92:93], exec, s[8:9]
; %bb.2565:                             ;   in Loop: Header=BB4_2508 Depth=3
	v_bfe_u32 v16, v17, 16, 1
	v_add3_u32 v16, v17, v16, s47
                                        ; implicit-def: $vgpr17
; %bb.2566:                             ;   in Loop: Header=BB4_2508 Depth=3
	s_andn2_saveexec_b64 s[92:93], s[92:93]
; %bb.2567:                             ;   in Loop: Header=BB4_2508 Depth=3
	v_or_b32_e32 v16, 0x10000, v17
	v_cmp_eq_u32_sdwa vcc, v17, v2 src0_sel:WORD_0 src1_sel:DWORD
	v_cndmask_b32_e32 v16, v16, v17, vcc
; %bb.2568:                             ;   in Loop: Header=BB4_2508 Depth=3
	s_or_b64 exec, exec, s[92:93]
	v_and_b32_e32 v17, 0xffff0000, v34
	v_lshlrev_b32_e32 v21, 16, v50
	v_add_f32_e32 v21, v21, v17
	v_and_b32_e32 v17, 0x7f800000, v21
	v_cmp_ne_u32_e32 vcc, s46, v17
                                        ; implicit-def: $vgpr17
	s_and_saveexec_b64 s[8:9], vcc
	s_xor_b64 s[92:93], exec, s[8:9]
; %bb.2569:                             ;   in Loop: Header=BB4_2508 Depth=3
	v_bfe_u32 v17, v21, 16, 1
	v_add3_u32 v17, v21, v17, s47
                                        ; implicit-def: $vgpr21
; %bb.2570:                             ;   in Loop: Header=BB4_2508 Depth=3
	s_andn2_saveexec_b64 s[92:93], s[92:93]
; %bb.2571:                             ;   in Loop: Header=BB4_2508 Depth=3
	v_or_b32_e32 v17, 0x10000, v21
	v_cmp_eq_u32_sdwa vcc, v21, v2 src0_sel:WORD_0 src1_sel:DWORD
	v_cndmask_b32_e32 v17, v17, v21, vcc
; %bb.2572:                             ;   in Loop: Header=BB4_2508 Depth=3
	s_or_b64 exec, exec, s[92:93]
	v_and_b32_e32 v0, 0xffff0000, v0
	v_lshlrev_b32_e32 v21, 16, v31
	v_add_f32_e32 v21, v21, v0
	v_and_b32_e32 v0, 0x7f800000, v21
	v_cmp_ne_u32_e32 vcc, s46, v0
                                        ; implicit-def: $vgpr0
	s_and_saveexec_b64 s[8:9], vcc
	s_xor_b64 s[92:93], exec, s[8:9]
; %bb.2573:                             ;   in Loop: Header=BB4_2508 Depth=3
	v_bfe_u32 v0, v21, 16, 1
	v_add3_u32 v0, v21, v0, s47
                                        ; implicit-def: $vgpr21
; %bb.2574:                             ;   in Loop: Header=BB4_2508 Depth=3
	s_andn2_saveexec_b64 s[92:93], s[92:93]
	s_cbranch_execz .LBB4_2507
; %bb.2575:                             ;   in Loop: Header=BB4_2508 Depth=3
	v_or_b32_e32 v0, 0x10000, v21
	v_cmp_eq_u32_sdwa vcc, v21, v2 src0_sel:WORD_0 src1_sel:DWORD
	v_cndmask_b32_e32 v0, v0, v21, vcc
	s_branch .LBB4_2507
.LBB4_2576:                             ;   in Loop: Header=BB4_1416 Depth=2
	s_or_b64 exec, exec, s[88:89]
	v_lshlrev_b32_e32 v20, 16, v28
	v_lshlrev_b32_e32 v16, 16, v15
	;; [unrolled: 1-line block ×8, first 2 shown]
	s_and_b64 s[42:43], s[42:43], exec
.LBB4_2577:                             ;   in Loop: Header=BB4_1416 Depth=2
	s_or_b64 exec, exec, s[28:29]
	s_and_saveexec_b64 s[28:29], s[42:43]
	s_cbranch_execz .LBB4_2611
; %bb.2578:                             ;   in Loop: Header=BB4_1416 Depth=2
	s_trap 2
	ds_read_b32 v15, v0
	s_waitcnt lgkmcnt(0)
	v_lshlrev_b32_e32 v17, 16, v15
	v_mul_f32_e32 v20, v20, v17
	v_and_b32_e32 v15, 0x7f800000, v20
	v_cmp_ne_u32_e32 vcc, s46, v15
                                        ; implicit-def: $vgpr15
	s_and_saveexec_b64 s[8:9], vcc
	s_xor_b64 s[42:43], exec, s[8:9]
; %bb.2579:                             ;   in Loop: Header=BB4_1416 Depth=2
	v_bfe_u32 v15, v20, 16, 1
	v_add3_u32 v15, v20, v15, s47
                                        ; implicit-def: $vgpr20
; %bb.2580:                             ;   in Loop: Header=BB4_1416 Depth=2
	s_andn2_saveexec_b64 s[42:43], s[42:43]
; %bb.2581:                             ;   in Loop: Header=BB4_1416 Depth=2
	v_or_b32_e32 v15, 0x10000, v20
	v_cmp_eq_u32_sdwa vcc, v20, v2 src0_sel:WORD_0 src1_sel:DWORD
	v_cndmask_b32_e32 v15, v15, v20, vcc
; %bb.2582:                             ;   in Loop: Header=BB4_1416 Depth=2
	s_or_b64 exec, exec, s[42:43]
	v_mul_f32_e32 v20, v16, v17
	v_and_b32_e32 v16, 0x7f800000, v20
	v_cmp_ne_u32_e32 vcc, s46, v16
                                        ; implicit-def: $vgpr16
	s_and_saveexec_b64 s[8:9], vcc
	s_xor_b64 s[42:43], exec, s[8:9]
; %bb.2583:                             ;   in Loop: Header=BB4_1416 Depth=2
	v_bfe_u32 v16, v20, 16, 1
	v_add3_u32 v16, v20, v16, s47
                                        ; implicit-def: $vgpr20
; %bb.2584:                             ;   in Loop: Header=BB4_1416 Depth=2
	s_andn2_saveexec_b64 s[42:43], s[42:43]
; %bb.2585:                             ;   in Loop: Header=BB4_1416 Depth=2
	v_or_b32_e32 v16, 0x10000, v20
	v_cmp_eq_u32_sdwa vcc, v20, v2 src0_sel:WORD_0 src1_sel:DWORD
	v_cndmask_b32_e32 v16, v16, v20, vcc
; %bb.2586:                             ;   in Loop: Header=BB4_1416 Depth=2
	s_or_b64 exec, exec, s[42:43]
	v_mul_f32_e32 v20, v13, v17
	v_and_b32_e32 v13, 0x7f800000, v20
	v_cmp_ne_u32_e32 vcc, s46, v13
                                        ; implicit-def: $vgpr13
	s_and_saveexec_b64 s[8:9], vcc
	s_xor_b64 s[42:43], exec, s[8:9]
; %bb.2587:                             ;   in Loop: Header=BB4_1416 Depth=2
	v_bfe_u32 v13, v20, 16, 1
	v_add3_u32 v13, v20, v13, s47
                                        ; implicit-def: $vgpr20
; %bb.2588:                             ;   in Loop: Header=BB4_1416 Depth=2
	s_andn2_saveexec_b64 s[42:43], s[42:43]
; %bb.2589:                             ;   in Loop: Header=BB4_1416 Depth=2
	v_or_b32_e32 v13, 0x10000, v20
	v_cmp_eq_u32_sdwa vcc, v20, v2 src0_sel:WORD_0 src1_sel:DWORD
	v_cndmask_b32_e32 v13, v13, v20, vcc
; %bb.2590:                             ;   in Loop: Header=BB4_1416 Depth=2
	s_or_b64 exec, exec, s[42:43]
	v_mul_f32_e32 v17, v11, v17
	v_and_b32_e32 v11, 0x7f800000, v17
	v_cmp_ne_u32_e32 vcc, s46, v11
                                        ; implicit-def: $vgpr11
	s_and_saveexec_b64 s[8:9], vcc
	s_xor_b64 s[42:43], exec, s[8:9]
; %bb.2591:                             ;   in Loop: Header=BB4_1416 Depth=2
	v_bfe_u32 v11, v17, 16, 1
	v_add3_u32 v11, v17, v11, s47
                                        ; implicit-def: $vgpr17
; %bb.2592:                             ;   in Loop: Header=BB4_1416 Depth=2
	s_andn2_saveexec_b64 s[42:43], s[42:43]
; %bb.2593:                             ;   in Loop: Header=BB4_1416 Depth=2
	v_or_b32_e32 v11, 0x10000, v17
	v_cmp_eq_u32_sdwa vcc, v17, v2 src0_sel:WORD_0 src1_sel:DWORD
	v_cndmask_b32_e32 v11, v11, v17, vcc
; %bb.2594:                             ;   in Loop: Header=BB4_1416 Depth=2
	s_or_b64 exec, exec, s[42:43]
	v_and_b32_e32 v15, 0xffff0000, v15
	v_add_f32_e32 v15, v10, v15
	v_and_b32_e32 v10, 0x7f800000, v15
	v_cmp_ne_u32_e32 vcc, s46, v10
                                        ; implicit-def: $vgpr10
	s_and_saveexec_b64 s[8:9], vcc
	s_xor_b64 s[42:43], exec, s[8:9]
; %bb.2595:                             ;   in Loop: Header=BB4_1416 Depth=2
	v_bfe_u32 v10, v15, 16, 1
	v_add3_u32 v10, v15, v10, s47
                                        ; implicit-def: $vgpr15
; %bb.2596:                             ;   in Loop: Header=BB4_1416 Depth=2
	s_andn2_saveexec_b64 s[42:43], s[42:43]
; %bb.2597:                             ;   in Loop: Header=BB4_1416 Depth=2
	v_or_b32_e32 v10, 0x10000, v15
	v_cmp_eq_u32_sdwa vcc, v15, v2 src0_sel:WORD_0 src1_sel:DWORD
	v_cndmask_b32_e32 v10, v10, v15, vcc
; %bb.2598:                             ;   in Loop: Header=BB4_1416 Depth=2
	s_or_b64 exec, exec, s[42:43]
	v_and_b32_e32 v15, 0xffff0000, v16
	v_add_f32_e32 v15, v4, v15
	v_and_b32_e32 v4, 0x7f800000, v15
	v_cmp_ne_u32_e32 vcc, s46, v4
                                        ; implicit-def: $vgpr4
	s_and_saveexec_b64 s[8:9], vcc
	s_xor_b64 s[42:43], exec, s[8:9]
; %bb.2599:                             ;   in Loop: Header=BB4_1416 Depth=2
	v_bfe_u32 v4, v15, 16, 1
	v_add3_u32 v4, v15, v4, s47
                                        ; implicit-def: $vgpr15
; %bb.2600:                             ;   in Loop: Header=BB4_1416 Depth=2
	s_andn2_saveexec_b64 s[42:43], s[42:43]
; %bb.2601:                             ;   in Loop: Header=BB4_1416 Depth=2
	v_or_b32_e32 v4, 0x10000, v15
	v_cmp_eq_u32_sdwa vcc, v15, v2 src0_sel:WORD_0 src1_sel:DWORD
	v_cndmask_b32_e32 v4, v4, v15, vcc
; %bb.2602:                             ;   in Loop: Header=BB4_1416 Depth=2
	s_or_b64 exec, exec, s[42:43]
	v_and_b32_e32 v13, 0xffff0000, v13
	v_add_f32_e32 v13, v3, v13
	v_and_b32_e32 v3, 0x7f800000, v13
	v_cmp_ne_u32_e32 vcc, s46, v3
                                        ; implicit-def: $vgpr3
	s_and_saveexec_b64 s[8:9], vcc
	s_xor_b64 s[42:43], exec, s[8:9]
; %bb.2603:                             ;   in Loop: Header=BB4_1416 Depth=2
	v_bfe_u32 v3, v13, 16, 1
	v_add3_u32 v3, v13, v3, s47
                                        ; implicit-def: $vgpr13
; %bb.2604:                             ;   in Loop: Header=BB4_1416 Depth=2
	s_andn2_saveexec_b64 s[42:43], s[42:43]
; %bb.2605:                             ;   in Loop: Header=BB4_1416 Depth=2
	v_or_b32_e32 v3, 0x10000, v13
	v_cmp_eq_u32_sdwa vcc, v13, v2 src0_sel:WORD_0 src1_sel:DWORD
	v_cndmask_b32_e32 v3, v3, v13, vcc
; %bb.2606:                             ;   in Loop: Header=BB4_1416 Depth=2
	s_or_b64 exec, exec, s[42:43]
	v_and_b32_e32 v11, 0xffff0000, v11
	v_add_f32_e32 v11, v0, v11
	v_and_b32_e32 v0, 0x7f800000, v11
	v_cmp_ne_u32_e32 vcc, s46, v0
                                        ; implicit-def: $vgpr0
	s_and_saveexec_b64 s[8:9], vcc
	s_xor_b64 s[42:43], exec, s[8:9]
; %bb.2607:                             ;   in Loop: Header=BB4_1416 Depth=2
	v_bfe_u32 v0, v11, 16, 1
	v_add3_u32 v0, v11, v0, s47
                                        ; implicit-def: $vgpr11
; %bb.2608:                             ;   in Loop: Header=BB4_1416 Depth=2
	s_andn2_saveexec_b64 s[42:43], s[42:43]
; %bb.2609:                             ;   in Loop: Header=BB4_1416 Depth=2
	v_or_b32_e32 v0, 0x10000, v11
	v_cmp_eq_u32_sdwa vcc, v11, v2 src0_sel:WORD_0 src1_sel:DWORD
	v_cndmask_b32_e32 v0, v0, v11, vcc
; %bb.2610:                             ;   in Loop: Header=BB4_1416 Depth=2
	s_or_b64 exec, exec, s[42:43]
	flat_store_short_d16_hi v[8:9], v10 glc slc
	flat_store_short_d16_hi v[8:9], v4 offset:128 glc slc
	flat_store_short_d16_hi v[8:9], v3 offset:256 glc slc
	;; [unrolled: 1-line block ×3, first 2 shown]
.LBB4_2611:                             ;   in Loop: Header=BB4_1416 Depth=2
	s_or_b64 exec, exec, s[28:29]
	v_lshlrev_b32_e32 v0, 9, v22
	v_cmp_ne_u32_e32 vcc, v60, v0
	s_and_b64 exec, exec, vcc
	s_cbranch_execz .LBB4_2648
; %bb.2612:                             ;   in Loop: Header=BB4_1416 Depth=2
	v_lshlrev_b32_e32 v3, 6, v23
	v_sub_u32_e32 v3, v27, v3
	v_ashrrev_i32_e32 v4, 31, v3
	v_lshrrev_b32_e32 v4, 26, v4
	v_add_u32_e32 v4, v3, v4
	v_and_b32_e32 v8, 0x7fffffc0, v4
	v_sub_u32_e32 v3, v3, v8
	v_lshlrev_b32_e32 v4, 1, v4
	v_and_b32_e32 v4, 0xffffff80, v4
	v_lshlrev_b32_e32 v3, 1, v3
	v_add3_u32 v3, v4, v3, v0
	v_sub_u32_e32 v0, v60, v3
	v_cmp_lt_i32_e32 vcc, 1, v0
	s_and_b64 exec, exec, vcc
	s_cbranch_execz .LBB4_2648
; %bb.2613:                             ;   in Loop: Header=BB4_1416 Depth=2
	s_trap 2
	ds_read_b64 v[15:16], v0
	v_add_u32_e32 v8, v3, v26
	buffer_load_dword v3, off, s[0:3], s33 offset:244 ; 4-byte Folded Reload
	buffer_load_dword v4, off, s[0:3], s33 offset:248 ; 4-byte Folded Reload
	v_ashrrev_i32_e32 v13, 31, v8
	s_mov_b64 s[90:91], 0
	s_mov_b64 s[42:43], 0
                                        ; implicit-def: $sgpr88_sgpr89
	s_waitcnt vmcnt(0)
	v_add_co_u32_e32 v3, vcc, v3, v8
	v_addc_co_u32_e32 v4, vcc, v4, v13, vcc
	v_add_co_u32_e32 v11, vcc, v8, v18
	v_addc_co_u32_e32 v10, vcc, v13, v19, vcc
	s_waitcnt lgkmcnt(0)
	v_add_co_u32_e32 v9, vcc, v15, v8
	v_addc_co_u32_e32 v8, vcc, v16, v13, vcc
	s_branch .LBB4_2615
.LBB4_2614:                             ;   in Loop: Header=BB4_2615 Depth=3
	s_or_b64 exec, exec, s[28:29]
	buffer_load_dword v18, off, s[0:3], s33 offset:144 ; 4-byte Folded Reload
	buffer_load_dword v19, off, s[0:3], s33 offset:140 ; 4-byte Folded Reload
	v_lshrrev_b32_e32 v13, 16, v15
	buffer_store_short v13, off, s[0:3], s33 offset:64
	flat_store_short v[3:4], v13 glc slc
	v_add_co_u32_e32 v13, vcc, v11, v40
	v_addc_co_u32_e32 v15, vcc, v10, v41, vcc
	v_add_co_u32_e32 v16, vcc, v9, v40
	v_mov_b32_e32 v20, 0x80
	v_addc_co_u32_e32 v17, vcc, v8, v41, vcc
	v_cndmask_b32_e64 v11, v11, v13, s[90:91]
	v_lshlrev_b32_e32 v13, 7, v59
	v_cndmask_b32_e64 v13, 0, v13, s[90:91]
	v_sub_u32_e32 v0, v0, v13
	v_cndmask_b32_e64 v8, v8, v17, s[90:91]
	v_cndmask_b32_e64 v9, v9, v16, s[90:91]
	;; [unrolled: 1-line block ×3, first 2 shown]
	s_waitcnt vmcnt(0)
	v_cndmask_b32_e64 v18, 0, v18, s[90:91]
	v_cndmask_b32_e64 v19, v20, v19, s[90:91]
	v_add_co_u32_e32 v3, vcc, v3, v19
	v_addc_co_u32_e32 v4, vcc, v4, v18, vcc
	v_cmp_gt_i32_e32 vcc, 2, v0
	s_or_b64 s[42:43], vcc, s[42:43]
	s_andn2_b64 s[8:9], s[88:89], exec
	s_and_b64 s[28:29], s[90:91], exec
	s_or_b64 s[88:89], s[8:9], s[28:29]
	s_andn2_b64 exec, exec, s[42:43]
	s_cbranch_execz .LBB4_2638
.LBB4_2615:                             ;   Parent Loop BB4_47 Depth=1
                                        ;     Parent Loop BB4_1416 Depth=2
                                        ; =>    This Loop Header: Depth=3
                                        ;         Child Loop BB4_2616 Depth 4
                                        ;         Child Loop BB4_2629 Depth 4
	s_lshr_b32 s8, s33, 6
	s_add_i32 s8, s8, 64
	s_mov_b64 s[92:93], -1
	s_mov_b64 s[94:95], 0
.LBB4_2616:                             ;   Parent Loop BB4_47 Depth=1
                                        ;     Parent Loop BB4_1416 Depth=2
                                        ;       Parent Loop BB4_2615 Depth=3
                                        ; =>      This Inner Loop Header: Depth=4
	s_cmp_eq_u32 s94, 1
	s_cselect_b64 s[28:29], -1, 0
	v_cndmask_b32_e64 v16, v10, v8, s[28:29]
	v_cndmask_b32_e64 v15, v11, v9, s[28:29]
	flat_load_ushort v13, v[15:16] glc slc
	v_mov_b32_e32 v17, s8
	s_cmp_eq_u32 s94, 0
	s_mov_b64 s[94:95], 1
	s_waitcnt vmcnt(0) lgkmcnt(0)
	buffer_store_short v13, v17, s[0:3], 0 offen
	v_add_co_u32_e32 v13, vcc, 0x80, v15
	v_addc_co_u32_e32 v15, vcc, 0, v16, vcc
	s_cselect_b64 vcc, -1, 0
	s_lshr_b32 s8, s33, 6
	s_addk_i32 s8, 0x60
	v_cndmask_b32_e64 v8, v8, v15, s[28:29]
	v_cndmask_b32_e64 v9, v9, v13, s[28:29]
	v_cndmask_b32_e32 v10, v10, v15, vcc
	v_cndmask_b32_e32 v11, v11, v13, vcc
	s_and_b64 vcc, exec, s[92:93]
	s_mov_b64 s[92:93], 0
	s_cbranch_vccnz .LBB4_2616
; %bb.2617:                             ;   in Loop: Header=BB4_2615 Depth=3
	s_and_saveexec_b64 s[28:29], s[90:91]
	s_cbranch_execz .LBB4_2627
; %bb.2618:                             ;   in Loop: Header=BB4_2615 Depth=3
	s_trap 2
	buffer_load_ushort v13, off, s[0:3], s33 offset:56
	ds_read_b32 v15, v0
	s_waitcnt lgkmcnt(0)
	v_lshlrev_b32_e32 v15, 16, v15
	s_waitcnt vmcnt(0)
	v_lshlrev_b32_e32 v13, 16, v13
	v_mul_f32_e32 v15, v15, v13
	v_and_b32_e32 v13, 0x7f800000, v15
	v_cmp_ne_u32_e32 vcc, s46, v13
                                        ; implicit-def: $vgpr13
	s_and_saveexec_b64 s[8:9], vcc
	s_xor_b64 s[90:91], exec, s[8:9]
; %bb.2619:                             ;   in Loop: Header=BB4_2615 Depth=3
	v_bfe_u32 v13, v15, 16, 1
	v_add3_u32 v13, v15, v13, s47
                                        ; implicit-def: $vgpr15
; %bb.2620:                             ;   in Loop: Header=BB4_2615 Depth=3
	s_andn2_saveexec_b64 s[90:91], s[90:91]
; %bb.2621:                             ;   in Loop: Header=BB4_2615 Depth=3
	v_or_b32_e32 v13, 0x10000, v15
	v_cmp_eq_u32_sdwa vcc, v15, v2 src0_sel:WORD_0 src1_sel:DWORD
	v_cndmask_b32_e32 v13, v13, v15, vcc
; %bb.2622:                             ;   in Loop: Header=BB4_2615 Depth=3
	s_or_b64 exec, exec, s[90:91]
	buffer_load_ushort v15, off, s[0:3], s33 offset:58
	v_and_b32_e32 v13, 0xffff0000, v13
	s_waitcnt vmcnt(0)
	v_lshlrev_b32_e32 v15, 16, v15
	v_add_f32_e32 v13, v13, v15
	v_and_b32_e32 v15, 0x7f800000, v13
	v_cmp_ne_u32_e32 vcc, s46, v15
                                        ; implicit-def: $vgpr15
	s_and_saveexec_b64 s[8:9], vcc
	s_xor_b64 s[90:91], exec, s[8:9]
; %bb.2623:                             ;   in Loop: Header=BB4_2615 Depth=3
	v_bfe_u32 v15, v13, 16, 1
	v_add3_u32 v15, v13, v15, s47
                                        ; implicit-def: $vgpr13
; %bb.2624:                             ;   in Loop: Header=BB4_2615 Depth=3
	s_andn2_saveexec_b64 s[90:91], s[90:91]
; %bb.2625:                             ;   in Loop: Header=BB4_2615 Depth=3
	v_or_b32_e32 v15, 0x10000, v13
	v_cmp_eq_u32_sdwa vcc, v13, v2 src0_sel:WORD_0 src1_sel:DWORD
	v_cndmask_b32_e32 v15, v15, v13, vcc
; %bb.2626:                             ;   in Loop: Header=BB4_2615 Depth=3
	s_or_b64 exec, exec, s[90:91]
	v_lshrrev_b32_e32 v13, 16, v15
	buffer_store_short v13, off, s[0:3], s33 offset:56
	flat_store_short v[3:4], v13 glc slc
	buffer_load_dword v13, off, s[0:3], s33 offset:140 ; 4-byte Folded Reload
	s_waitcnt vmcnt(0)
	v_add_co_u32_e32 v3, vcc, v3, v13
	buffer_load_dword v13, off, s[0:3], s33 offset:144 ; 4-byte Folded Reload
	s_waitcnt vmcnt(0)
	v_addc_co_u32_e32 v4, vcc, v4, v13, vcc
.LBB4_2627:                             ;   in Loop: Header=BB4_2615 Depth=3
	s_or_b64 exec, exec, s[28:29]
	v_add_co_u32_e32 v11, vcc, v11, v40
	v_addc_co_u32_e32 v10, vcc, v10, v41, vcc
	v_lshlrev_b32_e32 v13, 7, v59
	v_add_co_u32_e32 v9, vcc, v9, v40
	v_sub_u32_e32 v0, v0, v13
	v_addc_co_u32_e32 v8, vcc, v8, v41, vcc
	v_cmp_lt_i32_e64 s[90:91], 1, v0
	s_and_saveexec_b64 s[92:93], s[90:91]
	s_cbranch_execz .LBB4_2630
; %bb.2628:                             ;   in Loop: Header=BB4_2615 Depth=3
	s_lshr_b32 s8, s33, 6
	s_add_i32 s8, s8, 56
	s_mov_b64 s[30:31], 0
	s_mov_b64 s[94:95], -1
.LBB4_2629:                             ;   Parent Loop BB4_47 Depth=1
                                        ;     Parent Loop BB4_1416 Depth=2
                                        ;       Parent Loop BB4_2615 Depth=3
                                        ; =>      This Inner Loop Header: Depth=4
	s_cmp_eq_u32 s30, 1
	s_cselect_b64 s[28:29], -1, 0
	v_cndmask_b32_e64 v16, v10, v8, s[28:29]
	v_cndmask_b32_e64 v15, v11, v9, s[28:29]
	flat_load_ushort v13, v[15:16] glc slc
	v_mov_b32_e32 v17, s8
	s_cmp_eq_u32 s30, 0
	s_mov_b64 s[30:31], 1
	s_waitcnt vmcnt(0) lgkmcnt(0)
	buffer_store_short v13, v17, s[0:3], 0 offen
	v_add_co_u32_e32 v13, vcc, 0x80, v15
	v_addc_co_u32_e32 v15, vcc, 0, v16, vcc
	s_cselect_b64 vcc, -1, 0
	s_lshr_b32 s8, s33, 6
	s_add_i32 s8, s8, 58
	v_cndmask_b32_e32 v10, v10, v15, vcc
	v_cndmask_b32_e32 v11, v11, v13, vcc
	v_cndmask_b32_e64 v8, v8, v15, s[28:29]
	v_cndmask_b32_e64 v9, v9, v13, s[28:29]
	s_and_b64 vcc, exec, s[94:95]
	s_mov_b64 s[94:95], 0
	s_cbranch_vccnz .LBB4_2629
.LBB4_2630:                             ;   in Loop: Header=BB4_2615 Depth=3
	s_or_b64 exec, exec, s[92:93]
	s_trap 2
	buffer_load_ushort v13, off, s[0:3], s33 offset:64
	ds_read_b32 v15, v0
	s_waitcnt lgkmcnt(0)
	v_lshlrev_b32_e32 v15, 16, v15
	s_waitcnt vmcnt(0)
	v_lshlrev_b32_e32 v13, 16, v13
	v_mul_f32_e32 v13, v15, v13
	v_and_b32_e32 v15, 0x7f800000, v13
	v_cmp_ne_u32_e32 vcc, s46, v15
                                        ; implicit-def: $vgpr15
	s_and_saveexec_b64 s[8:9], vcc
	s_xor_b64 s[28:29], exec, s[8:9]
; %bb.2631:                             ;   in Loop: Header=BB4_2615 Depth=3
	v_bfe_u32 v15, v13, 16, 1
	v_add3_u32 v15, v13, v15, s47
                                        ; implicit-def: $vgpr13
; %bb.2632:                             ;   in Loop: Header=BB4_2615 Depth=3
	s_andn2_saveexec_b64 s[28:29], s[28:29]
; %bb.2633:                             ;   in Loop: Header=BB4_2615 Depth=3
	v_or_b32_e32 v15, 0x10000, v13
	v_cmp_eq_u32_sdwa vcc, v13, v2 src0_sel:WORD_0 src1_sel:DWORD
	v_cndmask_b32_e32 v15, v15, v13, vcc
; %bb.2634:                             ;   in Loop: Header=BB4_2615 Depth=3
	s_or_b64 exec, exec, s[28:29]
	buffer_load_ushort v13, off, s[0:3], s33 offset:96
	v_and_b32_e32 v15, 0xffff0000, v15
	s_waitcnt vmcnt(0)
	v_lshlrev_b32_e32 v13, 16, v13
	v_add_f32_e32 v13, v15, v13
	v_and_b32_e32 v15, 0x7f800000, v13
	v_cmp_ne_u32_e32 vcc, s46, v15
                                        ; implicit-def: $vgpr15
	s_and_saveexec_b64 s[8:9], vcc
	s_xor_b64 s[28:29], exec, s[8:9]
; %bb.2635:                             ;   in Loop: Header=BB4_2615 Depth=3
	v_bfe_u32 v15, v13, 16, 1
	v_add3_u32 v15, v13, v15, s47
                                        ; implicit-def: $vgpr13
; %bb.2636:                             ;   in Loop: Header=BB4_2615 Depth=3
	s_andn2_saveexec_b64 s[28:29], s[28:29]
	s_cbranch_execz .LBB4_2614
; %bb.2637:                             ;   in Loop: Header=BB4_2615 Depth=3
	v_or_b32_e32 v15, 0x10000, v13
	v_cmp_eq_u32_sdwa vcc, v13, v2 src0_sel:WORD_0 src1_sel:DWORD
	v_cndmask_b32_e32 v15, v15, v13, vcc
	s_branch .LBB4_2614
.LBB4_2638:                             ;   in Loop: Header=BB4_1416 Depth=2
	s_or_b64 exec, exec, s[42:43]
	s_and_b64 exec, exec, s[88:89]
	s_cbranch_execz .LBB4_2648
; %bb.2639:                             ;   in Loop: Header=BB4_1416 Depth=2
	s_trap 2
	buffer_load_ushort v0, off, s[0:3], s33 offset:56
	s_waitcnt vmcnt(0)
	ds_read_b32 v8, v0
	v_lshlrev_b32_e32 v0, 16, v0
	s_waitcnt lgkmcnt(0)
	v_lshlrev_b32_e32 v8, 16, v8
	v_mul_f32_e32 v8, v8, v0
	v_and_b32_e32 v0, 0x7f800000, v8
	v_cmp_ne_u32_e32 vcc, s46, v0
                                        ; implicit-def: $vgpr0
	s_and_saveexec_b64 s[8:9], vcc
	s_xor_b64 s[28:29], exec, s[8:9]
; %bb.2640:                             ;   in Loop: Header=BB4_1416 Depth=2
	v_bfe_u32 v0, v8, 16, 1
	v_add3_u32 v0, v8, v0, s47
                                        ; implicit-def: $vgpr8
; %bb.2641:                             ;   in Loop: Header=BB4_1416 Depth=2
	s_andn2_saveexec_b64 s[28:29], s[28:29]
; %bb.2642:                             ;   in Loop: Header=BB4_1416 Depth=2
	v_or_b32_e32 v0, 0x10000, v8
	v_cmp_eq_u32_sdwa vcc, v8, v2 src0_sel:WORD_0 src1_sel:DWORD
	v_cndmask_b32_e32 v0, v0, v8, vcc
; %bb.2643:                             ;   in Loop: Header=BB4_1416 Depth=2
	s_or_b64 exec, exec, s[28:29]
	buffer_load_ushort v8, off, s[0:3], s33 offset:58
	v_and_b32_e32 v0, 0xffff0000, v0
	s_waitcnt vmcnt(0)
	v_lshlrev_b32_e32 v8, 16, v8
	v_add_f32_e32 v0, v0, v8
	v_and_b32_e32 v8, 0x7f800000, v0
	v_cmp_ne_u32_e32 vcc, s46, v8
                                        ; implicit-def: $vgpr8
	s_and_saveexec_b64 s[8:9], vcc
	s_xor_b64 s[28:29], exec, s[8:9]
; %bb.2644:                             ;   in Loop: Header=BB4_1416 Depth=2
	v_bfe_u32 v8, v0, 16, 1
	v_add3_u32 v8, v0, v8, s47
                                        ; implicit-def: $vgpr0
; %bb.2645:                             ;   in Loop: Header=BB4_1416 Depth=2
	s_andn2_saveexec_b64 s[28:29], s[28:29]
; %bb.2646:                             ;   in Loop: Header=BB4_1416 Depth=2
	v_or_b32_e32 v8, 0x10000, v0
	v_cmp_eq_u32_sdwa vcc, v0, v2 src0_sel:WORD_0 src1_sel:DWORD
	v_cndmask_b32_e32 v8, v8, v0, vcc
; %bb.2647:                             ;   in Loop: Header=BB4_1416 Depth=2
	s_or_b64 exec, exec, s[28:29]
	flat_store_short_d16_hi v[3:4], v8 glc slc
.LBB4_2648:                             ;   in Loop: Header=BB4_1416 Depth=2
	s_or_b64 exec, exec, s[40:41]
	v_cmp_lt_i32_e64 s[28:29], 0, v58
	s_and_saveexec_b64 s[40:41], s[10:11]
	s_cbranch_execz .LBB4_2667
.LBB4_2649:                             ;   in Loop: Header=BB4_1416 Depth=2
	s_and_saveexec_b64 s[8:9], s[56:57]
	s_xor_b64 s[42:43], exec, s[8:9]
	s_cbranch_execz .LBB4_2664
; %bb.2650:                             ;   in Loop: Header=BB4_1416 Depth=2
	s_and_saveexec_b64 s[88:89], s[16:17]
	s_cbranch_execz .LBB4_2663
; %bb.2651:                             ;   in Loop: Header=BB4_1416 Depth=2
	s_mov_b64 s[92:93], exec
	s_waitcnt vmcnt(0)
	v_mbcnt_lo_u32_b32 v0, s92, 0
	v_mbcnt_hi_u32_b32 v0, s93, v0
	v_cmp_eq_u32_e32 vcc, 0, v0
	s_waitcnt lgkmcnt(0)
	buffer_wbinvl1_vol
	s_and_saveexec_b64 s[90:91], vcc
	s_cbranch_execz .LBB4_2653
; %bb.2652:                             ;   in Loop: Header=BB4_1416 Depth=2
	s_bcnt1_i32_b64 s8, s[92:93]
	v_mov_b32_e32 v3, s8
	v_mov_b32_e32 v4, v2
	ds_add_u64 v0, v[3:4]
	s_trap 2
.LBB4_2653:                             ;   in Loop: Header=BB4_1416 Depth=2
	s_or_b64 exec, exec, s[90:91]
	s_trap 2
	ds_read_b64 v[3:4], v0
	s_waitcnt lgkmcnt(0)
	v_add_co_u32_e32 v36, vcc, v36, v59
	v_addc_co_u32_e32 v37, vcc, 0, v37, vcc
	v_cmp_lt_u64_e32 vcc, v[3:4], v[36:37]
	s_and_saveexec_b64 s[90:91], vcc
	s_cbranch_execz .LBB4_2662
; %bb.2654:                             ;   in Loop: Header=BB4_1416 Depth=2
	s_mov_b32 s8, 0
	s_mov_b64 s[92:93], 0
                                        ; implicit-def: $sgpr94_sgpr95
                                        ; implicit-def: $sgpr30_sgpr31
	s_branch .LBB4_2656
.LBB4_2655:                             ;   in Loop: Header=BB4_2656 Depth=3
	s_or_b64 exec, exec, s[36:37]
	s_and_b64 vcc, exec, vcc
	s_or_b64 s[92:93], vcc, s[92:93]
	s_andn2_b64 s[94:95], s[94:95], exec
	s_and_b64 vcc, s[30:31], exec
	s_or_b64 s[94:95], s[94:95], vcc
	s_andn2_b64 exec, exec, s[92:93]
	s_cbranch_execz .LBB4_2660
.LBB4_2656:                             ;   Parent Loop BB4_47 Depth=1
                                        ;     Parent Loop BB4_1416 Depth=2
                                        ; =>    This Inner Loop Header: Depth=3
	s_add_i32 s8, s8, 1
	s_cmpk_lg_i32 s8, 0x2710
	s_cselect_b64 s[34:35], -1, 0
	s_and_b64 vcc, exec, s[34:35]
	s_cbranch_vccz .LBB4_2658
; %bb.2657:                             ;   in Loop: Header=BB4_2656 Depth=3
	s_mov_b64 vcc, -1
	s_or_b64 s[30:31], s[30:31], exec
	s_and_saveexec_b64 s[36:37], s[34:35]
	s_cbranch_execz .LBB4_2655
	s_branch .LBB4_2659
.LBB4_2658:                             ;   in Loop: Header=BB4_2656 Depth=3
	s_trap 2
	ds_read_b64 v[3:4], v0
	s_andn2_b64 s[34:35], s[34:35], exec
	s_mov_b32 s8, 0
	s_waitcnt lgkmcnt(0)
	flat_load_dword v0, v[3:4] glc
	s_waitcnt vmcnt(0) lgkmcnt(0)
	buffer_wbinvl1_vol
	v_cmp_eq_u32_e32 vcc, 0, v0
	s_and_b64 vcc, vcc, exec
	s_or_b64 s[34:35], s[34:35], vcc
	s_mov_b64 vcc, -1
	s_or_b64 s[30:31], s[30:31], exec
	s_and_saveexec_b64 s[36:37], s[34:35]
	s_cbranch_execz .LBB4_2655
.LBB4_2659:                             ;   in Loop: Header=BB4_2656 Depth=3
	s_sleep 1
	s_trap 2
	ds_read_b64 v[3:4], v0
	s_waitcnt lgkmcnt(0)
	s_andn2_b64 s[30:31], s[30:31], exec
	v_cmp_ge_u64_e32 vcc, v[3:4], v[36:37]
	s_orn2_b64 vcc, vcc, exec
	s_branch .LBB4_2655
.LBB4_2660:                             ;   in Loop: Header=BB4_1416 Depth=2
	s_or_b64 exec, exec, s[92:93]
	s_and_saveexec_b64 s[8:9], s[94:95]
	s_xor_b64 s[8:9], exec, s[8:9]
	s_cbranch_execz .LBB4_2662
; %bb.2661:                             ;   in Loop: Header=BB4_1416 Depth=2
	v_mov_b32_e32 v0, 1
	ds_write_b32 v0, v0
	s_trap 2
.LBB4_2662:                             ;   in Loop: Header=BB4_1416 Depth=2
	s_or_b64 exec, exec, s[90:91]
	;;#ASMSTART
	s_wakeup
	;;#ASMEND
.LBB4_2663:                             ;   in Loop: Header=BB4_1416 Depth=2
	s_or_b64 exec, exec, s[88:89]
.LBB4_2664:                             ;   in Loop: Header=BB4_1416 Depth=2
	s_andn2_saveexec_b64 s[42:43], s[42:43]
	s_cbranch_execz .LBB4_2666
; %bb.2665:                             ;   in Loop: Header=BB4_1416 Depth=2
	s_waitcnt vmcnt(0) lgkmcnt(0)
	buffer_wbinvl1_vol
	s_barrier
.LBB4_2666:                             ;   in Loop: Header=BB4_1416 Depth=2
	s_or_b64 exec, exec, s[42:43]
.LBB4_2667:                             ;   in Loop: Header=BB4_1416 Depth=2
	s_or_b64 exec, exec, s[40:41]
	s_waitcnt vmcnt(0)
	v_and_b32_e32 v0, 16, v5
	s_and_saveexec_b64 s[8:9], s[24:25]
	s_xor_b64 s[40:41], exec, s[8:9]
	s_cbranch_execz .LBB4_2671
; %bb.2668:                             ;   in Loop: Header=BB4_1416 Depth=2
	v_and_b32_e32 v3, 16, v5
	v_cmp_ne_u32_e32 vcc, 0, v3
	v_and_b32_e32 v0, 16, v5
	s_and_b64 s[8:9], vcc, s[28:29]
	s_and_saveexec_b64 s[28:29], s[8:9]
	s_cbranch_execz .LBB4_2670
; %bb.2669:                             ;   in Loop: Header=BB4_1416 Depth=2
	v_mov_b32_e32 v0, 1
	s_waitcnt lgkmcnt(0)
	buffer_wbinvl1_vol
.LBB4_2670:                             ;   in Loop: Header=BB4_1416 Depth=2
	s_or_b64 exec, exec, s[28:29]
.LBB4_2671:                             ;   in Loop: Header=BB4_1416 Depth=2
	s_andn2_saveexec_b64 s[28:29], s[40:41]
	s_cbranch_execz .LBB4_2690
; %bb.2672:                             ;   in Loop: Header=BB4_1416 Depth=2
	s_and_saveexec_b64 s[8:9], s[56:57]
	s_xor_b64 s[40:41], exec, s[8:9]
	s_cbranch_execz .LBB4_2687
; %bb.2673:                             ;   in Loop: Header=BB4_1416 Depth=2
	s_and_saveexec_b64 s[42:43], s[16:17]
	s_cbranch_execz .LBB4_2686
; %bb.2674:                             ;   in Loop: Header=BB4_1416 Depth=2
	s_mov_b64 s[90:91], exec
	v_mbcnt_lo_u32_b32 v3, s90, 0
	v_mbcnt_hi_u32_b32 v3, s91, v3
	v_cmp_eq_u32_e32 vcc, 0, v3
	;;#ASMSTART
	s_waitcnt lgkmcnt(0) vmcnt(0)
	;;#ASMEND
	s_and_saveexec_b64 s[88:89], vcc
	s_cbranch_execz .LBB4_2676
; %bb.2675:                             ;   in Loop: Header=BB4_1416 Depth=2
	s_bcnt1_i32_b64 s8, s[90:91]
	v_mov_b32_e32 v3, s8
	v_mov_b32_e32 v4, v2
	s_waitcnt lgkmcnt(0)
	ds_add_u64 v0, v[3:4]
	s_trap 2
.LBB4_2676:                             ;   in Loop: Header=BB4_1416 Depth=2
	s_or_b64 exec, exec, s[88:89]
	s_trap 2
	ds_read_b64 v[3:4], v0
	s_waitcnt lgkmcnt(0)
	v_add_co_u32_e32 v36, vcc, v36, v59
	v_addc_co_u32_e32 v37, vcc, 0, v37, vcc
	v_cmp_lt_u64_e32 vcc, v[3:4], v[36:37]
	s_and_saveexec_b64 s[88:89], vcc
	s_cbranch_execz .LBB4_2685
; %bb.2677:                             ;   in Loop: Header=BB4_1416 Depth=2
	s_mov_b32 s8, 0
	s_mov_b64 s[90:91], 0
                                        ; implicit-def: $sgpr92_sgpr93
                                        ; implicit-def: $sgpr94_sgpr95
	s_branch .LBB4_2679
.LBB4_2678:                             ;   in Loop: Header=BB4_2679 Depth=3
	s_or_b64 exec, exec, s[34:35]
	s_and_b64 vcc, exec, vcc
	s_or_b64 s[90:91], vcc, s[90:91]
	s_andn2_b64 s[92:93], s[92:93], exec
	s_and_b64 vcc, s[94:95], exec
	s_or_b64 s[92:93], s[92:93], vcc
	s_andn2_b64 exec, exec, s[90:91]
	s_cbranch_execz .LBB4_2683
.LBB4_2679:                             ;   Parent Loop BB4_47 Depth=1
                                        ;     Parent Loop BB4_1416 Depth=2
                                        ; =>    This Inner Loop Header: Depth=3
	s_add_i32 s8, s8, 1
	s_cmpk_lg_i32 s8, 0x2710
	s_cselect_b64 s[30:31], -1, 0
	s_and_b64 vcc, exec, s[30:31]
	s_cbranch_vccz .LBB4_2681
; %bb.2680:                             ;   in Loop: Header=BB4_2679 Depth=3
	s_mov_b64 vcc, -1
	s_or_b64 s[94:95], s[94:95], exec
	s_and_saveexec_b64 s[34:35], s[30:31]
	s_cbranch_execz .LBB4_2678
	s_branch .LBB4_2682
.LBB4_2681:                             ;   in Loop: Header=BB4_2679 Depth=3
	s_trap 2
	ds_read_b64 v[3:4], v0
	s_andn2_b64 s[30:31], s[30:31], exec
	s_mov_b32 s8, 0
	s_waitcnt lgkmcnt(0)
	flat_load_dword v3, v[3:4] glc
	s_waitcnt vmcnt(0) lgkmcnt(0)
	buffer_wbinvl1_vol
	v_cmp_eq_u32_e32 vcc, 0, v3
	s_and_b64 vcc, vcc, exec
	s_or_b64 s[30:31], s[30:31], vcc
	s_mov_b64 vcc, -1
	s_or_b64 s[94:95], s[94:95], exec
	s_and_saveexec_b64 s[34:35], s[30:31]
	s_cbranch_execz .LBB4_2678
.LBB4_2682:                             ;   in Loop: Header=BB4_2679 Depth=3
	s_sleep 1
	s_trap 2
	ds_read_b64 v[3:4], v0
	s_waitcnt lgkmcnt(0)
	s_andn2_b64 s[94:95], s[94:95], exec
	v_cmp_ge_u64_e32 vcc, v[3:4], v[36:37]
	s_orn2_b64 vcc, vcc, exec
	s_branch .LBB4_2678
.LBB4_2683:                             ;   in Loop: Header=BB4_1416 Depth=2
	s_or_b64 exec, exec, s[90:91]
	s_and_saveexec_b64 s[8:9], s[92:93]
	s_xor_b64 s[8:9], exec, s[8:9]
	s_cbranch_execz .LBB4_2685
; %bb.2684:                             ;   in Loop: Header=BB4_1416 Depth=2
	v_mov_b32_e32 v3, 1
	ds_write_b32 v0, v3
	s_trap 2
.LBB4_2685:                             ;   in Loop: Header=BB4_1416 Depth=2
	s_or_b64 exec, exec, s[88:89]
	;;#ASMSTART
	s_wakeup
	;;#ASMEND
.LBB4_2686:                             ;   in Loop: Header=BB4_1416 Depth=2
	s_or_b64 exec, exec, s[42:43]
.LBB4_2687:                             ;   in Loop: Header=BB4_1416 Depth=2
	s_andn2_saveexec_b64 s[40:41], s[40:41]
	s_cbranch_execz .LBB4_2689
; %bb.2688:                             ;   in Loop: Header=BB4_1416 Depth=2
	;;#ASMSTART
	s_waitcnt lgkmcnt(0) vmcnt(0)
	;;#ASMEND
	s_waitcnt lgkmcnt(0)
	s_barrier
.LBB4_2689:                             ;   in Loop: Header=BB4_1416 Depth=2
	s_or_b64 exec, exec, s[40:41]
.LBB4_2690:                             ;   in Loop: Header=BB4_1416 Depth=2
	s_or_b64 exec, exec, s[28:29]
	v_cmp_ne_u32_e32 vcc, 0, v0
	s_xor_b64 s[8:9], s[12:13], -1
	s_and_b64 s[8:9], vcc, s[8:9]
	s_and_saveexec_b64 s[28:29], s[8:9]
	s_cbranch_execz .LBB4_2692
; %bb.2691:                             ;   in Loop: Header=BB4_1416 Depth=2
	buffer_load_dword v3, off, s[0:3], s33 offset:176 ; 4-byte Folded Reload
	buffer_load_dword v4, off, s[0:3], s33 offset:180 ; 4-byte Folded Reload
	v_mov_b32_e32 v0, 1
	s_waitcnt vmcnt(0)
	flat_store_dword v[3:4], v0
.LBB4_2692:                             ;   in Loop: Header=BB4_1416 Depth=2
	s_or_b64 exec, exec, s[28:29]
	v_and_b32_e32 v0, 48, v5
	v_cmp_ne_u32_e32 vcc, 0, v0
	s_and_saveexec_b64 s[28:29], vcc
	s_cbranch_execz .LBB4_1415
; %bb.2693:                             ;   in Loop: Header=BB4_1416 Depth=2
	v_add_co_u32_e32 v6, vcc, 2, v6
	v_addc_co_u32_e32 v7, vcc, 0, v7, vcc
	flat_store_dwordx2 v[32:33], v[6:7]
	s_branch .LBB4_1415
.LBB4_2694:                             ;   in Loop: Header=BB4_47 Depth=1
	s_or_b64 exec, exec, s[74:75]
	v_cmp_gt_i32_e32 vcc, 2, v0
	s_and_saveexec_b64 s[40:41], vcc
	s_cbranch_execz .LBB4_2770
.LBB4_2695:                             ;   in Loop: Header=BB4_47 Depth=1
	v_cmp_eq_u32_e64 s[74:75], 0, v0
	s_mov_b64 s[42:43], 0
	s_branch .LBB4_2697
.LBB4_2696:                             ;   in Loop: Header=BB4_2697 Depth=2
	s_or_b64 exec, exec, s[28:29]
	v_add_u32_e32 v14, v12, v14
	s_mov_b64 s[74:75], 0
	s_andn2_b64 exec, exec, s[42:43]
	s_cbranch_execz .LBB4_2771
.LBB4_2697:                             ;   Parent Loop BB4_47 Depth=1
                                        ; =>  This Loop Header: Depth=2
                                        ;       Child Loop BB4_2703 Depth 3
                                        ;       Child Loop BB4_2731 Depth 3
	;; [unrolled: 1-line block ×3, first 2 shown]
	v_sub_u32_e32 v0, v43, v14
	v_min_i32_e32 v12, v12, v0
	v_and_b32_e32 v0, 12, v5
	v_cmp_ne_u32_e32 vcc, 0, v0
	s_and_saveexec_b64 s[76:77], vcc
	s_cbranch_execz .LBB4_2723
; %bb.2698:                             ;   in Loop: Header=BB4_2697 Depth=2
	v_and_b32_e32 v0, 8, v5
	s_waitcnt lgkmcnt(0)
	v_add_co_u32_e32 v8, vcc, v38, v0
	v_addc_co_u32_e32 v9, vcc, 0, v39, vcc
	v_add_co_u32_e32 v3, vcc, 2, v6
	v_addc_co_u32_e32 v4, vcc, 0, v7, vcc
	v_cmp_lt_u64_e32 vcc, v[8:9], v[3:4]
	s_and_saveexec_b64 s[78:79], vcc
	s_cbranch_execz .LBB4_2710
; %bb.2699:                             ;   in Loop: Header=BB4_2697 Depth=2
	v_and_b32_e32 v7, 64, v5
	s_mov_b32 s9, 0
	v_cmp_eq_u32_e32 vcc, 0, v7
	s_mov_b64 s[88:89], 0
                                        ; implicit-def: $sgpr90_sgpr91
                                        ; implicit-def: $sgpr92_sgpr93
                                        ; implicit-def: $sgpr94_sgpr95
	s_branch .LBB4_2703
.LBB4_2700:                             ;   in Loop: Header=BB4_2703 Depth=3
	s_waitcnt vmcnt(0) lgkmcnt(0)
	v_add_co_u32_e64 v9, s[28:29], v38, v0
	v_addc_co_u32_e64 v10, s[28:29], 0, v39, s[28:29]
	v_cmp_ge_u64_e64 s[28:29], v[9:10], v[3:4]
	s_or_b64 s[36:37], s[36:37], exec
	s_orn2_b64 s[34:35], s[28:29], exec
.LBB4_2701:                             ;   in Loop: Header=BB4_2703 Depth=3
	s_or_b64 exec, exec, s[48:49]
	s_andn2_b64 s[28:29], s[94:95], exec
	s_and_b64 s[94:95], s[36:37], exec
	s_or_b64 s[94:95], s[28:29], s[94:95]
	s_andn2_b64 s[28:29], s[92:93], exec
	s_and_b64 s[92:93], s[34:35], exec
	s_or_b64 s[92:93], s[28:29], s[92:93]
.LBB4_2702:                             ;   in Loop: Header=BB4_2703 Depth=3
	s_or_b64 exec, exec, s[30:31]
	s_and_b64 s[28:29], exec, s[92:93]
	s_or_b64 s[88:89], s[28:29], s[88:89]
	s_andn2_b64 s[28:29], s[90:91], exec
	s_and_b64 s[90:91], s[94:95], exec
	s_or_b64 s[90:91], s[28:29], s[90:91]
	s_andn2_b64 exec, exec, s[88:89]
	s_cbranch_execz .LBB4_2707
.LBB4_2703:                             ;   Parent Loop BB4_47 Depth=1
                                        ;     Parent Loop BB4_2697 Depth=2
                                        ; =>    This Inner Loop Header: Depth=3
	s_sleep 1
	s_waitcnt vmcnt(0) lgkmcnt(0)
	flat_load_dwordx2 v[38:39], v[32:33] glc
	s_or_b64 s[94:95], s[94:95], exec
	s_or_b64 s[92:93], s[92:93], exec
                                        ; implicit-def: $vgpr8
	s_and_saveexec_b64 s[30:31], vcc
	s_cbranch_execz .LBB4_2702
; %bb.2704:                             ;   in Loop: Header=BB4_2703 Depth=3
	s_cmpk_lt_i32 s9, 0x270f
	s_cselect_b64 s[38:39], -1, 0
	s_cmpk_gt_i32 s9, 0x270e
	s_mov_b64 s[34:35], -1
	s_cbranch_scc0 .LBB4_2706
; %bb.2705:                             ;   in Loop: Header=BB4_2703 Depth=3
	s_trap 2
	ds_read_b64 v[7:8], v0
	s_andn2_b64 s[38:39], s[38:39], exec
	s_mov_b32 s9, 0
	s_mov_b64 s[36:37], 0
	s_waitcnt vmcnt(0) lgkmcnt(0)
	flat_load_dword v8, v[7:8] glc
	s_waitcnt vmcnt(0) lgkmcnt(0)
	buffer_wbinvl1_vol
	v_cmp_eq_u32_e64 s[28:29], 0, v8
	s_and_b64 s[28:29], s[28:29], exec
	s_or_b64 s[38:39], s[38:39], s[28:29]
	s_and_saveexec_b64 s[48:49], s[38:39]
	s_cbranch_execz .LBB4_2701
	s_branch .LBB4_2700
.LBB4_2706:                             ;   in Loop: Header=BB4_2703 Depth=3
	s_add_i32 s9, s9, 1
	s_mov_b64 s[36:37], -1
                                        ; implicit-def: $vgpr8
	s_and_saveexec_b64 s[48:49], s[38:39]
	s_cbranch_execz .LBB4_2701
	s_branch .LBB4_2700
.LBB4_2707:                             ;   in Loop: Header=BB4_2697 Depth=2
	s_or_b64 exec, exec, s[88:89]
	s_xor_b64 s[8:9], s[90:91], -1
	s_and_saveexec_b64 s[28:29], s[8:9]
	s_xor_b64 s[28:29], exec, s[28:29]
	s_cbranch_execz .LBB4_2709
; %bb.2708:                             ;   in Loop: Header=BB4_2697 Depth=2
	v_or_b32_e32 v5, 64, v5
	s_waitcnt lgkmcnt(0)
	ds_write_b32 v0, v8
	s_trap 2
.LBB4_2709:                             ;   in Loop: Header=BB4_2697 Depth=2
	s_or_b64 exec, exec, s[28:29]
.LBB4_2710:                             ;   in Loop: Header=BB4_2697 Depth=2
	s_or_b64 exec, exec, s[78:79]
	v_and_b32_e32 v7, 0x108, v5
	v_cmp_ne_u32_e32 vcc, s45, v7
	;;#ASMSTART
	s_wakeup
	;;#ASMEND
                                        ; implicit-def: $vgpr8_vgpr9
	s_and_saveexec_b64 s[8:9], vcc
	s_xor_b64 s[28:29], exec, s[8:9]
; %bb.2711:                             ;   in Loop: Header=BB4_2697 Depth=2
	v_and_b32_e32 v8, 7, v6
	v_mov_b32_e32 v9, v2
                                        ; implicit-def: $vgpr6_vgpr7
; %bb.2712:                             ;   in Loop: Header=BB4_2697 Depth=2
	s_andn2_saveexec_b64 s[28:29], s[28:29]
	s_cbranch_execz .LBB4_2714
; %bb.2713:                             ;   in Loop: Header=BB4_2697 Depth=2
	buffer_load_dword v15, off, s[0:3], s33 offset:160 ; 4-byte Folded Reload
	buffer_load_dword v16, off, s[0:3], s33 offset:164 ; 4-byte Folded Reload
	;; [unrolled: 1-line block ×4, first 2 shown]
	v_and_b32_e32 v8, 7, v6
	v_ashrrev_i32_e32 v13, 31, v12
	v_lshlrev_b64 v[10:11], 1, v[12:13]
	v_mov_b32_e32 v9, v2
	s_waitcnt vmcnt(0)
	v_mad_u64_u32 v[6:7], s[8:9], v8, 24, v[15:16]
	flat_store_dwordx2 v[6:7], v[10:11] offset:8
.LBB4_2714:                             ;   in Loop: Header=BB4_2697 Depth=2
	s_or_b64 exec, exec, s[28:29]
	v_and_b32_e32 v6, 0x100, v5
	v_cmp_ne_u32_e32 vcc, 0, v6
	s_mov_b64 s[28:29], -1
                                        ; implicit-def: $vgpr10_vgpr11
	s_and_saveexec_b64 s[78:79], vcc
	s_cbranch_execz .LBB4_2718
; %bb.2715:                             ;   in Loop: Header=BB4_2697 Depth=2
	buffer_load_dword v15, off, s[0:3], s33 offset:160 ; 4-byte Folded Reload
	buffer_load_dword v16, off, s[0:3], s33 offset:164 ; 4-byte Folded Reload
	;; [unrolled: 1-line block ×4, first 2 shown]
                                        ; implicit-def: $vgpr10_vgpr11
	s_waitcnt vmcnt(0)
	v_mad_u64_u32 v[15:16], s[8:9], v8, 24, v[15:16]
	v_mov_b32_e32 v6, v16
	v_mad_u64_u32 v[6:7], s[8:9], v9, 24, v[6:7]
	v_mov_b32_e32 v16, v6
	flat_load_dword v6, v[15:16]
	s_waitcnt vmcnt(0) lgkmcnt(0)
	v_cmp_ne_u32_e32 vcc, 1, v6
	v_cmp_eq_u32_e64 s[28:29], 1, v6
	s_and_saveexec_b64 s[88:89], s[28:29]
	s_cbranch_execz .LBB4_2717
; %bb.2716:                             ;   in Loop: Header=BB4_2697 Depth=2
	flat_load_dword v6, v[15:16] offset:4 glc
	s_waitcnt vmcnt(0) lgkmcnt(0)
	v_ashrrev_i32_e32 v7, 31, v6
	v_lshrrev_b64 v[10:11], 1, v[6:7]
.LBB4_2717:                             ;   in Loop: Header=BB4_2697 Depth=2
	s_or_b64 exec, exec, s[88:89]
	s_orn2_b64 s[28:29], vcc, exec
.LBB4_2718:                             ;   in Loop: Header=BB4_2697 Depth=2
	s_or_b64 exec, exec, s[78:79]
	s_and_saveexec_b64 s[78:79], s[28:29]
	s_cbranch_execz .LBB4_2720
; %bb.2719:                             ;   in Loop: Header=BB4_2697 Depth=2
	buffer_load_dword v10, off, s[0:3], s33 offset:184 ; 4-byte Folded Reload
	buffer_load_dword v7, off, s[0:3], s33 offset:196 ; 4-byte Folded Reload
	s_waitcnt vmcnt(0)
	v_mul_lo_u32 v6, v9, v10
	v_mul_lo_u32 v7, v8, v7
	v_mad_u64_u32 v[10:11], s[8:9], v8, v10, 0
	v_add3_u32 v11, v11, v7, v6
.LBB4_2720:                             ;   in Loop: Header=BB4_2697 Depth=2
	s_or_b64 exec, exec, s[78:79]
	buffer_load_dword v8, off, s[0:3], s33 offset:152 ; 4-byte Folded Reload
	buffer_load_dword v9, off, s[0:3], s33 offset:156 ; 4-byte Folded Reload
	v_cmp_eq_u32_e32 vcc, 0, v0
	v_mov_b32_e32 v0, 0x90
	v_mov_b32_e32 v6, 0xd0
	v_cndmask_b32_e32 v0, v6, v0, vcc
	v_lshlrev_b64 v[6:7], 1, v[10:11]
	v_add_u32_e32 v0, v0, v0
	s_waitcnt vmcnt(0)
	v_add_co_u32_e32 v6, vcc, v8, v6
	v_addc_co_u32_e32 v7, vcc, v9, v7, vcc
	ds_write_b64 v0, v[6:7] offset:584
	v_and_b32_e32 v0, 0x2000, v5
	v_cmp_ne_u32_e32 vcc, 0, v0
	s_and_saveexec_b64 s[28:29], vcc
	s_cbranch_execz .LBB4_2722
; %bb.2721:                             ;   in Loop: Header=BB4_2697 Depth=2
	ds_read_b64 v[6:7], v0 offset:872
	s_waitcnt lgkmcnt(0)
	v_add_co_u32_e32 v6, vcc, 1, v6
	v_addc_co_u32_e32 v7, vcc, 0, v7, vcc
	ds_write_b64 v0, v[6:7] offset:872
.LBB4_2722:                             ;   in Loop: Header=BB4_2697 Depth=2
	s_or_b64 exec, exec, s[28:29]
	v_mov_b32_e32 v7, v4
	v_mov_b32_e32 v6, v3
.LBB4_2723:                             ;   in Loop: Header=BB4_2697 Depth=2
	s_or_b64 exec, exec, s[76:77]
	s_xor_b64 s[8:9], s[74:75], -1
	s_and_b64 s[8:9], exec, s[8:9]
	s_or_b64 s[42:43], s[8:9], s[42:43]
	s_and_saveexec_b64 s[28:29], s[10:11]
	s_cbranch_execz .LBB4_2742
; %bb.2724:                             ;   in Loop: Header=BB4_2697 Depth=2
	s_and_saveexec_b64 s[8:9], s[56:57]
	s_xor_b64 s[74:75], exec, s[8:9]
	s_cbranch_execz .LBB4_2739
; %bb.2725:                             ;   in Loop: Header=BB4_2697 Depth=2
	s_and_saveexec_b64 s[76:77], s[16:17]
	s_cbranch_execz .LBB4_2738
; %bb.2726:                             ;   in Loop: Header=BB4_2697 Depth=2
	s_mov_b64 s[88:89], exec
	v_mbcnt_lo_u32_b32 v0, s88, 0
	v_mbcnt_hi_u32_b32 v0, s89, v0
	v_cmp_eq_u32_e32 vcc, 0, v0
	s_waitcnt vmcnt(0) lgkmcnt(0)
	buffer_wbinvl1_vol
	s_and_saveexec_b64 s[78:79], vcc
	s_cbranch_execz .LBB4_2728
; %bb.2727:                             ;   in Loop: Header=BB4_2697 Depth=2
	s_bcnt1_i32_b64 s8, s[88:89]
	v_mov_b32_e32 v3, s8
	v_mov_b32_e32 v4, v2
	ds_add_u64 v0, v[3:4]
	s_trap 2
.LBB4_2728:                             ;   in Loop: Header=BB4_2697 Depth=2
	s_or_b64 exec, exec, s[78:79]
	s_trap 2
	ds_read_b64 v[3:4], v0
	s_waitcnt lgkmcnt(0)
	v_add_co_u32_e32 v36, vcc, v36, v59
	v_addc_co_u32_e32 v37, vcc, 0, v37, vcc
	v_cmp_lt_u64_e32 vcc, v[3:4], v[36:37]
	s_and_saveexec_b64 s[78:79], vcc
	s_cbranch_execz .LBB4_2737
; %bb.2729:                             ;   in Loop: Header=BB4_2697 Depth=2
	s_mov_b32 s8, 0
	s_mov_b64 s[88:89], 0
                                        ; implicit-def: $sgpr90_sgpr91
                                        ; implicit-def: $sgpr92_sgpr93
	s_branch .LBB4_2731
.LBB4_2730:                             ;   in Loop: Header=BB4_2731 Depth=3
	s_or_b64 exec, exec, s[30:31]
	s_and_b64 s[94:95], exec, vcc
	s_or_b64 s[88:89], s[94:95], s[88:89]
	s_andn2_b64 s[90:91], s[90:91], exec
	s_and_b64 s[94:95], s[92:93], exec
	s_or_b64 s[90:91], s[90:91], s[94:95]
	s_andn2_b64 exec, exec, s[88:89]
	s_cbranch_execz .LBB4_2735
.LBB4_2731:                             ;   Parent Loop BB4_47 Depth=1
                                        ;     Parent Loop BB4_2697 Depth=2
                                        ; =>    This Inner Loop Header: Depth=3
	s_add_i32 s8, s8, 1
	s_cmpk_lg_i32 s8, 0x2710
	s_cselect_b64 s[94:95], -1, 0
	s_and_b64 vcc, exec, s[94:95]
	s_cbranch_vccz .LBB4_2733
; %bb.2732:                             ;   in Loop: Header=BB4_2731 Depth=3
	s_mov_b64 vcc, -1
	s_or_b64 s[92:93], s[92:93], exec
	s_and_saveexec_b64 s[30:31], s[94:95]
	s_cbranch_execz .LBB4_2730
	s_branch .LBB4_2734
.LBB4_2733:                             ;   in Loop: Header=BB4_2731 Depth=3
	s_trap 2
	ds_read_b64 v[3:4], v0
	s_andn2_b64 s[94:95], s[94:95], exec
	s_mov_b32 s8, 0
	s_waitcnt lgkmcnt(0)
	flat_load_dword v0, v[3:4] glc
	s_waitcnt vmcnt(0) lgkmcnt(0)
	buffer_wbinvl1_vol
	v_cmp_eq_u32_e32 vcc, 0, v0
	s_and_b64 vcc, vcc, exec
	s_or_b64 s[94:95], s[94:95], vcc
	s_mov_b64 vcc, -1
	s_or_b64 s[92:93], s[92:93], exec
	s_and_saveexec_b64 s[30:31], s[94:95]
	s_cbranch_execz .LBB4_2730
.LBB4_2734:                             ;   in Loop: Header=BB4_2731 Depth=3
	s_sleep 1
	s_trap 2
	ds_read_b64 v[3:4], v0
	s_waitcnt lgkmcnt(0)
	s_andn2_b64 s[92:93], s[92:93], exec
	v_cmp_ge_u64_e32 vcc, v[3:4], v[36:37]
	s_orn2_b64 vcc, vcc, exec
	s_branch .LBB4_2730
.LBB4_2735:                             ;   in Loop: Header=BB4_2697 Depth=2
	s_or_b64 exec, exec, s[88:89]
	s_and_saveexec_b64 s[8:9], s[90:91]
	s_xor_b64 s[8:9], exec, s[8:9]
	s_cbranch_execz .LBB4_2737
; %bb.2736:                             ;   in Loop: Header=BB4_2697 Depth=2
	v_mov_b32_e32 v0, 1
	ds_write_b32 v0, v0
	s_trap 2
.LBB4_2737:                             ;   in Loop: Header=BB4_2697 Depth=2
	s_or_b64 exec, exec, s[78:79]
	;;#ASMSTART
	s_wakeup
	;;#ASMEND
.LBB4_2738:                             ;   in Loop: Header=BB4_2697 Depth=2
	s_or_b64 exec, exec, s[76:77]
.LBB4_2739:                             ;   in Loop: Header=BB4_2697 Depth=2
	s_andn2_saveexec_b64 s[74:75], s[74:75]
	s_cbranch_execz .LBB4_2741
; %bb.2740:                             ;   in Loop: Header=BB4_2697 Depth=2
	s_waitcnt vmcnt(0) lgkmcnt(0)
	buffer_wbinvl1_vol
	s_barrier
.LBB4_2741:                             ;   in Loop: Header=BB4_2697 Depth=2
	s_or_b64 exec, exec, s[74:75]
.LBB4_2742:                             ;   in Loop: Header=BB4_2697 Depth=2
	s_or_b64 exec, exec, s[28:29]
	v_and_b32_e32 v0, 16, v5
	s_and_saveexec_b64 s[8:9], s[24:25]
	s_xor_b64 s[28:29], exec, s[8:9]
	s_cbranch_execz .LBB4_2746
; %bb.2743:                             ;   in Loop: Header=BB4_2697 Depth=2
	s_trap 2
	ds_read_b32 v0, v0
	v_cmp_lt_i32_e32 vcc, 0, v12
	v_and_b32_e32 v3, 16, v5
	s_waitcnt lgkmcnt(0)
	v_readfirstlane_b32 s8, v0
	s_cmp_eq_u32 s8, 0
	s_cselect_b64 s[8:9], -1, 0
	s_and_b64 s[8:9], vcc, s[8:9]
	v_cmp_ne_u32_e32 vcc, 0, v3
	v_and_b32_e32 v0, 16, v5
	s_and_b64 s[8:9], vcc, s[8:9]
	s_and_saveexec_b64 s[74:75], s[8:9]
	s_cbranch_execz .LBB4_2745
; %bb.2744:                             ;   in Loop: Header=BB4_2697 Depth=2
	v_mov_b32_e32 v0, 1
	s_waitcnt vmcnt(0)
	buffer_wbinvl1_vol
.LBB4_2745:                             ;   in Loop: Header=BB4_2697 Depth=2
	s_or_b64 exec, exec, s[74:75]
.LBB4_2746:                             ;   in Loop: Header=BB4_2697 Depth=2
	s_andn2_saveexec_b64 s[28:29], s[28:29]
	s_cbranch_execz .LBB4_2765
; %bb.2747:                             ;   in Loop: Header=BB4_2697 Depth=2
	s_and_saveexec_b64 s[8:9], s[56:57]
	s_xor_b64 s[74:75], exec, s[8:9]
	s_cbranch_execz .LBB4_2762
; %bb.2748:                             ;   in Loop: Header=BB4_2697 Depth=2
	s_and_saveexec_b64 s[76:77], s[16:17]
	s_cbranch_execz .LBB4_2761
; %bb.2749:                             ;   in Loop: Header=BB4_2697 Depth=2
	s_mov_b64 s[88:89], exec
	v_mbcnt_lo_u32_b32 v3, s88, 0
	v_mbcnt_hi_u32_b32 v3, s89, v3
	v_cmp_eq_u32_e32 vcc, 0, v3
	;;#ASMSTART
	s_waitcnt lgkmcnt(0) vmcnt(0)
	;;#ASMEND
	s_and_saveexec_b64 s[78:79], vcc
	s_cbranch_execz .LBB4_2751
; %bb.2750:                             ;   in Loop: Header=BB4_2697 Depth=2
	s_bcnt1_i32_b64 s8, s[88:89]
	v_mov_b32_e32 v3, s8
	v_mov_b32_e32 v4, v2
	s_waitcnt lgkmcnt(0)
	ds_add_u64 v0, v[3:4]
	s_trap 2
.LBB4_2751:                             ;   in Loop: Header=BB4_2697 Depth=2
	s_or_b64 exec, exec, s[78:79]
	s_trap 2
	ds_read_b64 v[3:4], v0
	s_waitcnt lgkmcnt(0)
	v_add_co_u32_e32 v36, vcc, v36, v59
	v_addc_co_u32_e32 v37, vcc, 0, v37, vcc
	v_cmp_lt_u64_e32 vcc, v[3:4], v[36:37]
	s_and_saveexec_b64 s[78:79], vcc
	s_cbranch_execz .LBB4_2760
; %bb.2752:                             ;   in Loop: Header=BB4_2697 Depth=2
	s_mov_b32 s8, 0
	s_mov_b64 s[88:89], 0
                                        ; implicit-def: $sgpr90_sgpr91
                                        ; implicit-def: $sgpr92_sgpr93
	s_branch .LBB4_2754
.LBB4_2753:                             ;   in Loop: Header=BB4_2754 Depth=3
	s_or_b64 exec, exec, s[30:31]
	s_and_b64 s[94:95], exec, vcc
	s_or_b64 s[88:89], s[94:95], s[88:89]
	s_andn2_b64 s[90:91], s[90:91], exec
	s_and_b64 s[94:95], s[92:93], exec
	s_or_b64 s[90:91], s[90:91], s[94:95]
	s_andn2_b64 exec, exec, s[88:89]
	s_cbranch_execz .LBB4_2758
.LBB4_2754:                             ;   Parent Loop BB4_47 Depth=1
                                        ;     Parent Loop BB4_2697 Depth=2
                                        ; =>    This Inner Loop Header: Depth=3
	s_add_i32 s8, s8, 1
	s_cmpk_lg_i32 s8, 0x2710
	s_cselect_b64 s[94:95], -1, 0
	s_and_b64 vcc, exec, s[94:95]
	s_cbranch_vccz .LBB4_2756
; %bb.2755:                             ;   in Loop: Header=BB4_2754 Depth=3
	s_mov_b64 vcc, -1
	s_or_b64 s[92:93], s[92:93], exec
	s_and_saveexec_b64 s[30:31], s[94:95]
	s_cbranch_execz .LBB4_2753
	s_branch .LBB4_2757
.LBB4_2756:                             ;   in Loop: Header=BB4_2754 Depth=3
	s_trap 2
	ds_read_b64 v[3:4], v0
	s_andn2_b64 s[94:95], s[94:95], exec
	s_mov_b32 s8, 0
	s_waitcnt vmcnt(0) lgkmcnt(0)
	flat_load_dword v3, v[3:4] glc
	s_waitcnt vmcnt(0) lgkmcnt(0)
	buffer_wbinvl1_vol
	v_cmp_eq_u32_e32 vcc, 0, v3
	s_and_b64 vcc, vcc, exec
	s_or_b64 s[94:95], s[94:95], vcc
	s_mov_b64 vcc, -1
	s_or_b64 s[92:93], s[92:93], exec
	s_and_saveexec_b64 s[30:31], s[94:95]
	s_cbranch_execz .LBB4_2753
.LBB4_2757:                             ;   in Loop: Header=BB4_2754 Depth=3
	s_sleep 1
	s_trap 2
	ds_read_b64 v[3:4], v0
	s_waitcnt lgkmcnt(0)
	s_andn2_b64 s[92:93], s[92:93], exec
	v_cmp_ge_u64_e32 vcc, v[3:4], v[36:37]
	s_orn2_b64 vcc, vcc, exec
	s_branch .LBB4_2753
.LBB4_2758:                             ;   in Loop: Header=BB4_2697 Depth=2
	s_or_b64 exec, exec, s[88:89]
	s_and_saveexec_b64 s[8:9], s[90:91]
	s_xor_b64 s[8:9], exec, s[8:9]
	s_cbranch_execz .LBB4_2760
; %bb.2759:                             ;   in Loop: Header=BB4_2697 Depth=2
	v_mov_b32_e32 v3, 1
	ds_write_b32 v0, v3
	s_trap 2
.LBB4_2760:                             ;   in Loop: Header=BB4_2697 Depth=2
	s_or_b64 exec, exec, s[78:79]
	;;#ASMSTART
	s_wakeup
	;;#ASMEND
.LBB4_2761:                             ;   in Loop: Header=BB4_2697 Depth=2
	s_or_b64 exec, exec, s[76:77]
.LBB4_2762:                             ;   in Loop: Header=BB4_2697 Depth=2
	s_andn2_saveexec_b64 s[74:75], s[74:75]
	s_cbranch_execz .LBB4_2764
; %bb.2763:                             ;   in Loop: Header=BB4_2697 Depth=2
	;;#ASMSTART
	s_waitcnt lgkmcnt(0) vmcnt(0)
	;;#ASMEND
	s_waitcnt vmcnt(0) lgkmcnt(0)
	s_barrier
.LBB4_2764:                             ;   in Loop: Header=BB4_2697 Depth=2
	s_or_b64 exec, exec, s[74:75]
.LBB4_2765:                             ;   in Loop: Header=BB4_2697 Depth=2
	s_or_b64 exec, exec, s[28:29]
	v_cmp_ne_u32_e32 vcc, 0, v0
	s_xor_b64 s[8:9], s[12:13], -1
	s_and_b64 s[8:9], vcc, s[8:9]
	s_and_saveexec_b64 s[28:29], s[8:9]
	s_cbranch_execz .LBB4_2767
; %bb.2766:                             ;   in Loop: Header=BB4_2697 Depth=2
	buffer_load_dword v3, off, s[0:3], s33 offset:176 ; 4-byte Folded Reload
	buffer_load_dword v4, off, s[0:3], s33 offset:180 ; 4-byte Folded Reload
	v_mov_b32_e32 v0, 1
	s_waitcnt vmcnt(0)
	flat_store_dword v[3:4], v0
.LBB4_2767:                             ;   in Loop: Header=BB4_2697 Depth=2
	s_or_b64 exec, exec, s[28:29]
	v_and_b32_e32 v0, 48, v5
	v_cmp_ne_u32_e32 vcc, 0, v0
	s_and_saveexec_b64 s[28:29], vcc
	s_cbranch_execz .LBB4_2696
; %bb.2768:                             ;   in Loop: Header=BB4_2697 Depth=2
	v_add_co_u32_e32 v6, vcc, 2, v6
	v_addc_co_u32_e32 v7, vcc, 0, v7, vcc
	flat_store_dwordx2 v[32:33], v[6:7]
	s_branch .LBB4_2696
.LBB4_2769:                             ;   in Loop: Header=BB4_47 Depth=1
	s_or_b64 exec, exec, s[76:77]
	s_or_b64 exec, exec, s[74:75]
	v_cmp_gt_i32_e32 vcc, 2, v0
	s_and_saveexec_b64 s[40:41], vcc
	s_cbranch_execnz .LBB4_2695
.LBB4_2770:                             ;   in Loop: Header=BB4_47 Depth=1
	s_or_b64 exec, exec, s[40:41]
	s_and_b64 vcc, exec, s[26:27]
	s_cbranch_vccz .LBB4_2772
	s_branch .LBB4_3101
.LBB4_2771:                             ;   in Loop: Header=BB4_47 Depth=1
	s_or_b64 exec, exec, s[42:43]
	s_or_b64 exec, exec, s[40:41]
	s_and_b64 vcc, exec, s[26:27]
	s_cbranch_vccnz .LBB4_3101
.LBB4_2772:                             ;   in Loop: Header=BB4_47 Depth=1
	s_mov_b32 s9, 1
.LBB4_2773:                             ;   Parent Loop BB4_47 Depth=1
                                        ; =>  This Loop Header: Depth=2
                                        ;       Child Loop BB4_2776 Depth 3
                                        ;         Child Loop BB4_2784 Depth 4
                                        ;         Child Loop BB4_2812 Depth 4
	;; [unrolled: 1-line block ×4, first 2 shown]
                                        ;           Child Loop BB4_2856 Depth 5
                                        ;           Child Loop BB4_2861 Depth 5
                                        ;         Child Loop BB4_2874 Depth 4
                                        ;         Child Loop BB4_2879 Depth 4
                                        ;           Child Loop BB4_2881 Depth 5
                                        ;           Child Loop BB4_2886 Depth 5
                                        ;         Child Loop BB4_2892 Depth 4
                                        ;         Child Loop BB4_2900 Depth 4
	;; [unrolled: 1-line block ×3, first 2 shown]
                                        ;           Child Loop BB4_2912 Depth 5
                                        ;           Child Loop BB4_2917 Depth 5
                                        ;         Child Loop BB4_2921 Depth 4
                                        ;         Child Loop BB4_2933 Depth 4
	;; [unrolled: 1-line block ×7, first 2 shown]
                                        ;       Child Loop BB4_3025 Depth 3
                                        ;         Child Loop BB4_3031 Depth 4
                                        ;         Child Loop BB4_3059 Depth 4
	;; [unrolled: 1-line block ×3, first 2 shown]
	buffer_load_dword v10, off, s[0:3], s33 offset:236 ; 4-byte Folded Reload
	buffer_load_dword v11, off, s[0:3], s33 offset:240 ; 4-byte Folded Reload
	s_sub_i32 s8, s55, s9
	s_cmp_ge_i32 s8, s50
	s_cselect_b32 s26, s50, 0
	s_sub_i32 s8, s8, s26
	s_ashr_i32 s28, s8, 31
	v_mov_b32_e32 v28, 0
	s_waitcnt vmcnt(0)
	v_mad_u64_u32 v[3:4], s[26:27], v10, s8, 0
	v_mul_lo_u32 v0, v11, s8
	s_waitcnt lgkmcnt(0)
	v_mul_lo_u32 v8, v10, s28
	v_add3_u32 v4, v4, v8, v0
	buffer_load_dword v8, off, s[0:3], s33 offset:228 ; 4-byte Folded Reload
	buffer_load_dword v9, off, s[0:3], s33 offset:232 ; 4-byte Folded Reload
	s_waitcnt vmcnt(1)
	v_sub_co_u32_e32 v8, vcc, v8, v3
	s_waitcnt vmcnt(0)
	v_subb_co_u32_e32 v9, vcc, v9, v4, vcc
	v_cmp_lt_i64_e32 vcc, v[10:11], v[8:9]
	v_cndmask_b32_e32 v0, v8, v10, vcc
	v_max_i32_e32 v31, 0, v0
	v_add_u32_e32 v8, 31, v31
	v_lshrrev_b32_e32 v8, 1, v8
	v_and_b32_e32 v8, 0x3ffffff0, v8
	v_cmp_lt_i32_e32 vcc, 0, v0
	v_max_i32_e32 v26, s66, v8
	s_and_b64 s[26:27], s[72:73], vcc
	v_mov_b32_e32 v0, 0
	s_and_saveexec_b64 s[42:43], s[26:27]
	s_cbranch_execz .LBB4_3022
; %bb.2774:                             ;   in Loop: Header=BB4_2773 Depth=2
	buffer_load_dword v8, off, s[0:3], s33 offset:204 ; 4-byte Folded Reload
	buffer_load_dword v9, off, s[0:3], s33 offset:208 ; 4-byte Folded Reload
	s_mov_b32 s48, 1
	s_mov_b64 s[76:77], -1
	v_mov_b32_e32 v28, 0
	s_mov_b64 s[74:75], 0
	s_waitcnt vmcnt(1)
	v_add_co_u32_e32 v3, vcc, v3, v8
	s_waitcnt vmcnt(0)
	v_addc_co_u32_e32 v4, vcc, v4, v9, vcc
	v_lshlrev_b64 v[24:25], 1, v[3:4]
	s_branch .LBB4_2776
.LBB4_2775:                             ;   in Loop: Header=BB4_2776 Depth=3
	s_or_b64 exec, exec, s[26:27]
	v_add_u32_e32 v28, v26, v28
	v_cmp_ge_i32_e32 vcc, v28, v31
	s_xor_b64 s[26:27], s[76:77], -1
	s_or_b64 s[26:27], s[26:27], vcc
	s_and_b64 s[26:27], exec, s[26:27]
	s_or_b64 s[74:75], s[26:27], s[74:75]
	s_mov_b64 s[76:77], 0
	v_mov_b32_e32 v0, s48
	s_mov_b32 s48, 2
	s_andn2_b64 exec, exec, s[74:75]
	s_cbranch_execz .LBB4_3097
.LBB4_2776:                             ;   Parent Loop BB4_47 Depth=1
                                        ;     Parent Loop BB4_2773 Depth=2
                                        ; =>    This Loop Header: Depth=3
                                        ;         Child Loop BB4_2784 Depth 4
                                        ;         Child Loop BB4_2812 Depth 4
	;; [unrolled: 1-line block ×4, first 2 shown]
                                        ;           Child Loop BB4_2856 Depth 5
                                        ;           Child Loop BB4_2861 Depth 5
                                        ;         Child Loop BB4_2874 Depth 4
                                        ;         Child Loop BB4_2879 Depth 4
                                        ;           Child Loop BB4_2881 Depth 5
                                        ;           Child Loop BB4_2886 Depth 5
                                        ;         Child Loop BB4_2892 Depth 4
                                        ;         Child Loop BB4_2900 Depth 4
	;; [unrolled: 1-line block ×3, first 2 shown]
                                        ;           Child Loop BB4_2912 Depth 5
                                        ;           Child Loop BB4_2917 Depth 5
                                        ;         Child Loop BB4_2921 Depth 4
                                        ;         Child Loop BB4_2933 Depth 4
	;; [unrolled: 1-line block ×7, first 2 shown]
	s_and_saveexec_b64 s[26:27], s[4:5]
	s_cbranch_execz .LBB4_2778
; %bb.2777:                             ;   in Loop: Header=BB4_2776 Depth=3
	s_trap 2
	ds_read_b128 v[8:11], v0
	v_ashrrev_i32_e32 v29, 31, v28
	v_lshlrev_b64 v[3:4], 1, v[28:29]
	s_waitcnt lgkmcnt(0)
	v_add_co_u32_e32 v0, vcc, v8, v24
	v_addc_co_u32_e32 v9, vcc, v9, v25, vcc
	v_add_co_u32_e32 v8, vcc, v0, v3
	v_addc_co_u32_e32 v9, vcc, v9, v4, vcc
	ds_write_b64 v0, v[8:9]
	v_add_co_u32_e32 v0, vcc, v10, v24
	v_addc_co_u32_e32 v8, vcc, v11, v25, vcc
	v_add_co_u32_e32 v0, vcc, v0, v3
	v_addc_co_u32_e32 v3, vcc, v8, v4, vcc
	v_cmp_ne_u64_e32 vcc, 0, v[10:11]
	v_cndmask_b32_e32 v4, 0, v3, vcc
	v_cndmask_b32_e32 v3, 0, v0, vcc
	ds_write_b64 v0, v[3:4]
.LBB4_2778:                             ;   in Loop: Header=BB4_2776 Depth=3
	s_or_b64 exec, exec, s[26:27]
	v_sub_u32_e32 v0, v31, v28
	v_min_i32_e32 v26, v26, v0
	v_and_b32_e32 v0, 12, v5
	v_cmp_ne_u32_e32 vcc, 0, v0
	s_and_saveexec_b64 s[28:29], vcc
	s_cbranch_execz .LBB4_2804
; %bb.2779:                             ;   in Loop: Header=BB4_2776 Depth=3
	v_and_b32_e32 v0, 8, v5
	v_add_co_u32_e32 v8, vcc, v38, v0
	v_addc_co_u32_e32 v9, vcc, 0, v39, vcc
	v_add_co_u32_e32 v3, vcc, 2, v6
	v_addc_co_u32_e32 v4, vcc, 0, v7, vcc
	v_cmp_lt_u64_e32 vcc, v[8:9], v[3:4]
	s_and_saveexec_b64 s[40:41], vcc
	s_cbranch_execz .LBB4_2791
; %bb.2780:                             ;   in Loop: Header=BB4_2776 Depth=3
	v_and_b32_e32 v7, 64, v5
	s_mov_b32 s8, 0
	v_cmp_eq_u32_e32 vcc, 0, v7
	s_mov_b64 s[78:79], 0
                                        ; implicit-def: $sgpr88_sgpr89
                                        ; implicit-def: $sgpr90_sgpr91
                                        ; implicit-def: $sgpr92_sgpr93
	s_branch .LBB4_2784
.LBB4_2781:                             ;   in Loop: Header=BB4_2784 Depth=4
	s_waitcnt vmcnt(0) lgkmcnt(0)
	v_add_co_u32_e64 v9, s[26:27], v38, v0
	v_addc_co_u32_e64 v10, s[26:27], 0, v39, s[26:27]
	v_cmp_ge_u64_e64 s[26:27], v[9:10], v[3:4]
	s_or_b64 s[34:35], s[34:35], exec
	s_orn2_b64 s[30:31], s[26:27], exec
.LBB4_2782:                             ;   in Loop: Header=BB4_2784 Depth=4
	s_or_b64 exec, exec, s[38:39]
	s_andn2_b64 s[26:27], s[92:93], exec
	s_and_b64 s[92:93], s[34:35], exec
	s_or_b64 s[92:93], s[26:27], s[92:93]
	s_andn2_b64 s[26:27], s[90:91], exec
	s_and_b64 s[90:91], s[30:31], exec
	s_or_b64 s[90:91], s[26:27], s[90:91]
.LBB4_2783:                             ;   in Loop: Header=BB4_2784 Depth=4
	s_or_b64 exec, exec, s[94:95]
	s_and_b64 s[26:27], exec, s[90:91]
	s_or_b64 s[78:79], s[26:27], s[78:79]
	s_andn2_b64 s[26:27], s[88:89], exec
	s_and_b64 s[88:89], s[92:93], exec
	s_or_b64 s[88:89], s[26:27], s[88:89]
	s_andn2_b64 exec, exec, s[78:79]
	s_cbranch_execz .LBB4_2788
.LBB4_2784:                             ;   Parent Loop BB4_47 Depth=1
                                        ;     Parent Loop BB4_2773 Depth=2
                                        ;       Parent Loop BB4_2776 Depth=3
                                        ; =>      This Inner Loop Header: Depth=4
	s_sleep 1
	s_waitcnt vmcnt(0) lgkmcnt(0)
	flat_load_dwordx2 v[38:39], v[32:33] glc
	s_or_b64 s[92:93], s[92:93], exec
	s_or_b64 s[90:91], s[90:91], exec
                                        ; implicit-def: $vgpr8
	s_and_saveexec_b64 s[94:95], vcc
	s_cbranch_execz .LBB4_2783
; %bb.2785:                             ;   in Loop: Header=BB4_2784 Depth=4
	s_cmpk_lt_i32 s8, 0x270f
	s_cselect_b64 s[36:37], -1, 0
	s_cmpk_gt_i32 s8, 0x270e
	s_mov_b64 s[30:31], -1
	s_cbranch_scc0 .LBB4_2787
; %bb.2786:                             ;   in Loop: Header=BB4_2784 Depth=4
	s_trap 2
	ds_read_b64 v[7:8], v0
	s_andn2_b64 s[36:37], s[36:37], exec
	s_mov_b32 s8, 0
	s_mov_b64 s[34:35], 0
	s_waitcnt vmcnt(0) lgkmcnt(0)
	flat_load_dword v8, v[7:8] glc
	s_waitcnt vmcnt(0) lgkmcnt(0)
	buffer_wbinvl1_vol
	v_cmp_eq_u32_e64 s[26:27], 0, v8
	s_and_b64 s[26:27], s[26:27], exec
	s_or_b64 s[36:37], s[36:37], s[26:27]
	s_and_saveexec_b64 s[38:39], s[36:37]
	s_cbranch_execz .LBB4_2782
	s_branch .LBB4_2781
.LBB4_2787:                             ;   in Loop: Header=BB4_2784 Depth=4
	s_add_i32 s8, s8, 1
	s_mov_b64 s[34:35], -1
                                        ; implicit-def: $vgpr8
	s_and_saveexec_b64 s[38:39], s[36:37]
	s_cbranch_execz .LBB4_2782
	s_branch .LBB4_2781
.LBB4_2788:                             ;   in Loop: Header=BB4_2776 Depth=3
	s_or_b64 exec, exec, s[78:79]
	s_xor_b64 s[26:27], s[88:89], -1
	s_and_saveexec_b64 s[78:79], s[26:27]
	s_xor_b64 s[26:27], exec, s[78:79]
	s_cbranch_execz .LBB4_2790
; %bb.2789:                             ;   in Loop: Header=BB4_2776 Depth=3
	v_or_b32_e32 v5, 64, v5
	s_waitcnt lgkmcnt(0)
	ds_write_b32 v0, v8
	s_trap 2
.LBB4_2790:                             ;   in Loop: Header=BB4_2776 Depth=3
	s_or_b64 exec, exec, s[26:27]
.LBB4_2791:                             ;   in Loop: Header=BB4_2776 Depth=3
	s_or_b64 exec, exec, s[40:41]
	v_and_b32_e32 v7, 0x108, v5
	v_cmp_ne_u32_e32 vcc, s45, v7
	;;#ASMSTART
	s_wakeup
	;;#ASMEND
                                        ; implicit-def: $vgpr8_vgpr9
	s_and_saveexec_b64 s[26:27], vcc
	s_xor_b64 s[26:27], exec, s[26:27]
; %bb.2792:                             ;   in Loop: Header=BB4_2776 Depth=3
	v_and_b32_e32 v8, 7, v6
	v_mov_b32_e32 v9, v2
                                        ; implicit-def: $vgpr6_vgpr7
; %bb.2793:                             ;   in Loop: Header=BB4_2776 Depth=3
	s_andn2_saveexec_b64 s[26:27], s[26:27]
	s_cbranch_execz .LBB4_2795
; %bb.2794:                             ;   in Loop: Header=BB4_2776 Depth=3
	buffer_load_dword v9, off, s[0:3], s33 offset:160 ; 4-byte Folded Reload
	buffer_load_dword v10, off, s[0:3], s33 offset:164 ; 4-byte Folded Reload
	;; [unrolled: 1-line block ×4, first 2 shown]
	v_and_b32_e32 v8, 7, v6
	v_ashrrev_i32_e32 v27, 31, v26
	s_waitcnt vmcnt(0)
	v_mad_u64_u32 v[6:7], s[40:41], v8, 24, v[9:10]
	v_lshlrev_b64 v[10:11], 1, v[26:27]
	v_mov_b32_e32 v9, v2
	flat_store_dwordx2 v[6:7], v[10:11] offset:8
.LBB4_2795:                             ;   in Loop: Header=BB4_2776 Depth=3
	s_or_b64 exec, exec, s[26:27]
	v_and_b32_e32 v6, 0x100, v5
	v_cmp_ne_u32_e32 vcc, 0, v6
	s_mov_b64 s[26:27], -1
                                        ; implicit-def: $vgpr10_vgpr11
	s_and_saveexec_b64 s[40:41], vcc
	s_cbranch_execz .LBB4_2799
; %bb.2796:                             ;   in Loop: Header=BB4_2776 Depth=3
	buffer_load_dword v10, off, s[0:3], s33 offset:160 ; 4-byte Folded Reload
	buffer_load_dword v11, off, s[0:3], s33 offset:164 ; 4-byte Folded Reload
	;; [unrolled: 1-line block ×4, first 2 shown]
	s_waitcnt vmcnt(0)
	v_mad_u64_u32 v[12:13], s[26:27], v8, 24, v[10:11]
                                        ; implicit-def: $vgpr10_vgpr11
	v_mov_b32_e32 v6, v13
	v_mad_u64_u32 v[6:7], s[26:27], v9, 24, v[6:7]
	v_mov_b32_e32 v13, v6
	flat_load_dword v6, v[12:13]
	s_waitcnt vmcnt(0) lgkmcnt(0)
	v_cmp_ne_u32_e32 vcc, 1, v6
	v_cmp_eq_u32_e64 s[26:27], 1, v6
	s_and_saveexec_b64 s[78:79], s[26:27]
	s_cbranch_execz .LBB4_2798
; %bb.2797:                             ;   in Loop: Header=BB4_2776 Depth=3
	flat_load_dword v6, v[12:13] offset:4 glc
	s_waitcnt vmcnt(0) lgkmcnt(0)
	v_ashrrev_i32_e32 v7, 31, v6
	v_lshrrev_b64 v[10:11], 1, v[6:7]
.LBB4_2798:                             ;   in Loop: Header=BB4_2776 Depth=3
	s_or_b64 exec, exec, s[78:79]
	s_orn2_b64 s[26:27], vcc, exec
.LBB4_2799:                             ;   in Loop: Header=BB4_2776 Depth=3
	s_or_b64 exec, exec, s[40:41]
	s_and_saveexec_b64 s[40:41], s[26:27]
	s_cbranch_execz .LBB4_2801
; %bb.2800:                             ;   in Loop: Header=BB4_2776 Depth=3
	buffer_load_dword v10, off, s[0:3], s33 offset:184 ; 4-byte Folded Reload
	buffer_load_dword v7, off, s[0:3], s33 offset:196 ; 4-byte Folded Reload
	s_waitcnt vmcnt(0)
	v_mul_lo_u32 v6, v9, v10
	v_mul_lo_u32 v7, v8, v7
	v_mad_u64_u32 v[10:11], s[26:27], v8, v10, 0
	v_add3_u32 v11, v11, v7, v6
.LBB4_2801:                             ;   in Loop: Header=BB4_2776 Depth=3
	s_or_b64 exec, exec, s[40:41]
	buffer_load_dword v8, off, s[0:3], s33 offset:152 ; 4-byte Folded Reload
	buffer_load_dword v9, off, s[0:3], s33 offset:156 ; 4-byte Folded Reload
	v_cmp_eq_u32_e32 vcc, 0, v0
	v_mov_b32_e32 v0, 0xd0
	v_mov_b32_e32 v6, 0x88
	v_cndmask_b32_e32 v0, v0, v6, vcc
	v_lshlrev_b64 v[6:7], 1, v[10:11]
	v_add_u32_e32 v0, v0, v0
	s_waitcnt vmcnt(0)
	v_add_co_u32_e32 v6, vcc, v8, v6
	v_addc_co_u32_e32 v7, vcc, v9, v7, vcc
	ds_write_b64 v0, v[6:7] offset:584
	v_and_b32_e32 v0, 0x2000, v5
	v_cmp_ne_u32_e32 vcc, 0, v0
	s_and_saveexec_b64 s[26:27], vcc
	s_cbranch_execz .LBB4_2803
; %bb.2802:                             ;   in Loop: Header=BB4_2776 Depth=3
	ds_read_b64 v[6:7], v0 offset:872
	s_waitcnt lgkmcnt(0)
	v_add_co_u32_e32 v6, vcc, 1, v6
	v_addc_co_u32_e32 v7, vcc, 0, v7, vcc
	ds_write_b64 v0, v[6:7] offset:872
.LBB4_2803:                             ;   in Loop: Header=BB4_2776 Depth=3
	s_or_b64 exec, exec, s[26:27]
	v_mov_b32_e32 v7, v4
	v_mov_b32_e32 v6, v3
.LBB4_2804:                             ;   in Loop: Header=BB4_2776 Depth=3
	s_or_b64 exec, exec, s[28:29]
	s_and_saveexec_b64 s[26:27], s[10:11]
	s_cbranch_execz .LBB4_2823
; %bb.2805:                             ;   in Loop: Header=BB4_2776 Depth=3
	s_and_saveexec_b64 s[28:29], s[56:57]
	s_xor_b64 s[28:29], exec, s[28:29]
	s_cbranch_execz .LBB4_2820
; %bb.2806:                             ;   in Loop: Header=BB4_2776 Depth=3
	s_and_saveexec_b64 s[40:41], s[16:17]
	s_cbranch_execz .LBB4_2819
; %bb.2807:                             ;   in Loop: Header=BB4_2776 Depth=3
	s_mov_b64 s[88:89], exec
	v_mbcnt_lo_u32_b32 v0, s88, 0
	v_mbcnt_hi_u32_b32 v0, s89, v0
	v_cmp_eq_u32_e32 vcc, 0, v0
	s_waitcnt vmcnt(0) lgkmcnt(0)
	buffer_wbinvl1_vol
	s_and_saveexec_b64 s[78:79], vcc
	s_cbranch_execz .LBB4_2809
; %bb.2808:                             ;   in Loop: Header=BB4_2776 Depth=3
	s_bcnt1_i32_b64 s8, s[88:89]
	v_mov_b32_e32 v3, s8
	v_mov_b32_e32 v4, v2
	ds_add_u64 v0, v[3:4]
	s_trap 2
.LBB4_2809:                             ;   in Loop: Header=BB4_2776 Depth=3
	s_or_b64 exec, exec, s[78:79]
	s_trap 2
	ds_read_b64 v[3:4], v0
	s_waitcnt lgkmcnt(0)
	v_add_co_u32_e32 v36, vcc, v36, v59
	v_addc_co_u32_e32 v37, vcc, 0, v37, vcc
	v_cmp_lt_u64_e32 vcc, v[3:4], v[36:37]
	s_and_saveexec_b64 s[78:79], vcc
	s_cbranch_execz .LBB4_2818
; %bb.2810:                             ;   in Loop: Header=BB4_2776 Depth=3
	s_mov_b32 s8, 0
	s_mov_b64 s[88:89], 0
                                        ; implicit-def: $sgpr90_sgpr91
                                        ; implicit-def: $sgpr92_sgpr93
	s_branch .LBB4_2812
.LBB4_2811:                             ;   in Loop: Header=BB4_2812 Depth=4
	s_or_b64 exec, exec, s[30:31]
	s_and_b64 s[94:95], exec, vcc
	s_or_b64 s[88:89], s[94:95], s[88:89]
	s_andn2_b64 s[90:91], s[90:91], exec
	s_and_b64 s[94:95], s[92:93], exec
	s_or_b64 s[90:91], s[90:91], s[94:95]
	s_andn2_b64 exec, exec, s[88:89]
	s_cbranch_execz .LBB4_2816
.LBB4_2812:                             ;   Parent Loop BB4_47 Depth=1
                                        ;     Parent Loop BB4_2773 Depth=2
                                        ;       Parent Loop BB4_2776 Depth=3
                                        ; =>      This Inner Loop Header: Depth=4
	s_add_i32 s8, s8, 1
	s_cmpk_lg_i32 s8, 0x2710
	s_cselect_b64 s[94:95], -1, 0
	s_and_b64 vcc, exec, s[94:95]
	s_cbranch_vccz .LBB4_2814
; %bb.2813:                             ;   in Loop: Header=BB4_2812 Depth=4
	s_mov_b64 vcc, -1
	s_or_b64 s[92:93], s[92:93], exec
	s_and_saveexec_b64 s[30:31], s[94:95]
	s_cbranch_execz .LBB4_2811
	s_branch .LBB4_2815
.LBB4_2814:                             ;   in Loop: Header=BB4_2812 Depth=4
	s_trap 2
	ds_read_b64 v[3:4], v0
	s_andn2_b64 s[94:95], s[94:95], exec
	s_mov_b32 s8, 0
	s_waitcnt lgkmcnt(0)
	flat_load_dword v0, v[3:4] glc
	s_waitcnt vmcnt(0) lgkmcnt(0)
	buffer_wbinvl1_vol
	v_cmp_eq_u32_e32 vcc, 0, v0
	s_and_b64 vcc, vcc, exec
	s_or_b64 s[94:95], s[94:95], vcc
	s_mov_b64 vcc, -1
	s_or_b64 s[92:93], s[92:93], exec
	s_and_saveexec_b64 s[30:31], s[94:95]
	s_cbranch_execz .LBB4_2811
.LBB4_2815:                             ;   in Loop: Header=BB4_2812 Depth=4
	s_sleep 1
	s_trap 2
	ds_read_b64 v[3:4], v0
	s_waitcnt lgkmcnt(0)
	s_andn2_b64 s[92:93], s[92:93], exec
	v_cmp_ge_u64_e32 vcc, v[3:4], v[36:37]
	s_orn2_b64 vcc, vcc, exec
	s_branch .LBB4_2811
.LBB4_2816:                             ;   in Loop: Header=BB4_2776 Depth=3
	s_or_b64 exec, exec, s[88:89]
	s_and_saveexec_b64 s[88:89], s[90:91]
	s_xor_b64 s[88:89], exec, s[88:89]
	s_cbranch_execz .LBB4_2818
; %bb.2817:                             ;   in Loop: Header=BB4_2776 Depth=3
	v_mov_b32_e32 v0, 1
	ds_write_b32 v0, v0
	s_trap 2
.LBB4_2818:                             ;   in Loop: Header=BB4_2776 Depth=3
	s_or_b64 exec, exec, s[78:79]
	;;#ASMSTART
	s_wakeup
	;;#ASMEND
.LBB4_2819:                             ;   in Loop: Header=BB4_2776 Depth=3
	s_or_b64 exec, exec, s[40:41]
.LBB4_2820:                             ;   in Loop: Header=BB4_2776 Depth=3
	s_andn2_saveexec_b64 s[28:29], s[28:29]
	s_cbranch_execz .LBB4_2822
; %bb.2821:                             ;   in Loop: Header=BB4_2776 Depth=3
	s_waitcnt vmcnt(0) lgkmcnt(0)
	buffer_wbinvl1_vol
	s_barrier
.LBB4_2822:                             ;   in Loop: Header=BB4_2776 Depth=3
	s_or_b64 exec, exec, s[28:29]
.LBB4_2823:                             ;   in Loop: Header=BB4_2776 Depth=3
	s_or_b64 exec, exec, s[26:27]
	s_trap 2
	ds_read_b32 v0, v0
	v_and_b32_e32 v3, 0x4000, v5
	v_cmp_ne_u32_e32 vcc, 0, v3
	s_xor_b64 s[26:27], s[6:7], -1
	s_and_b64 s[28:29], s[26:27], vcc
	s_and_saveexec_b64 s[26:27], s[28:29]
	s_cbranch_execz .LBB4_2842
; %bb.2824:                             ;   in Loop: Header=BB4_2776 Depth=3
	s_and_saveexec_b64 s[28:29], s[56:57]
	s_xor_b64 s[28:29], exec, s[28:29]
	s_cbranch_execz .LBB4_2839
; %bb.2825:                             ;   in Loop: Header=BB4_2776 Depth=3
	s_and_saveexec_b64 s[40:41], s[16:17]
	s_cbranch_execz .LBB4_2838
; %bb.2826:                             ;   in Loop: Header=BB4_2776 Depth=3
	s_mov_b64 s[88:89], exec
	v_mbcnt_lo_u32_b32 v3, s88, 0
	v_mbcnt_hi_u32_b32 v3, s89, v3
	v_cmp_eq_u32_e32 vcc, 0, v3
	s_waitcnt vmcnt(0) lgkmcnt(0)
	buffer_wbinvl1_vol
	s_and_saveexec_b64 s[78:79], vcc
	s_cbranch_execz .LBB4_2828
; %bb.2827:                             ;   in Loop: Header=BB4_2776 Depth=3
	s_bcnt1_i32_b64 s8, s[88:89]
	v_mov_b32_e32 v3, s8
	v_mov_b32_e32 v4, v2
	ds_add_u64 v0, v[3:4]
	s_trap 2
.LBB4_2828:                             ;   in Loop: Header=BB4_2776 Depth=3
	s_or_b64 exec, exec, s[78:79]
	s_trap 2
	ds_read_b64 v[3:4], v0
	s_waitcnt lgkmcnt(0)
	v_add_co_u32_e32 v36, vcc, v36, v59
	v_addc_co_u32_e32 v37, vcc, 0, v37, vcc
	v_cmp_lt_u64_e32 vcc, v[3:4], v[36:37]
	s_and_saveexec_b64 s[78:79], vcc
	s_cbranch_execz .LBB4_2837
; %bb.2829:                             ;   in Loop: Header=BB4_2776 Depth=3
	s_mov_b32 s8, 0
	s_mov_b64 s[88:89], 0
                                        ; implicit-def: $sgpr90_sgpr91
                                        ; implicit-def: $sgpr92_sgpr93
	s_branch .LBB4_2831
.LBB4_2830:                             ;   in Loop: Header=BB4_2831 Depth=4
	s_or_b64 exec, exec, s[30:31]
	s_and_b64 s[94:95], exec, vcc
	s_or_b64 s[88:89], s[94:95], s[88:89]
	s_andn2_b64 s[90:91], s[90:91], exec
	s_and_b64 s[94:95], s[92:93], exec
	s_or_b64 s[90:91], s[90:91], s[94:95]
	s_andn2_b64 exec, exec, s[88:89]
	s_cbranch_execz .LBB4_2835
.LBB4_2831:                             ;   Parent Loop BB4_47 Depth=1
                                        ;     Parent Loop BB4_2773 Depth=2
                                        ;       Parent Loop BB4_2776 Depth=3
                                        ; =>      This Inner Loop Header: Depth=4
	s_add_i32 s8, s8, 1
	s_cmpk_lg_i32 s8, 0x2710
	s_cselect_b64 s[94:95], -1, 0
	s_and_b64 vcc, exec, s[94:95]
	s_cbranch_vccz .LBB4_2833
; %bb.2832:                             ;   in Loop: Header=BB4_2831 Depth=4
	s_mov_b64 vcc, -1
	s_or_b64 s[92:93], s[92:93], exec
	s_and_saveexec_b64 s[30:31], s[94:95]
	s_cbranch_execz .LBB4_2830
	s_branch .LBB4_2834
.LBB4_2833:                             ;   in Loop: Header=BB4_2831 Depth=4
	s_trap 2
	ds_read_b64 v[3:4], v0
	s_andn2_b64 s[94:95], s[94:95], exec
	s_mov_b32 s8, 0
	s_waitcnt lgkmcnt(0)
	flat_load_dword v3, v[3:4] glc
	s_waitcnt vmcnt(0) lgkmcnt(0)
	buffer_wbinvl1_vol
	v_cmp_eq_u32_e32 vcc, 0, v3
	s_and_b64 vcc, vcc, exec
	s_or_b64 s[94:95], s[94:95], vcc
	s_mov_b64 vcc, -1
	s_or_b64 s[92:93], s[92:93], exec
	s_and_saveexec_b64 s[30:31], s[94:95]
	s_cbranch_execz .LBB4_2830
.LBB4_2834:                             ;   in Loop: Header=BB4_2831 Depth=4
	s_sleep 1
	s_trap 2
	ds_read_b64 v[3:4], v0
	s_waitcnt lgkmcnt(0)
	s_andn2_b64 s[92:93], s[92:93], exec
	v_cmp_ge_u64_e32 vcc, v[3:4], v[36:37]
	s_orn2_b64 vcc, vcc, exec
	s_branch .LBB4_2830
.LBB4_2835:                             ;   in Loop: Header=BB4_2776 Depth=3
	s_or_b64 exec, exec, s[88:89]
	s_and_saveexec_b64 s[88:89], s[90:91]
	s_xor_b64 s[88:89], exec, s[88:89]
	s_cbranch_execz .LBB4_2837
; %bb.2836:                             ;   in Loop: Header=BB4_2776 Depth=3
	v_mov_b32_e32 v3, 1
	ds_write_b32 v0, v3
	s_trap 2
.LBB4_2837:                             ;   in Loop: Header=BB4_2776 Depth=3
	s_or_b64 exec, exec, s[78:79]
	;;#ASMSTART
	s_wakeup
	;;#ASMEND
.LBB4_2838:                             ;   in Loop: Header=BB4_2776 Depth=3
	s_or_b64 exec, exec, s[40:41]
.LBB4_2839:                             ;   in Loop: Header=BB4_2776 Depth=3
	s_andn2_saveexec_b64 s[28:29], s[28:29]
	s_cbranch_execz .LBB4_2841
; %bb.2840:                             ;   in Loop: Header=BB4_2776 Depth=3
	s_waitcnt vmcnt(0) lgkmcnt(0)
	buffer_wbinvl1_vol
	s_barrier
.LBB4_2841:                             ;   in Loop: Header=BB4_2776 Depth=3
	s_or_b64 exec, exec, s[28:29]
.LBB4_2842:                             ;   in Loop: Header=BB4_2776 Depth=3
	s_or_b64 exec, exec, s[26:27]
	s_trap 2
	s_waitcnt lgkmcnt(0)
	ds_read_b64 v[29:30], v0
	s_waitcnt lgkmcnt(0)
	v_cmp_eq_u64_e32 vcc, 0, v[29:30]
	s_cbranch_vccnz .LBB4_2864
; %bb.2843:                             ;   in Loop: Header=BB4_2776 Depth=3
	s_trap 2
	ds_read_b64 v[60:61], v0
	s_waitcnt lgkmcnt(0)
	v_cmp_eq_u64_e32 vcc, 0, v[60:61]
	s_cbranch_vccnz .LBB4_2864
; %bb.2844:                             ;   in Loop: Header=BB4_2776 Depth=3
	s_trap 2
	ds_read_b64 v[16:17], v0
	v_cmp_eq_u32_e32 vcc, 0, v0
	v_cndmask_b32_e32 v27, 0, v26, vcc
	v_lshlrev_b32_e32 v56, 1, v27
	s_mov_b64 s[26:27], -1
	s_waitcnt lgkmcnt(0)
	v_cmp_ne_u64_e32 vcc, 0, v[16:17]
	s_cbranch_vccz .LBB4_2923
; %bb.2845:                             ;   in Loop: Header=BB4_2776 Depth=3
	s_and_saveexec_b64 s[28:29], s[20:21]
	s_cbranch_execz .LBB4_2847
; %bb.2846:                             ;   in Loop: Header=BB4_2776 Depth=3
	ds_read_b32 v0, v0 offset:720
	s_waitcnt lgkmcnt(0)
	v_and_b32_e32 v0, 15, v0
	v_cmp_eq_u32_e32 vcc, 0, v0
	s_orn2_b64 s[26:27], vcc, exec
.LBB4_2847:                             ;   in Loop: Header=BB4_2776 Depth=3
	s_or_b64 exec, exec, s[28:29]
	s_and_saveexec_b64 s[28:29], s[22:23]
	s_cbranch_execz .LBB4_2849
; %bb.2848:                             ;   in Loop: Header=BB4_2776 Depth=3
	ds_read_b32 v0, v0 offset:784
	s_waitcnt lgkmcnt(0)
	v_and_b32_e32 v0, 15, v0
	v_cmp_eq_u32_e32 vcc, 0, v0
	s_and_b64 s[40:41], s[26:27], vcc
	s_andn2_b64 s[26:27], s[26:27], exec
	s_and_b64 s[40:41], s[40:41], exec
	s_or_b64 s[26:27], s[26:27], s[40:41]
.LBB4_2849:                             ;   in Loop: Header=BB4_2776 Depth=3
	s_or_b64 exec, exec, s[28:29]
	s_xor_b64 s[26:27], s[26:27], -1
	v_cndmask_b32_e64 v0, 0, 1, s[26:27]
	s_mov_b64 s[28:29], -1
	v_cmp_ne_u32_e32 vcc, 0, v0
	s_cbranch_vccz .LBB4_2869
; %bb.2850:                             ;   in Loop: Header=BB4_2776 Depth=3
	s_mov_b64 s[78:79], -1
	v_mov_b32_e32 v14, 0
	s_cbranch_execnz .LBB4_2870
.LBB4_2851:                             ;   in Loop: Header=BB4_2776 Depth=3
	buffer_load_dword v4, off, s[0:3], s33 offset:212 ; 4-byte Folded Reload
	v_ashrrev_i32_e32 v0, 31, v56
	v_lshrrev_b32_e32 v0, 22, v0
	v_add_u32_e32 v0, v56, v0
	v_ashrrev_i32_e32 v3, 10, v0
	v_and_b32_e32 v18, 0xfffffc00, v0
	v_sub_u32_e32 v19, v56, v18
	v_cmp_lt_i32_e64 s[26:27], 15, v19
	s_mov_b64 s[28:29], 0
                                        ; implicit-def: $vgpr8_vgpr9
	s_waitcnt vmcnt(0)
	v_add_co_u32_e32 v0, vcc, v60, v4
	v_addc_co_u32_e32 v21, vcc, 0, v61, vcc
	v_sub_u32_e32 v34, v56, v4
	v_add_co_u32_e32 v22, vcc, v16, v4
	buffer_load_dword v4, off, s[0:3], s33 offset:220 ; 4-byte Folded Reload
	v_addc_co_u32_e32 v23, vcc, 0, v17, vcc
	s_waitcnt vmcnt(0)
	v_sub_u32_e32 v3, v3, v4
	v_addc_co_u32_e64 v20, vcc, 0, v3, s[26:27]
	v_cmp_lt_i32_e32 vcc, 15, v34
	s_and_saveexec_b64 s[88:89], vcc
	s_cbranch_execz .LBB4_2872
; %bb.2852:                             ;   in Loop: Header=BB4_2776 Depth=3
	buffer_load_dword v3, off, s[0:3], s33 offset:212 ; 4-byte Folded Reload
	s_mov_b64 s[94:95], 0
	s_mov_b64 s[90:91], 0
                                        ; implicit-def: $sgpr92_sgpr93
                                        ; implicit-def: $vgpr8_vgpr9
	s_waitcnt vmcnt(0)
	v_add_co_u32_e32 v3, vcc, v29, v3
	v_addc_co_u32_e32 v4, vcc, 0, v30, vcc
	s_branch .LBB4_2854
.LBB4_2853:                             ;   in Loop: Header=BB4_2854 Depth=4
	s_or_b64 exec, exec, s[28:29]
	v_cmp_gt_i32_e32 vcc, 16, v34
	s_or_b64 s[90:91], vcc, s[90:91]
	s_andn2_b64 s[28:29], s[92:93], exec
	s_and_b64 s[40:41], s[94:95], exec
	s_or_b64 s[92:93], s[28:29], s[40:41]
	s_andn2_b64 exec, exec, s[90:91]
	s_cbranch_execz .LBB4_2871
.LBB4_2854:                             ;   Parent Loop BB4_47 Depth=1
                                        ;     Parent Loop BB4_2773 Depth=2
                                        ;       Parent Loop BB4_2776 Depth=3
                                        ; =>      This Loop Header: Depth=4
                                        ;           Child Loop BB4_2856 Depth 5
                                        ;           Child Loop BB4_2861 Depth 5
	global_load_dwordx4 v[12:15], v[3:4], off glc slc
	s_and_saveexec_b64 s[30:31], s[94:95]
	s_cbranch_execz .LBB4_2858
; %bb.2855:                             ;   in Loop: Header=BB4_2854 Depth=4
	s_mov_b64 s[34:35], 0
	s_mov_b64 s[94:95], -1
.LBB4_2856:                             ;   Parent Loop BB4_47 Depth=1
                                        ;     Parent Loop BB4_2773 Depth=2
                                        ;       Parent Loop BB4_2776 Depth=3
                                        ;         Parent Loop BB4_2854 Depth=4
                                        ; =>        This Inner Loop Header: Depth=5
	s_cmp_eq_u32 s34, 1
	s_cselect_b64 s[28:29], -1, 0
	v_cndmask_b32_e64 v50, v0, v22, s[28:29]
	v_cndmask_b32_e64 v51, v21, v23, s[28:29]
	v_add_co_u32_e32 v35, vcc, 0x400, v50
	s_cmp_eq_u32 s34, 0
	v_addc_co_u32_e32 v48, vcc, 0, v51, vcc
	s_cselect_b64 vcc, -1, 0
	s_and_b64 s[40:41], exec, s[94:95]
	s_mov_b64 s[34:35], 1
	v_cndmask_b32_e64 v22, v22, v35, s[28:29]
	s_mov_b64 s[94:95], 0
	v_cndmask_b32_e64 v23, v23, v48, s[28:29]
	v_cndmask_b32_e32 v21, v21, v48, vcc
	v_cndmask_b32_e32 v0, v0, v35, vcc
	s_mov_b64 vcc, s[40:41]
	s_waitcnt vmcnt(2)
	global_store_dwordx4 v[50:51], v[8:11], off glc slc
	s_cbranch_vccnz .LBB4_2856
; %bb.2857:                             ;   in Loop: Header=BB4_2854 Depth=4
	buffer_load_dword v35, off, s[0:3], s33 offset:128 ; 4-byte Folded Reload
	s_waitcnt vmcnt(0)
	v_add_co_u32_e32 v0, vcc, v0, v35
	v_addc_co_u32_e32 v21, vcc, v21, v49, vcc
	v_add_co_u32_e32 v22, vcc, v22, v35
	v_addc_co_u32_e32 v23, vcc, v23, v49, vcc
.LBB4_2858:                             ;   in Loop: Header=BB4_2854 Depth=4
	s_or_b64 exec, exec, s[30:31]
	buffer_load_dword v35, off, s[0:3], s33 offset:132 ; 4-byte Folded Reload
	s_waitcnt vmcnt(0)
	v_add_co_u32_e32 v3, vcc, v35, v3
	buffer_load_dword v35, off, s[0:3], s33 offset:136 ; 4-byte Folded Reload
	s_waitcnt vmcnt(0)
	v_addc_co_u32_e32 v4, vcc, v35, v4, vcc
	v_lshlrev_b32_e32 v35, 10, v59
	v_sub_u32_e32 v34, v34, v35
	v_cmp_lt_i32_e64 s[94:95], 15, v34
	s_and_saveexec_b64 s[28:29], s[94:95]
	s_cbranch_execz .LBB4_2860
; %bb.2859:                             ;   in Loop: Header=BB4_2854 Depth=4
	global_load_dwordx4 v[8:11], v[3:4], off glc slc
	v_add_co_u32_e32 v3, vcc, 0x400, v3
	v_addc_co_u32_e32 v4, vcc, 0, v4, vcc
.LBB4_2860:                             ;   in Loop: Header=BB4_2854 Depth=4
	s_or_b64 exec, exec, s[28:29]
	s_mov_b64 s[34:35], 0
	s_mov_b64 s[30:31], -1
.LBB4_2861:                             ;   Parent Loop BB4_47 Depth=1
                                        ;     Parent Loop BB4_2773 Depth=2
                                        ;       Parent Loop BB4_2776 Depth=3
                                        ;         Parent Loop BB4_2854 Depth=4
                                        ; =>        This Inner Loop Header: Depth=5
	s_cmp_eq_u32 s34, 1
	s_cselect_b64 s[28:29], -1, 0
	v_cndmask_b32_e64 v50, v0, v22, s[28:29]
	v_cndmask_b32_e64 v51, v21, v23, s[28:29]
	v_add_co_u32_e32 v35, vcc, 0x400, v50
	s_cmp_eq_u32 s34, 0
	v_addc_co_u32_e32 v48, vcc, 0, v51, vcc
	s_cselect_b64 vcc, -1, 0
	s_and_b64 s[40:41], exec, s[30:31]
	s_mov_b64 s[34:35], 1
	v_cndmask_b32_e64 v22, v22, v35, s[28:29]
	s_mov_b64 s[30:31], 0
	v_cndmask_b32_e64 v23, v23, v48, s[28:29]
	v_cndmask_b32_e32 v21, v21, v48, vcc
	v_cndmask_b32_e32 v0, v0, v35, vcc
	s_mov_b64 vcc, s[40:41]
	global_store_dwordx4 v[50:51], v[12:15], off glc slc
	s_cbranch_vccnz .LBB4_2861
; %bb.2862:                             ;   in Loop: Header=BB4_2854 Depth=4
	v_sub_u32_e32 v20, v20, v59
	s_and_saveexec_b64 s[28:29], s[94:95]
	s_cbranch_execz .LBB4_2853
; %bb.2863:                             ;   in Loop: Header=BB4_2854 Depth=4
	buffer_load_dword v12, off, s[0:3], s33 offset:128 ; 4-byte Folded Reload
	v_sub_u32_e32 v20, v20, v59
	s_waitcnt vmcnt(0)
	v_add_co_u32_e32 v0, vcc, v0, v12
	v_addc_co_u32_e32 v21, vcc, v21, v49, vcc
	v_add_co_u32_e32 v22, vcc, v22, v12
	v_addc_co_u32_e32 v23, vcc, v23, v49, vcc
	v_add_co_u32_e32 v3, vcc, v3, v12
	v_lshlrev_b32_e32 v12, 10, v59
	v_addc_co_u32_e32 v4, vcc, v4, v49, vcc
	v_sub_u32_e32 v34, v34, v12
	s_branch .LBB4_2853
.LBB4_2864:                             ;   in Loop: Header=BB4_2776 Depth=3
	s_mov_b64 s[26:27], 0
	s_and_saveexec_b64 s[28:29], s[10:11]
	s_cbranch_execnz .LBB4_2981
.LBB4_2865:                             ;   in Loop: Header=BB4_2776 Depth=3
	s_or_b64 exec, exec, s[28:29]
                                        ; implicit-def: $vgpr0
	s_and_saveexec_b64 s[28:29], s[24:25]
	s_xor_b64 s[28:29], exec, s[28:29]
	s_cbranch_execz .LBB4_2999
.LBB4_2866:                             ;   in Loop: Header=BB4_2776 Depth=3
	s_waitcnt vmcnt(0)
	v_and_b32_e32 v3, 16, v5
	v_cmp_ne_u32_e32 vcc, 0, v3
	v_and_b32_e32 v0, 16, v5
	s_and_b64 s[40:41], vcc, s[26:27]
	s_and_saveexec_b64 s[26:27], s[40:41]
	s_cbranch_execz .LBB4_2868
; %bb.2867:                             ;   in Loop: Header=BB4_2776 Depth=3
	v_mov_b32_e32 v0, 1
	s_waitcnt lgkmcnt(0)
	buffer_wbinvl1_vol
.LBB4_2868:                             ;   in Loop: Header=BB4_2776 Depth=3
	s_or_b64 exec, exec, s[26:27]
	s_andn2_saveexec_b64 s[26:27], s[28:29]
	s_cbranch_execz .LBB4_3018
	s_branch .LBB4_3000
.LBB4_2869:                             ;   in Loop: Header=BB4_2776 Depth=3
	s_mov_b64 s[78:79], 0
	s_andn2_b64 vcc, exec, s[28:29]
	v_mov_b32_e32 v14, 0
	s_cbranch_vccz .LBB4_2851
.LBB4_2870:                             ;   in Loop: Header=BB4_2776 Depth=3
	buffer_load_dword v3, off, s[0:3], s33 offset:216 ; 4-byte Folded Reload
	buffer_load_dword v23, off, s[0:3], s33 offset:200 ; 4-byte Folded Reload
	v_mov_b32_e32 v15, v56
	s_and_saveexec_b64 s[40:41], s[78:79]
	s_cbranch_execnz .LBB4_2897
	s_branch .LBB4_2922
.LBB4_2871:                             ;   in Loop: Header=BB4_2776 Depth=3
	s_or_b64 exec, exec, s[90:91]
	s_and_b64 s[28:29], s[92:93], exec
.LBB4_2872:                             ;   in Loop: Header=BB4_2776 Depth=3
	s_or_b64 exec, exec, s[88:89]
	s_and_saveexec_b64 s[88:89], s[28:29]
	s_cbranch_execz .LBB4_2875
; %bb.2873:                             ;   in Loop: Header=BB4_2776 Depth=3
	s_mov_b64 s[92:93], 0
	s_mov_b64 s[90:91], -1
	s_waitcnt vmcnt(0)
.LBB4_2874:                             ;   Parent Loop BB4_47 Depth=1
                                        ;     Parent Loop BB4_2773 Depth=2
                                        ;       Parent Loop BB4_2776 Depth=3
                                        ; =>      This Inner Loop Header: Depth=4
	s_cmp_eq_u32 s92, 1
	s_cselect_b64 s[28:29], -1, 0
	v_cndmask_b32_e64 v4, v21, v23, s[28:29]
	v_cndmask_b32_e64 v3, v0, v22, s[28:29]
	global_store_dwordx4 v[3:4], v[8:11], off glc slc
	v_add_co_u32_e32 v3, vcc, 0x400, v3
	s_cmp_eq_u32 s92, 0
	v_addc_co_u32_e32 v4, vcc, 0, v4, vcc
	s_cselect_b64 vcc, -1, 0
	s_and_b64 s[40:41], exec, s[90:91]
	s_mov_b64 s[92:93], 1
	v_cndmask_b32_e64 v22, v22, v3, s[28:29]
	s_mov_b64 s[90:91], 0
	v_cndmask_b32_e64 v23, v23, v4, s[28:29]
	v_cndmask_b32_e32 v21, v21, v4, vcc
	v_cndmask_b32_e32 v0, v0, v3, vcc
	s_mov_b64 vcc, s[40:41]
	s_cbranch_vccnz .LBB4_2874
.LBB4_2875:                             ;   in Loop: Header=BB4_2776 Depth=3
	s_or_b64 exec, exec, s[88:89]
	v_and_b32_e32 v4, 14, v56
	v_cndmask_b32_e64 v0, v19, v4, s[26:27]
	v_cmp_ne_u32_e32 vcc, 0, v0
                                        ; implicit-def: $vgpr15
                                        ; implicit-def: $vgpr14
                                        ; implicit-def: $vgpr3
                                        ; implicit-def: $vgpr23
	s_and_saveexec_b64 s[88:89], vcc
	s_cbranch_execz .LBB4_2896
; %bb.2876:                             ;   in Loop: Header=BB4_2776 Depth=3
	v_sub_u32_e32 v3, v19, v4
	buffer_load_dword v4, off, s[0:3], s33 offset:200 ; 4-byte Folded Reload
	v_cndmask_b32_e64 v3, 0, v3, s[26:27]
	v_cmp_lt_i32_e32 vcc, 0, v20
	v_add_u32_e32 v18, v3, v18
	v_cndmask_b32_e32 v3, 0, v59, vcc
	v_sub_u32_e32 v3, v3, v20
	s_mov_b64 s[28:29], 0
	s_waitcnt vmcnt(0)
	v_lshl_or_b32 v3, v3, 6, v4
	v_ashrrev_i32_e32 v4, 31, v3
	v_lshrrev_b32_e32 v4, 26, v4
	v_add_u32_e32 v4, v3, v4
	v_ashrrev_i32_e32 v8, 6, v4
	v_and_b32_e32 v4, 0xffffffc0, v4
	v_sub_u32_e32 v19, v3, v4
	v_lshlrev_b32_e32 v3, 4, v19
	v_lshl_add_u32 v4, v8, 10, v3
	v_add_u32_e32 v3, v4, v18
	v_sub_u32_e32 v51, v0, v4
	v_ashrrev_i32_e32 v4, 31, v0
	v_lshrrev_b32_e32 v4, 22, v4
	v_add_u32_e32 v4, v0, v4
	v_and_b32_e32 v20, 0xfffffc00, v4
	v_sub_u32_e32 v21, v0, v20
	v_ashrrev_i32_e32 v9, 10, v4
	v_cmp_lt_i32_e64 s[26:27], 15, v21
	v_addc_co_u32_e64 v9, vcc, 0, v9, s[26:27]
	v_ashrrev_i32_e32 v4, 31, v3
	v_add_co_u32_e32 v23, vcc, v3, v60
	v_addc_co_u32_e32 v34, vcc, v4, v61, vcc
	v_add_co_u32_e32 v35, vcc, v3, v16
	v_addc_co_u32_e32 v50, vcc, v4, v17, vcc
	v_sub_u32_e32 v22, v9, v8
	v_cmp_lt_i32_e32 vcc, 15, v51
                                        ; implicit-def: $vgpr8_vgpr9
	s_and_saveexec_b64 s[90:91], vcc
	s_cbranch_execz .LBB4_2890
; %bb.2877:                             ;   in Loop: Header=BB4_2776 Depth=3
	v_add_co_u32_e32 v3, vcc, v3, v29
	v_addc_co_u32_e32 v4, vcc, v4, v30, vcc
	s_mov_b64 s[30:31], 0
	s_mov_b64 s[92:93], 0
                                        ; implicit-def: $sgpr94_sgpr95
                                        ; implicit-def: $vgpr8_vgpr9
	s_branch .LBB4_2879
.LBB4_2878:                             ;   in Loop: Header=BB4_2879 Depth=4
	s_or_b64 exec, exec, s[28:29]
	v_cmp_gt_i32_e32 vcc, 16, v51
	s_or_b64 s[92:93], vcc, s[92:93]
	s_andn2_b64 s[28:29], s[94:95], exec
	s_and_b64 s[40:41], s[30:31], exec
	s_or_b64 s[94:95], s[28:29], s[40:41]
	s_andn2_b64 exec, exec, s[92:93]
	s_cbranch_execz .LBB4_2889
.LBB4_2879:                             ;   Parent Loop BB4_47 Depth=1
                                        ;     Parent Loop BB4_2773 Depth=2
                                        ;       Parent Loop BB4_2776 Depth=3
                                        ; =>      This Loop Header: Depth=4
                                        ;           Child Loop BB4_2881 Depth 5
                                        ;           Child Loop BB4_2886 Depth 5
	global_load_dwordx4 v[12:15], v[3:4], off glc slc
	s_and_saveexec_b64 s[34:35], s[30:31]
	s_cbranch_execz .LBB4_2883
; %bb.2880:                             ;   in Loop: Header=BB4_2879 Depth=4
	s_mov_b64 s[36:37], 0
	s_mov_b64 s[30:31], -1
.LBB4_2881:                             ;   Parent Loop BB4_47 Depth=1
                                        ;     Parent Loop BB4_2773 Depth=2
                                        ;       Parent Loop BB4_2776 Depth=3
                                        ;         Parent Loop BB4_2879 Depth=4
                                        ; =>        This Inner Loop Header: Depth=5
	s_cmp_eq_u32 s36, 1
	s_cselect_b64 s[28:29], -1, 0
	v_cndmask_b32_e64 v52, v23, v35, s[28:29]
	v_cndmask_b32_e64 v53, v34, v50, s[28:29]
	v_add_co_u32_e32 v48, vcc, 0x400, v52
	s_cmp_eq_u32 s36, 0
	s_waitcnt vmcnt(2)
	global_store_dwordx4 v[52:53], v[8:11], off glc slc
	v_addc_co_u32_e32 v52, vcc, 0, v53, vcc
	s_cselect_b64 vcc, -1, 0
	s_and_b64 s[40:41], exec, s[30:31]
	s_mov_b64 s[36:37], 1
	v_cndmask_b32_e64 v35, v35, v48, s[28:29]
	s_mov_b64 s[30:31], 0
	v_cndmask_b32_e64 v50, v50, v52, s[28:29]
	v_cndmask_b32_e32 v34, v34, v52, vcc
	v_cndmask_b32_e32 v23, v23, v48, vcc
	s_mov_b64 vcc, s[40:41]
	s_cbranch_vccnz .LBB4_2881
; %bb.2882:                             ;   in Loop: Header=BB4_2879 Depth=4
	buffer_load_dword v48, off, s[0:3], s33 offset:128 ; 4-byte Folded Reload
	s_waitcnt vmcnt(0)
	v_add_co_u32_e32 v23, vcc, v23, v48
	v_addc_co_u32_e32 v34, vcc, v34, v49, vcc
	v_add_co_u32_e32 v35, vcc, v35, v48
	v_addc_co_u32_e32 v50, vcc, v50, v49, vcc
.LBB4_2883:                             ;   in Loop: Header=BB4_2879 Depth=4
	s_or_b64 exec, exec, s[34:35]
	buffer_load_dword v48, off, s[0:3], s33 offset:132 ; 4-byte Folded Reload
	s_waitcnt vmcnt(0)
	v_add_co_u32_e32 v3, vcc, v48, v3
	buffer_load_dword v48, off, s[0:3], s33 offset:136 ; 4-byte Folded Reload
	s_waitcnt vmcnt(0)
	v_addc_co_u32_e32 v4, vcc, v48, v4, vcc
	v_lshlrev_b32_e32 v48, 10, v59
	v_sub_u32_e32 v51, v51, v48
	v_cmp_lt_i32_e64 s[30:31], 15, v51
	s_and_saveexec_b64 s[28:29], s[30:31]
	s_cbranch_execz .LBB4_2885
; %bb.2884:                             ;   in Loop: Header=BB4_2879 Depth=4
	global_load_dwordx4 v[8:11], v[3:4], off glc slc
	v_add_co_u32_e32 v3, vcc, 0x400, v3
	v_addc_co_u32_e32 v4, vcc, 0, v4, vcc
.LBB4_2885:                             ;   in Loop: Header=BB4_2879 Depth=4
	s_or_b64 exec, exec, s[28:29]
	s_mov_b64 s[36:37], 0
	s_mov_b64 s[34:35], -1
.LBB4_2886:                             ;   Parent Loop BB4_47 Depth=1
                                        ;     Parent Loop BB4_2773 Depth=2
                                        ;       Parent Loop BB4_2776 Depth=3
                                        ;         Parent Loop BB4_2879 Depth=4
                                        ; =>        This Inner Loop Header: Depth=5
	s_cmp_eq_u32 s36, 1
	s_cselect_b64 s[28:29], -1, 0
	v_cndmask_b32_e64 v52, v23, v35, s[28:29]
	v_cndmask_b32_e64 v53, v34, v50, s[28:29]
	v_add_co_u32_e32 v48, vcc, 0x400, v52
	s_cmp_eq_u32 s36, 0
	global_store_dwordx4 v[52:53], v[12:15], off glc slc
	v_addc_co_u32_e32 v52, vcc, 0, v53, vcc
	s_cselect_b64 vcc, -1, 0
	s_and_b64 s[40:41], exec, s[34:35]
	s_mov_b64 s[36:37], 1
	v_cndmask_b32_e64 v35, v35, v48, s[28:29]
	s_mov_b64 s[34:35], 0
	v_cndmask_b32_e64 v50, v50, v52, s[28:29]
	v_cndmask_b32_e32 v34, v34, v52, vcc
	v_cndmask_b32_e32 v23, v23, v48, vcc
	s_mov_b64 vcc, s[40:41]
	s_cbranch_vccnz .LBB4_2886
; %bb.2887:                             ;   in Loop: Header=BB4_2879 Depth=4
	v_sub_u32_e32 v22, v22, v59
	s_and_saveexec_b64 s[28:29], s[30:31]
	s_cbranch_execz .LBB4_2878
; %bb.2888:                             ;   in Loop: Header=BB4_2879 Depth=4
	buffer_load_dword v12, off, s[0:3], s33 offset:128 ; 4-byte Folded Reload
	v_sub_u32_e32 v22, v22, v59
	s_waitcnt vmcnt(0)
	v_add_co_u32_e32 v23, vcc, v23, v12
	v_addc_co_u32_e32 v34, vcc, v34, v49, vcc
	v_add_co_u32_e32 v35, vcc, v35, v12
	v_addc_co_u32_e32 v50, vcc, v50, v49, vcc
	v_add_co_u32_e32 v3, vcc, v3, v12
	v_lshlrev_b32_e32 v12, 10, v59
	v_addc_co_u32_e32 v4, vcc, v4, v49, vcc
	v_sub_u32_e32 v51, v51, v12
	s_branch .LBB4_2878
.LBB4_2889:                             ;   in Loop: Header=BB4_2776 Depth=3
	s_or_b64 exec, exec, s[92:93]
	s_and_b64 s[28:29], s[94:95], exec
.LBB4_2890:                             ;   in Loop: Header=BB4_2776 Depth=3
	s_or_b64 exec, exec, s[90:91]
	s_and_saveexec_b64 s[90:91], s[28:29]
	s_cbranch_execz .LBB4_2893
; %bb.2891:                             ;   in Loop: Header=BB4_2776 Depth=3
	s_mov_b64 s[94:95], 0
	s_mov_b64 s[92:93], -1
	s_waitcnt vmcnt(0)
.LBB4_2892:                             ;   Parent Loop BB4_47 Depth=1
                                        ;     Parent Loop BB4_2773 Depth=2
                                        ;       Parent Loop BB4_2776 Depth=3
                                        ; =>      This Inner Loop Header: Depth=4
	s_cmp_eq_u32 s94, 1
	s_cselect_b64 s[28:29], -1, 0
	v_cndmask_b32_e64 v4, v34, v50, s[28:29]
	v_cndmask_b32_e64 v3, v23, v35, s[28:29]
	global_store_dwordx4 v[3:4], v[8:11], off glc slc
	v_add_co_u32_e32 v3, vcc, 0x400, v3
	s_cmp_eq_u32 s94, 0
	v_addc_co_u32_e32 v4, vcc, 0, v4, vcc
	s_cselect_b64 vcc, -1, 0
	s_and_b64 s[40:41], exec, s[92:93]
	s_mov_b64 s[94:95], 1
	v_cndmask_b32_e64 v35, v35, v3, s[28:29]
	s_mov_b64 s[92:93], 0
	v_cndmask_b32_e64 v50, v50, v4, s[28:29]
	v_cndmask_b32_e32 v34, v34, v4, vcc
	v_cndmask_b32_e32 v23, v23, v3, vcc
	s_mov_b64 vcc, s[40:41]
	s_cbranch_vccnz .LBB4_2892
.LBB4_2893:                             ;   in Loop: Header=BB4_2776 Depth=3
	s_or_b64 exec, exec, s[90:91]
	v_and_b32_e32 v0, 14, v0
	v_cndmask_b32_e64 v15, v21, v0, s[26:27]
	v_cmp_ne_u32_e32 vcc, 0, v15
	s_mov_b64 s[28:29], s[78:79]
                                        ; implicit-def: $vgpr14
                                        ; implicit-def: $vgpr3
                                        ; implicit-def: $vgpr23
	s_and_saveexec_b64 s[40:41], vcc
	s_cbranch_execz .LBB4_2895
; %bb.2894:                             ;   in Loop: Header=BB4_2776 Depth=3
	v_sub_u32_e32 v0, v21, v0
	v_cndmask_b32_e64 v0, 0, v0, s[26:27]
	v_cmp_lt_i32_e32 vcc, 0, v22
	v_add3_u32 v14, v20, v18, v0
	v_cndmask_b32_e32 v0, 0, v59, vcc
	v_sub_u32_e32 v0, v0, v22
	v_lshl_add_u32 v3, v0, 6, v19
	v_ashrrev_i32_e32 v0, 31, v3
	v_lshrrev_b32_e32 v0, 26, v0
	v_add_u32_e32 v0, v3, v0
	v_and_b32_e32 v0, 0xffffffc0, v0
	v_sub_u32_e32 v23, v3, v0
	s_or_b64 s[28:29], s[78:79], exec
.LBB4_2895:                             ;   in Loop: Header=BB4_2776 Depth=3
	s_or_b64 exec, exec, s[40:41]
	s_andn2_b64 s[26:27], s[78:79], exec
	s_and_b64 s[28:29], s[28:29], exec
	s_or_b64 s[78:79], s[26:27], s[28:29]
.LBB4_2896:                             ;   in Loop: Header=BB4_2776 Depth=3
	s_or_b64 exec, exec, s[88:89]
	s_and_saveexec_b64 s[40:41], s[78:79]
	s_cbranch_execz .LBB4_2922
.LBB4_2897:                             ;   in Loop: Header=BB4_2776 Depth=3
	s_waitcnt vmcnt(0)
	v_ashrrev_i32_e32 v0, 31, v3
	v_lshrrev_b32_e32 v0, 26, v0
	v_add_u32_e32 v0, v3, v0
	v_ashrrev_i32_e32 v12, 6, v0
	v_lshlrev_b32_e32 v0, 9, v12
	s_waitcnt vmcnt(0)
	v_lshlrev_b32_e32 v3, 1, v23
	v_add3_u32 v10, v14, v3, v0
	v_ashrrev_i32_e32 v0, 31, v15
	v_lshrrev_b32_e32 v0, 23, v0
	v_ashrrev_i32_e32 v11, 31, v10
	v_add_co_u32_e32 v8, vcc, v60, v10
	v_add_u32_e32 v0, v15, v0
	v_addc_co_u32_e32 v9, vcc, v61, v11, vcc
	v_ashrrev_i32_e32 v0, 9, v0
	v_add_co_u32_e32 v3, vcc, v16, v10
	v_addc_co_u32_e32 v4, vcc, v17, v11, vcc
	v_sub_u32_e32 v12, v0, v12
	v_cmp_lt_i32_e32 vcc, 0, v12
	s_mov_b64 s[28:29], 0
                                        ; implicit-def: $vgpr18
                                        ; implicit-def: $vgpr19
                                        ; implicit-def: $vgpr20
                                        ; implicit-def: $vgpr21
	s_and_saveexec_b64 s[26:27], vcc
	s_cbranch_execz .LBB4_2905
; %bb.2898:                             ;   in Loop: Header=BB4_2776 Depth=3
	v_add_co_u32_e32 v10, vcc, v10, v29
	v_addc_co_u32_e32 v11, vcc, v11, v30, vcc
	s_mov_b64 s[88:89], 0
                                        ; implicit-def: $sgpr78_sgpr79
                                        ; implicit-def: $vgpr18
                                        ; implicit-def: $vgpr19
                                        ; implicit-def: $vgpr20
                                        ; implicit-def: $vgpr21
	s_branch .LBB4_2900
.LBB4_2899:                             ;   in Loop: Header=BB4_2900 Depth=4
	s_or_b64 exec, exec, s[90:91]
	s_waitcnt vmcnt(0) lgkmcnt(0)
	flat_store_short v[8:9], v22 glc slc
	flat_store_short v[8:9], v34 offset:128 glc slc
	flat_store_short v[8:9], v35 offset:256 glc slc
	;; [unrolled: 1-line block ×3, first 2 shown]
	v_add_co_u32_e32 v8, vcc, 0x200, v8
	v_addc_co_u32_e32 v9, vcc, 0, v9, vcc
	flat_store_short v[3:4], v22 glc slc
	flat_store_short v[3:4], v34 offset:128 glc slc
	flat_store_short v[3:4], v35 offset:256 glc slc
	;; [unrolled: 1-line block ×3, first 2 shown]
	v_add_co_u32_e32 v3, vcc, 0x200, v3
	v_addc_co_u32_e32 v4, vcc, 0, v4, vcc
	v_add_co_u32_e32 v22, vcc, v8, v54
	v_addc_co_u32_e32 v34, vcc, v9, v55, vcc
	;; [unrolled: 2-line block ×4, first 2 shown]
	v_sub_u32_e32 v12, v51, v52
	v_cmp_gt_i32_e32 vcc, 1, v12
	s_or_b64 s[28:29], vcc, s[28:29]
	s_andn2_b64 s[78:79], s[78:79], exec
	s_and_b64 s[90:91], s[88:89], exec
	v_cndmask_b32_e64 v9, v9, v34, s[88:89]
	v_cndmask_b32_e64 v8, v8, v22, s[88:89]
	;; [unrolled: 1-line block ×4, first 2 shown]
	s_or_b64 s[78:79], s[78:79], s[90:91]
	s_andn2_b64 exec, exec, s[28:29]
	s_cbranch_execz .LBB4_2904
.LBB4_2900:                             ;   Parent Loop BB4_47 Depth=1
                                        ;     Parent Loop BB4_2773 Depth=2
                                        ;       Parent Loop BB4_2776 Depth=3
                                        ; =>      This Inner Loop Header: Depth=4
	flat_load_ushort v22, v[10:11] glc slc
	flat_load_ushort v34, v[10:11] offset:128 glc slc
	flat_load_ushort v35, v[10:11] offset:256 glc slc
	;; [unrolled: 1-line block ×3, first 2 shown]
	s_and_saveexec_b64 s[90:91], s[88:89]
	s_cbranch_execz .LBB4_2902
; %bb.2901:                             ;   in Loop: Header=BB4_2900 Depth=4
	flat_store_short v[8:9], v18 glc slc
	flat_store_short v[8:9], v19 offset:128 glc slc
	flat_store_short v[8:9], v20 offset:256 glc slc
	;; [unrolled: 1-line block ×3, first 2 shown]
	flat_store_short v[3:4], v18 glc slc
	flat_store_short v[3:4], v19 offset:128 glc slc
	flat_store_short v[3:4], v20 offset:256 glc slc
	;; [unrolled: 1-line block ×3, first 2 shown]
	v_add_co_u32_e32 v8, vcc, v8, v1
	v_addc_co_u32_e32 v9, vcc, v9, v42, vcc
	v_add_co_u32_e32 v3, vcc, v3, v1
	v_addc_co_u32_e32 v4, vcc, v4, v42, vcc
.LBB4_2902:                             ;   in Loop: Header=BB4_2900 Depth=4
	s_or_b64 exec, exec, s[90:91]
	v_add_co_u32_e32 v10, vcc, v10, v1
	v_sub_u32_e32 v51, v12, v59
	v_mov_b32_e32 v12, 0
	v_addc_co_u32_e32 v11, vcc, v11, v42, vcc
	v_mov_b32_e32 v52, 0
	v_mov_b32_e32 v13, 0
	v_cmp_lt_i32_e64 s[88:89], 0, v51
	s_and_saveexec_b64 s[90:91], s[88:89]
	s_cbranch_execz .LBB4_2899
; %bb.2903:                             ;   in Loop: Header=BB4_2900 Depth=4
	flat_load_ushort v18, v[10:11] glc slc
	flat_load_ushort v19, v[10:11] offset:128 glc slc
	flat_load_ushort v20, v[10:11] offset:256 glc slc
	;; [unrolled: 1-line block ×3, first 2 shown]
	v_add_co_u32_e32 v10, vcc, 0x200, v10
	v_mov_b32_e32 v12, v54
	v_addc_co_u32_e32 v11, vcc, 0, v11, vcc
	v_mov_b32_e32 v52, v59
	v_mov_b32_e32 v13, v55
	s_branch .LBB4_2899
.LBB4_2904:                             ;   in Loop: Header=BB4_2776 Depth=3
	s_or_b64 exec, exec, s[28:29]
	s_and_b64 s[28:29], s[78:79], exec
.LBB4_2905:                             ;   in Loop: Header=BB4_2776 Depth=3
	s_or_b64 exec, exec, s[26:27]
	s_and_saveexec_b64 s[26:27], s[28:29]
	s_cbranch_execz .LBB4_2907
; %bb.2906:                             ;   in Loop: Header=BB4_2776 Depth=3
	flat_store_short v[8:9], v18 glc slc
	flat_store_short v[8:9], v19 offset:128 glc slc
	flat_store_short v[8:9], v20 offset:256 glc slc
	;; [unrolled: 1-line block ×3, first 2 shown]
	flat_store_short v[3:4], v18 glc slc
	flat_store_short v[3:4], v19 offset:128 glc slc
	flat_store_short v[3:4], v20 offset:256 glc slc
	flat_store_short v[3:4], v21 offset:384 glc slc
.LBB4_2907:                             ;   in Loop: Header=BB4_2776 Depth=3
	s_or_b64 exec, exec, s[26:27]
	v_lshlrev_b32_e32 v0, 9, v0
	v_cmp_ne_u32_e32 vcc, v15, v0
	s_and_b64 exec, exec, vcc
	s_cbranch_execz .LBB4_2922
; %bb.2908:                             ;   in Loop: Header=BB4_2776 Depth=3
	v_lshlrev_b32_e32 v3, 6, v12
	v_sub_u32_e32 v3, v23, v3
	v_ashrrev_i32_e32 v4, 31, v3
	v_lshrrev_b32_e32 v4, 26, v4
	v_add_u32_e32 v4, v3, v4
	v_and_b32_e32 v8, 0x7fffffc0, v4
	v_sub_u32_e32 v3, v3, v8
	v_lshlrev_b32_e32 v4, 1, v4
	v_and_b32_e32 v4, 0xffffff80, v4
	v_lshlrev_b32_e32 v3, 1, v3
	v_add3_u32 v0, v4, v3, v0
	v_sub_u32_e32 v13, v15, v0
	v_cmp_lt_i32_e32 vcc, 1, v13
	s_and_b64 exec, exec, vcc
	s_cbranch_execz .LBB4_2922
; %bb.2909:                             ;   in Loop: Header=BB4_2776 Depth=3
	v_add_u32_e32 v0, v0, v14
	v_ashrrev_i32_e32 v4, 31, v0
	v_add_co_u32_e32 v8, vcc, v60, v0
	v_addc_co_u32_e32 v9, vcc, v61, v4, vcc
	v_add_co_u32_e32 v10, vcc, v16, v0
	v_addc_co_u32_e32 v11, vcc, v17, v4, vcc
	;; [unrolled: 2-line block ×3, first 2 shown]
	s_mov_b64 s[90:91], 0
	s_mov_b64 s[78:79], 0
                                        ; implicit-def: $sgpr88_sgpr89
                                        ; implicit-def: $vgpr0
.LBB4_2910:                             ;   Parent Loop BB4_47 Depth=1
                                        ;     Parent Loop BB4_2773 Depth=2
                                        ;       Parent Loop BB4_2776 Depth=3
                                        ; =>      This Loop Header: Depth=4
                                        ;           Child Loop BB4_2912 Depth 5
                                        ;           Child Loop BB4_2917 Depth 5
	flat_load_ushort v12, v[3:4] glc slc
	s_and_saveexec_b64 s[92:93], s[90:91]
	s_cbranch_execz .LBB4_2914
; %bb.2911:                             ;   in Loop: Header=BB4_2910 Depth=4
	s_mov_b64 s[94:95], 0
	s_mov_b64 s[90:91], -1
.LBB4_2912:                             ;   Parent Loop BB4_47 Depth=1
                                        ;     Parent Loop BB4_2773 Depth=2
                                        ;       Parent Loop BB4_2776 Depth=3
                                        ;         Parent Loop BB4_2910 Depth=4
                                        ; =>        This Inner Loop Header: Depth=5
	s_cmp_eq_u32 s94, 1
	s_cselect_b64 s[26:27], -1, 0
	v_cndmask_b32_e64 v15, v9, v11, s[26:27]
	v_cndmask_b32_e64 v14, v8, v10, s[26:27]
	s_waitcnt vmcnt(0)
	flat_store_short v[14:15], v0 glc slc
	v_add_co_u32_e32 v14, vcc, 0x80, v14
	s_cmp_eq_u32 s94, 0
	v_addc_co_u32_e32 v15, vcc, 0, v15, vcc
	s_cselect_b64 vcc, -1, 0
	s_and_b64 s[28:29], exec, s[90:91]
	s_mov_b64 s[94:95], 1
	v_cndmask_b32_e64 v10, v10, v14, s[26:27]
	s_mov_b64 s[90:91], 0
	v_cndmask_b32_e64 v11, v11, v15, s[26:27]
	v_cndmask_b32_e32 v9, v9, v15, vcc
	v_cndmask_b32_e32 v8, v8, v14, vcc
	s_mov_b64 vcc, s[28:29]
	s_cbranch_vccnz .LBB4_2912
; %bb.2913:                             ;   in Loop: Header=BB4_2910 Depth=4
	v_add_co_u32_e32 v8, vcc, v8, v40
	v_addc_co_u32_e32 v9, vcc, v9, v41, vcc
	v_add_co_u32_e32 v10, vcc, v10, v40
	v_addc_co_u32_e32 v11, vcc, v11, v41, vcc
.LBB4_2914:                             ;   in Loop: Header=BB4_2910 Depth=4
	s_or_b64 exec, exec, s[92:93]
	buffer_load_dword v14, off, s[0:3], s33 offset:140 ; 4-byte Folded Reload
	s_waitcnt vmcnt(0)
	v_add_co_u32_e32 v3, vcc, v14, v3
	buffer_load_dword v14, off, s[0:3], s33 offset:144 ; 4-byte Folded Reload
	s_waitcnt vmcnt(0)
	v_addc_co_u32_e32 v4, vcc, v14, v4, vcc
	v_lshlrev_b32_e32 v14, 7, v59
	v_sub_u32_e32 v13, v13, v14
	v_cmp_lt_i32_e64 s[90:91], 1, v13
	s_and_saveexec_b64 s[26:27], s[90:91]
	s_cbranch_execz .LBB4_2916
; %bb.2915:                             ;   in Loop: Header=BB4_2910 Depth=4
	flat_load_ushort v0, v[3:4] glc slc
	v_add_co_u32_e32 v3, vcc, 0x80, v3
	v_addc_co_u32_e32 v4, vcc, 0, v4, vcc
.LBB4_2916:                             ;   in Loop: Header=BB4_2910 Depth=4
	s_or_b64 exec, exec, s[26:27]
	s_mov_b64 s[94:95], 0
	s_mov_b64 s[92:93], -1
.LBB4_2917:                             ;   Parent Loop BB4_47 Depth=1
                                        ;     Parent Loop BB4_2773 Depth=2
                                        ;       Parent Loop BB4_2776 Depth=3
                                        ;         Parent Loop BB4_2910 Depth=4
                                        ; =>        This Inner Loop Header: Depth=5
	s_cmp_eq_u32 s94, 1
	s_cselect_b64 s[26:27], -1, 0
	v_cndmask_b32_e64 v15, v9, v11, s[26:27]
	v_cndmask_b32_e64 v14, v8, v10, s[26:27]
	s_waitcnt lgkmcnt(0)
	flat_store_short v[14:15], v12 glc slc
	v_add_co_u32_e32 v14, vcc, 0x80, v14
	s_cmp_eq_u32 s94, 0
	v_addc_co_u32_e32 v15, vcc, 0, v15, vcc
	s_cselect_b64 vcc, -1, 0
	s_and_b64 s[28:29], exec, s[92:93]
	s_mov_b64 s[94:95], 1
	v_cndmask_b32_e64 v10, v10, v14, s[26:27]
	s_mov_b64 s[92:93], 0
	v_cndmask_b32_e64 v11, v11, v15, s[26:27]
	v_cndmask_b32_e32 v9, v9, v15, vcc
	v_cndmask_b32_e32 v8, v8, v14, vcc
	s_mov_b64 vcc, s[28:29]
	s_cbranch_vccnz .LBB4_2917
; %bb.2918:                             ;   in Loop: Header=BB4_2910 Depth=4
	v_add_co_u32_e32 v12, vcc, v8, v40
	v_addc_co_u32_e32 v14, vcc, v9, v41, vcc
	v_add_co_u32_e32 v15, vcc, v10, v40
	v_addc_co_u32_e32 v16, vcc, v11, v41, vcc
	v_cndmask_b32_e64 v18, 0, v40, s[90:91]
	v_cndmask_b32_e64 v17, 0, v41, s[90:91]
	v_add_co_u32_e32 v3, vcc, v3, v18
	v_addc_co_u32_e32 v4, vcc, v4, v17, vcc
	v_lshlrev_b32_e32 v17, 7, v59
	v_cndmask_b32_e64 v17, 0, v17, s[90:91]
	v_sub_u32_e32 v13, v13, v17
	v_cmp_gt_i32_e32 vcc, 2, v13
	s_or_b64 s[78:79], vcc, s[78:79]
	s_andn2_b64 s[26:27], s[88:89], exec
	s_and_b64 s[28:29], s[90:91], exec
	v_cndmask_b32_e64 v11, v11, v16, s[90:91]
	v_cndmask_b32_e64 v10, v10, v15, s[90:91]
	;; [unrolled: 1-line block ×4, first 2 shown]
	s_or_b64 s[88:89], s[26:27], s[28:29]
	s_andn2_b64 exec, exec, s[78:79]
	s_cbranch_execnz .LBB4_2910
; %bb.2919:                             ;   in Loop: Header=BB4_2776 Depth=3
	s_or_b64 exec, exec, s[78:79]
	s_and_b64 exec, exec, s[88:89]
	s_cbranch_execz .LBB4_2922
; %bb.2920:                             ;   in Loop: Header=BB4_2776 Depth=3
	s_mov_b64 s[88:89], 0
	s_mov_b64 s[78:79], -1
	s_waitcnt vmcnt(0)
.LBB4_2921:                             ;   Parent Loop BB4_47 Depth=1
                                        ;     Parent Loop BB4_2773 Depth=2
                                        ;       Parent Loop BB4_2776 Depth=3
                                        ; =>      This Inner Loop Header: Depth=4
	s_cmp_eq_u32 s88, 1
	s_cselect_b64 s[26:27], -1, 0
	v_cndmask_b32_e64 v4, v14, v16, s[26:27]
	v_cndmask_b32_e64 v3, v12, v15, s[26:27]
	flat_store_short v[3:4], v0 glc slc
	v_add_co_u32_e32 v3, vcc, 0x80, v3
	s_cmp_eq_u32 s88, 0
	v_addc_co_u32_e32 v4, vcc, 0, v4, vcc
	s_cselect_b64 vcc, -1, 0
	s_and_b64 s[28:29], exec, s[78:79]
	s_mov_b64 s[88:89], 1
	v_cndmask_b32_e64 v15, v15, v3, s[26:27]
	s_mov_b64 s[78:79], 0
	v_cndmask_b32_e32 v14, v14, v4, vcc
	v_cndmask_b32_e32 v12, v12, v3, vcc
	v_cndmask_b32_e64 v16, v16, v4, s[26:27]
	s_mov_b64 vcc, s[28:29]
	s_cbranch_vccnz .LBB4_2921
.LBB4_2922:                             ;   in Loop: Header=BB4_2776 Depth=3
	s_or_b64 exec, exec, s[40:41]
	s_mov_b64 s[26:27], 0
.LBB4_2923:                             ;   in Loop: Header=BB4_2776 Depth=3
	s_and_b64 vcc, exec, s[26:27]
	s_cbranch_vccz .LBB4_2937
; %bb.2924:                             ;   in Loop: Header=BB4_2776 Depth=3
	s_mov_b64 s[26:27], -1
	s_and_saveexec_b64 s[28:29], s[20:21]
	s_cbranch_execz .LBB4_2926
; %bb.2925:                             ;   in Loop: Header=BB4_2776 Depth=3
	s_waitcnt vmcnt(0)
	ds_read_b32 v0, v0 offset:720
	s_waitcnt lgkmcnt(0)
	v_and_b32_e32 v0, 15, v0
	v_cmp_eq_u32_e32 vcc, 0, v0
	s_orn2_b64 s[26:27], vcc, exec
.LBB4_2926:                             ;   in Loop: Header=BB4_2776 Depth=3
	s_or_b64 exec, exec, s[28:29]
	s_and_saveexec_b64 s[28:29], s[18:19]
	s_cbranch_execz .LBB4_2928
; %bb.2927:                             ;   in Loop: Header=BB4_2776 Depth=3
	s_waitcnt vmcnt(0)
	ds_read_b32 v0, v0 offset:784
	s_waitcnt lgkmcnt(0)
	v_and_b32_e32 v0, 15, v0
	v_cmp_eq_u32_e32 vcc, 0, v0
	s_and_b64 s[40:41], s[26:27], vcc
	s_andn2_b64 s[26:27], s[26:27], exec
	s_and_b64 s[40:41], s[40:41], exec
	s_or_b64 s[26:27], s[26:27], s[40:41]
.LBB4_2928:                             ;   in Loop: Header=BB4_2776 Depth=3
	s_or_b64 exec, exec, s[28:29]
	s_xor_b64 s[26:27], s[26:27], -1
	s_waitcnt vmcnt(0)
	v_cndmask_b32_e64 v0, 0, 1, s[26:27]
	s_mov_b64 s[40:41], -1
	v_cmp_ne_u32_e32 vcc, 0, v0
	s_cbranch_vccz .LBB4_2938
; %bb.2929:                             ;   in Loop: Header=BB4_2776 Depth=3
	s_mov_b64 s[28:29], -1
	v_mov_b32_e32 v0, 0
	s_cbranch_execnz .LBB4_2939
.LBB4_2930:                             ;   in Loop: Header=BB4_2776 Depth=3
	buffer_load_dword v3, off, s[0:3], s33 offset:220 ; 4-byte Folded Reload
	v_ashrrev_i32_e32 v0, 31, v56
	v_lshrrev_b32_e32 v0, 21, v0
	v_add_u32_e32 v0, v56, v0
	v_ashrrev_i32_e32 v0, 11, v0
	s_mov_b64 s[40:41], 0
                                        ; implicit-def: $vgpr8_vgpr9
                                        ; implicit-def: $vgpr12_vgpr13
	s_waitcnt vmcnt(0)
	v_sub_u32_e32 v34, v0, v3
	buffer_load_dword v3, off, s[0:3], s33 offset:224 ; 4-byte Folded Reload
	s_waitcnt vmcnt(0)
	v_add_co_u32_e32 v3, vcc, v60, v3
	v_addc_co_u32_e32 v4, vcc, 0, v61, vcc
	v_cmp_lt_i32_e32 vcc, 0, v34
	s_and_saveexec_b64 s[26:27], vcc
	s_cbranch_execz .LBB4_2941
; %bb.2931:                             ;   in Loop: Header=BB4_2776 Depth=3
	buffer_load_dword v8, off, s[0:3], s33 offset:224 ; 4-byte Folded Reload
	s_mov_b64 s[88:89], 0
                                        ; implicit-def: $sgpr78_sgpr79
                                        ; implicit-def: $vgpr12_vgpr13
	s_waitcnt vmcnt(0)
	v_add_co_u32_e32 v50, vcc, v29, v8
	v_addc_co_u32_e32 v51, vcc, 0, v30, vcc
                                        ; implicit-def: $vgpr8_vgpr9
	s_branch .LBB4_2933
.LBB4_2932:                             ;   in Loop: Header=BB4_2933 Depth=4
	s_or_b64 exec, exec, s[90:91]
	global_store_dwordx4 v[3:4], v[16:19], off glc slc
	global_store_dwordx4 v[3:4], v[20:23], off offset:1024 glc slc
	s_waitcnt vmcnt(0)
	v_add_co_u32_e32 v3, vcc, v3, v52
	v_addc_co_u32_e32 v4, vcc, v4, v53, vcc
	v_add_co_u32_e32 v3, vcc, 0x800, v3
	v_addc_co_u32_e32 v4, vcc, 0, v4, vcc
	;; [unrolled: 2-line block ×3, first 2 shown]
	v_sub_u32_e32 v34, v34, v35
	v_cmp_gt_i32_e32 vcc, 1, v34
	s_or_b64 s[40:41], vcc, s[40:41]
	s_andn2_b64 s[78:79], s[78:79], exec
	s_and_b64 s[90:91], s[88:89], exec
	s_or_b64 s[78:79], s[78:79], s[90:91]
	s_andn2_b64 exec, exec, s[40:41]
	s_cbranch_execz .LBB4_2940
.LBB4_2933:                             ;   Parent Loop BB4_47 Depth=1
                                        ;     Parent Loop BB4_2773 Depth=2
                                        ;       Parent Loop BB4_2776 Depth=3
                                        ; =>      This Inner Loop Header: Depth=4
	global_load_dwordx4 v[16:19], v[50:51], off glc slc
	global_load_dwordx4 v[20:23], v[50:51], off offset:1024 glc slc
	s_and_saveexec_b64 s[90:91], s[88:89]
	s_cbranch_execz .LBB4_2935
; %bb.2934:                             ;   in Loop: Header=BB4_2933 Depth=4
	buffer_load_dword v35, off, s[0:3], s33 offset:148 ; 4-byte Folded Reload
	v_add_co_u32_e32 v52, vcc, v3, v47
	global_store_dwordx4 v[3:4], v[8:11], off glc slc
	global_store_dwordx4 v[3:4], v[12:15], off offset:1024 glc slc
	s_waitcnt vmcnt(0)
	v_addc_co_u32_e32 v53, vcc, v4, v35, vcc
	v_mov_b32_e32 v3, v52
	v_mov_b32_e32 v4, v53
.LBB4_2935:                             ;   in Loop: Header=BB4_2933 Depth=4
	s_or_b64 exec, exec, s[90:91]
	buffer_load_dword v35, off, s[0:3], s33 offset:148 ; 4-byte Folded Reload
	v_add_co_u32_e32 v50, vcc, v50, v47
	v_sub_u32_e32 v34, v34, v59
	v_mov_b32_e32 v52, 0
	v_mov_b32_e32 v53, 0
	v_cmp_lt_i32_e64 s[88:89], 0, v34
	s_waitcnt vmcnt(0)
	v_addc_co_u32_e32 v51, vcc, v51, v35, vcc
	v_mov_b32_e32 v35, 0
	s_and_saveexec_b64 s[90:91], s[88:89]
	s_cbranch_execz .LBB4_2932
; %bb.2936:                             ;   in Loop: Header=BB4_2933 Depth=4
	global_load_dwordx4 v[8:11], v[50:51], off glc slc
	global_load_dwordx4 v[12:15], v[50:51], off offset:1024 glc slc
	buffer_load_dword v52, off, s[0:3], s33 offset:188 ; 4-byte Folded Reload
	buffer_load_dword v53, off, s[0:3], s33 offset:192 ; 4-byte Folded Reload
	v_add_co_u32_e32 v50, vcc, 0x800, v50
	v_addc_co_u32_e32 v51, vcc, 0, v51, vcc
	v_mov_b32_e32 v35, v59
	s_branch .LBB4_2932
.LBB4_2937:                             ;   in Loop: Header=BB4_2776 Depth=3
	v_cmp_lt_i32_e64 s[26:27], 0, v27
	s_and_saveexec_b64 s[28:29], s[10:11]
	s_cbranch_execnz .LBB4_2981
	s_branch .LBB4_2865
.LBB4_2938:                             ;   in Loop: Header=BB4_2776 Depth=3
	s_mov_b64 s[28:29], 0
	s_andn2_b64 vcc, exec, s[40:41]
	v_mov_b32_e32 v0, 0
	s_cbranch_vccz .LBB4_2930
.LBB4_2939:                             ;   in Loop: Header=BB4_2776 Depth=3
	buffer_load_dword v3, off, s[0:3], s33 offset:216 ; 4-byte Folded Reload
	buffer_load_dword v12, off, s[0:3], s33 offset:200 ; 4-byte Folded Reload
	s_and_saveexec_b64 s[26:27], s[28:29]
	s_cbranch_execnz .LBB4_2960
	s_branch .LBB4_2980
.LBB4_2940:                             ;   in Loop: Header=BB4_2776 Depth=3
	s_or_b64 exec, exec, s[40:41]
	s_and_b64 s[40:41], s[78:79], exec
.LBB4_2941:                             ;   in Loop: Header=BB4_2776 Depth=3
	s_or_b64 exec, exec, s[26:27]
	s_and_saveexec_b64 s[26:27], s[40:41]
	s_cbranch_execz .LBB4_2943
; %bb.2942:                             ;   in Loop: Header=BB4_2776 Depth=3
	global_store_dwordx4 v[3:4], v[8:11], off glc slc
	global_store_dwordx4 v[3:4], v[12:15], off offset:1024 glc slc
.LBB4_2943:                             ;   in Loop: Header=BB4_2776 Depth=3
	s_or_b64 exec, exec, s[26:27]
	v_lshlrev_b32_e32 v18, 11, v0
	v_cmp_ne_u32_e32 vcc, v56, v18
                                        ; implicit-def: $vgpr0
                                        ; implicit-def: $vgpr3
                                        ; implicit-def: $vgpr12
	s_and_saveexec_b64 s[40:41], vcc
	s_cbranch_execz .LBB4_2959
; %bb.2944:                             ;   in Loop: Header=BB4_2776 Depth=3
	buffer_load_dword v4, off, s[0:3], s33 offset:200 ; 4-byte Folded Reload
	v_lshlrev_b32_e32 v0, 6, v34
	v_sub_u32_e32 v3, v56, v18
	s_mov_b64 s[88:89], 0
	s_waitcnt vmcnt(0)
	v_sub_u32_e32 v0, v4, v0
	v_ashrrev_i32_e32 v4, 31, v0
	v_lshrrev_b32_e32 v4, 26, v4
	v_add_u32_e32 v4, v0, v4
	v_ashrrev_i32_e32 v8, 6, v4
	v_and_b32_e32 v4, 0xffffffc0, v4
	v_sub_u32_e32 v19, v0, v4
	v_ashrrev_i32_e32 v4, 31, v3
	v_lshrrev_b32_e32 v4, 22, v4
	v_add_u32_e32 v4, v3, v4
	v_and_b32_e32 v20, 0xfffffc00, v4
	v_lshlrev_b32_e32 v0, 4, v19
	v_sub_u32_e32 v22, v3, v20
	v_lshl_add_u32 v0, v8, 10, v0
	v_ashrrev_i32_e32 v9, 10, v4
	v_cmp_lt_i32_e64 s[26:27], 15, v22
	v_add_u32_e32 v10, v0, v18
	v_sub_u32_e32 v0, v3, v0
	v_addc_co_u32_e64 v3, vcc, 0, v9, s[26:27]
	v_sub_u32_e32 v21, v3, v8
	v_ashrrev_i32_e32 v11, 31, v10
	v_add_co_u32_e32 v3, vcc, v10, v60
	v_addc_co_u32_e32 v4, vcc, v11, v61, vcc
	v_cmp_lt_i32_e32 vcc, 15, v0
                                        ; implicit-def: $vgpr8_vgpr9
	s_and_saveexec_b64 s[78:79], vcc
	s_cbranch_execz .LBB4_2954
; %bb.2945:                             ;   in Loop: Header=BB4_2776 Depth=3
	v_add_co_u32_e32 v16, vcc, v10, v29
	v_addc_co_u32_e32 v17, vcc, v11, v30, vcc
	s_mov_b64 s[92:93], 0
                                        ; implicit-def: $sgpr90_sgpr91
                                        ; implicit-def: $vgpr8_vgpr9
	s_branch .LBB4_2947
.LBB4_2946:                             ;   in Loop: Header=BB4_2947 Depth=4
	s_or_b64 exec, exec, s[94:95]
	v_cmp_gt_i32_e32 vcc, 16, v0
	s_or_b64 s[88:89], vcc, s[88:89]
	s_andn2_b64 s[90:91], s[90:91], exec
	s_and_b64 s[94:95], s[92:93], exec
	s_or_b64 s[90:91], s[90:91], s[94:95]
	s_andn2_b64 exec, exec, s[88:89]
	s_cbranch_execz .LBB4_2953
.LBB4_2947:                             ;   Parent Loop BB4_47 Depth=1
                                        ;     Parent Loop BB4_2773 Depth=2
                                        ;       Parent Loop BB4_2776 Depth=3
                                        ; =>      This Inner Loop Header: Depth=4
	global_load_dwordx4 v[12:15], v[16:17], off glc slc
	s_and_saveexec_b64 s[94:95], s[92:93]
	s_cbranch_execz .LBB4_2949
; %bb.2948:                             ;   in Loop: Header=BB4_2947 Depth=4
	buffer_load_dword v23, off, s[0:3], s33 offset:132 ; 4-byte Folded Reload
	s_waitcnt vmcnt(0)
	v_add_co_u32_e32 v34, vcc, v3, v23
	buffer_load_dword v23, off, s[0:3], s33 offset:136 ; 4-byte Folded Reload
	s_waitcnt vmcnt(0)
	v_addc_co_u32_e32 v35, vcc, v4, v23, vcc
	global_store_dwordx4 v[3:4], v[8:11], off glc slc
	v_mov_b32_e32 v3, v34
	v_mov_b32_e32 v4, v35
.LBB4_2949:                             ;   in Loop: Header=BB4_2947 Depth=4
	s_or_b64 exec, exec, s[94:95]
	buffer_load_dword v23, off, s[0:3], s33 offset:132 ; 4-byte Folded Reload
	s_waitcnt vmcnt(0)
	v_add_co_u32_e32 v16, vcc, v16, v23
	buffer_load_dword v23, off, s[0:3], s33 offset:136 ; 4-byte Folded Reload
	s_waitcnt vmcnt(0)
	v_addc_co_u32_e32 v17, vcc, v17, v23, vcc
	v_lshlrev_b32_e32 v23, 10, v59
	v_sub_u32_e32 v0, v0, v23
	v_cmp_lt_i32_e64 s[92:93], 15, v0
	s_and_saveexec_b64 s[94:95], s[92:93]
	s_cbranch_execz .LBB4_2951
; %bb.2950:                             ;   in Loop: Header=BB4_2947 Depth=4
	global_load_dwordx4 v[8:11], v[16:17], off glc slc
	v_add_co_u32_e32 v16, vcc, 0x400, v16
	v_addc_co_u32_e32 v17, vcc, 0, v17, vcc
.LBB4_2951:                             ;   in Loop: Header=BB4_2947 Depth=4
	s_or_b64 exec, exec, s[94:95]
	global_store_dwordx4 v[3:4], v[12:15], off glc slc
	v_add_co_u32_e32 v3, vcc, 0x400, v3
	v_sub_u32_e32 v21, v21, v59
	v_addc_co_u32_e32 v4, vcc, 0, v4, vcc
	s_and_saveexec_b64 s[94:95], s[92:93]
	s_cbranch_execz .LBB4_2946
; %bb.2952:                             ;   in Loop: Header=BB4_2947 Depth=4
	v_lshlrev_b32_e32 v12, 10, v59
	v_sub_u32_e32 v0, v0, v12
	buffer_load_dword v12, off, s[0:3], s33 offset:128 ; 4-byte Folded Reload
	v_sub_u32_e32 v21, v21, v59
	s_waitcnt vmcnt(0)
	v_add_co_u32_e32 v16, vcc, v16, v12
	v_addc_co_u32_e32 v17, vcc, v17, v49, vcc
	v_add_co_u32_e32 v3, vcc, v3, v12
	v_addc_co_u32_e32 v4, vcc, v4, v49, vcc
	s_branch .LBB4_2946
.LBB4_2953:                             ;   in Loop: Header=BB4_2776 Depth=3
	s_or_b64 exec, exec, s[88:89]
	s_and_b64 s[88:89], s[90:91], exec
.LBB4_2954:                             ;   in Loop: Header=BB4_2776 Depth=3
	s_or_b64 exec, exec, s[78:79]
	s_and_saveexec_b64 s[78:79], s[88:89]
	s_cbranch_execz .LBB4_2956
; %bb.2955:                             ;   in Loop: Header=BB4_2776 Depth=3
	s_waitcnt vmcnt(0)
	global_store_dwordx4 v[3:4], v[8:11], off glc slc
.LBB4_2956:                             ;   in Loop: Header=BB4_2776 Depth=3
	s_or_b64 exec, exec, s[78:79]
	v_and_b32_e32 v4, 14, v56
	v_cndmask_b32_e64 v56, v22, v4, s[26:27]
	v_cmp_ne_u32_e32 vcc, 0, v56
	s_mov_b64 s[88:89], s[28:29]
                                        ; implicit-def: $vgpr0
                                        ; implicit-def: $vgpr3
                                        ; implicit-def: $vgpr12
	s_and_saveexec_b64 s[78:79], vcc
	s_cbranch_execz .LBB4_2958
; %bb.2957:                             ;   in Loop: Header=BB4_2776 Depth=3
	v_cmp_lt_i32_e32 vcc, 0, v21
	v_cndmask_b32_e32 v3, 0, v59, vcc
	v_sub_u32_e32 v3, v3, v21
	v_lshl_add_u32 v3, v3, 6, v19
	v_sub_u32_e32 v0, v22, v4
	v_ashrrev_i32_e32 v4, 31, v3
	v_lshrrev_b32_e32 v4, 26, v4
	v_add_u32_e32 v4, v3, v4
	v_cndmask_b32_e64 v0, 0, v0, s[26:27]
	v_and_b32_e32 v4, 0xffffffc0, v4
	v_add3_u32 v0, v20, v18, v0
	v_sub_u32_e32 v12, v3, v4
	s_or_b64 s[88:89], s[28:29], exec
.LBB4_2958:                             ;   in Loop: Header=BB4_2776 Depth=3
	s_or_b64 exec, exec, s[78:79]
	s_andn2_b64 s[26:27], s[28:29], exec
	s_and_b64 s[28:29], s[88:89], exec
	s_or_b64 s[28:29], s[26:27], s[28:29]
.LBB4_2959:                             ;   in Loop: Header=BB4_2776 Depth=3
	s_or_b64 exec, exec, s[40:41]
	s_and_saveexec_b64 s[26:27], s[28:29]
	s_cbranch_execz .LBB4_2980
.LBB4_2960:                             ;   in Loop: Header=BB4_2776 Depth=3
	s_waitcnt vmcnt(0)
	v_ashrrev_i32_e32 v4, 31, v3
	v_lshrrev_b32_e32 v4, 26, v4
	v_add_u32_e32 v3, v3, v4
	v_ashrrev_i32_e32 v3, 6, v3
	v_lshlrev_b32_e32 v4, 9, v3
	v_lshlrev_b32_e32 v8, 1, v12
	v_add3_u32 v8, v0, v8, v4
	v_ashrrev_i32_e32 v4, 31, v56
	v_lshrrev_b32_e32 v4, 23, v4
	v_add_u32_e32 v4, v56, v4
	v_ashrrev_i32_e32 v13, 9, v4
	v_sub_u32_e32 v10, v13, v3
	v_ashrrev_i32_e32 v9, 31, v8
	v_add_co_u32_e32 v3, vcc, v60, v8
	v_addc_co_u32_e32 v4, vcc, v61, v9, vcc
	v_cmp_lt_i32_e32 vcc, 0, v10
	s_mov_b64 s[40:41], 0
                                        ; implicit-def: $vgpr14
                                        ; implicit-def: $vgpr15
                                        ; implicit-def: $vgpr16
                                        ; implicit-def: $vgpr17
	s_and_saveexec_b64 s[28:29], vcc
	s_cbranch_execz .LBB4_2968
; %bb.2961:                             ;   in Loop: Header=BB4_2776 Depth=3
	v_add_co_u32_e32 v8, vcc, v8, v29
	v_addc_co_u32_e32 v9, vcc, v9, v30, vcc
	s_mov_b64 s[88:89], 0
                                        ; implicit-def: $sgpr78_sgpr79
                                        ; implicit-def: $vgpr14
                                        ; implicit-def: $vgpr15
                                        ; implicit-def: $vgpr16
                                        ; implicit-def: $vgpr17
	s_branch .LBB4_2963
.LBB4_2962:                             ;   in Loop: Header=BB4_2963 Depth=4
	s_or_b64 exec, exec, s[90:91]
	s_waitcnt vmcnt(0) lgkmcnt(0)
	flat_store_short v[3:4], v18 glc slc
	flat_store_short v[3:4], v19 offset:128 glc slc
	flat_store_short v[3:4], v20 offset:256 glc slc
	;; [unrolled: 1-line block ×3, first 2 shown]
	v_add_co_u32_e32 v3, vcc, v3, v10
	v_addc_co_u32_e32 v4, vcc, v4, v11, vcc
	v_add_co_u32_e32 v3, vcc, 0x200, v3
	v_addc_co_u32_e32 v4, vcc, 0, v4, vcc
	;; [unrolled: 2-line block ×3, first 2 shown]
	v_sub_u32_e32 v10, v22, v23
	v_cmp_gt_i32_e32 vcc, 1, v10
	s_or_b64 s[40:41], vcc, s[40:41]
	s_andn2_b64 s[78:79], s[78:79], exec
	s_and_b64 s[90:91], s[88:89], exec
	s_or_b64 s[78:79], s[78:79], s[90:91]
	s_andn2_b64 exec, exec, s[40:41]
	s_cbranch_execz .LBB4_2967
.LBB4_2963:                             ;   Parent Loop BB4_47 Depth=1
                                        ;     Parent Loop BB4_2773 Depth=2
                                        ;       Parent Loop BB4_2776 Depth=3
                                        ; =>      This Inner Loop Header: Depth=4
	flat_load_ushort v18, v[8:9] glc slc
	flat_load_ushort v19, v[8:9] offset:128 glc slc
	flat_load_ushort v20, v[8:9] offset:256 glc slc
	;; [unrolled: 1-line block ×3, first 2 shown]
	s_and_saveexec_b64 s[90:91], s[88:89]
	s_cbranch_execz .LBB4_2965
; %bb.2964:                             ;   in Loop: Header=BB4_2963 Depth=4
	flat_store_short v[3:4], v14 glc slc
	flat_store_short v[3:4], v15 offset:128 glc slc
	flat_store_short v[3:4], v16 offset:256 glc slc
	;; [unrolled: 1-line block ×3, first 2 shown]
	v_add_co_u32_e32 v3, vcc, v3, v1
	v_addc_co_u32_e32 v4, vcc, v4, v42, vcc
.LBB4_2965:                             ;   in Loop: Header=BB4_2963 Depth=4
	s_or_b64 exec, exec, s[90:91]
	v_add_co_u32_e32 v8, vcc, v8, v1
	v_sub_u32_e32 v22, v10, v59
	v_mov_b32_e32 v10, 0
	v_addc_co_u32_e32 v9, vcc, v9, v42, vcc
	v_mov_b32_e32 v23, 0
	v_mov_b32_e32 v11, 0
	v_cmp_lt_i32_e64 s[88:89], 0, v22
	s_and_saveexec_b64 s[90:91], s[88:89]
	s_cbranch_execz .LBB4_2962
; %bb.2966:                             ;   in Loop: Header=BB4_2963 Depth=4
	flat_load_ushort v14, v[8:9] glc slc
	flat_load_ushort v15, v[8:9] offset:128 glc slc
	flat_load_ushort v16, v[8:9] offset:256 glc slc
	;; [unrolled: 1-line block ×3, first 2 shown]
	v_add_co_u32_e32 v8, vcc, 0x200, v8
	v_mov_b32_e32 v10, v54
	v_addc_co_u32_e32 v9, vcc, 0, v9, vcc
	v_mov_b32_e32 v23, v59
	v_mov_b32_e32 v11, v55
	s_branch .LBB4_2962
.LBB4_2967:                             ;   in Loop: Header=BB4_2776 Depth=3
	s_or_b64 exec, exec, s[40:41]
	s_and_b64 s[40:41], s[78:79], exec
.LBB4_2968:                             ;   in Loop: Header=BB4_2776 Depth=3
	s_or_b64 exec, exec, s[28:29]
	s_and_saveexec_b64 s[28:29], s[40:41]
	s_cbranch_execz .LBB4_2970
; %bb.2969:                             ;   in Loop: Header=BB4_2776 Depth=3
	flat_store_short v[3:4], v14 glc slc
	flat_store_short v[3:4], v15 offset:128 glc slc
	flat_store_short v[3:4], v16 offset:256 glc slc
	;; [unrolled: 1-line block ×3, first 2 shown]
.LBB4_2970:                             ;   in Loop: Header=BB4_2776 Depth=3
	s_or_b64 exec, exec, s[28:29]
	v_lshlrev_b32_e32 v3, 9, v13
	v_cmp_ne_u32_e32 vcc, v56, v3
	s_and_b64 exec, exec, vcc
	s_cbranch_execz .LBB4_2980
; %bb.2971:                             ;   in Loop: Header=BB4_2776 Depth=3
	v_lshlrev_b32_e32 v4, 6, v10
	v_sub_u32_e32 v4, v12, v4
	v_ashrrev_i32_e32 v8, 31, v4
	v_lshrrev_b32_e32 v8, 26, v8
	v_add_u32_e32 v8, v4, v8
	v_and_b32_e32 v9, 0x7fffffc0, v8
	v_sub_u32_e32 v4, v4, v9
	v_lshlrev_b32_e32 v8, 1, v8
	v_and_b32_e32 v8, 0xffffff80, v8
	v_lshlrev_b32_e32 v4, 1, v4
	v_add3_u32 v3, v8, v4, v3
	v_sub_u32_e32 v10, v56, v3
	v_cmp_lt_i32_e32 vcc, 1, v10
	s_and_b64 exec, exec, vcc
	s_cbranch_execz .LBB4_2980
; %bb.2972:                             ;   in Loop: Header=BB4_2776 Depth=3
	v_add_u32_e32 v0, v3, v0
	v_ashrrev_i32_e32 v9, 31, v0
	v_add_co_u32_e32 v3, vcc, v60, v0
	v_addc_co_u32_e32 v4, vcc, v61, v9, vcc
	v_add_co_u32_e32 v8, vcc, v0, v29
	v_addc_co_u32_e32 v9, vcc, v9, v30, vcc
	s_mov_b64 s[78:79], 0
	s_mov_b64 s[28:29], 0
                                        ; implicit-def: $sgpr40_sgpr41
                                        ; implicit-def: $vgpr0
	s_branch .LBB4_2974
.LBB4_2973:                             ;   in Loop: Header=BB4_2974 Depth=4
	s_or_b64 exec, exec, s[88:89]
	s_waitcnt lgkmcnt(0)
	flat_store_short v[3:4], v12 glc slc
	v_add_co_u32_e32 v3, vcc, v3, v10
	v_addc_co_u32_e32 v4, vcc, v4, v11, vcc
	v_add_co_u32_e32 v8, vcc, v8, v10
	v_addc_co_u32_e32 v9, vcc, v9, v11, vcc
	;; [unrolled: 2-line block ×3, first 2 shown]
	v_sub_u32_e32 v10, v13, v14
	v_cmp_gt_i32_e32 vcc, 2, v10
	s_or_b64 s[28:29], vcc, s[28:29]
	s_andn2_b64 s[40:41], s[40:41], exec
	s_and_b64 s[88:89], s[78:79], exec
	s_or_b64 s[40:41], s[40:41], s[88:89]
	s_andn2_b64 exec, exec, s[28:29]
	s_cbranch_execz .LBB4_2978
.LBB4_2974:                             ;   Parent Loop BB4_47 Depth=1
                                        ;     Parent Loop BB4_2773 Depth=2
                                        ;       Parent Loop BB4_2776 Depth=3
                                        ; =>      This Inner Loop Header: Depth=4
	flat_load_ushort v12, v[8:9] glc slc
	s_and_saveexec_b64 s[88:89], s[78:79]
	s_cbranch_execz .LBB4_2976
; %bb.2975:                             ;   in Loop: Header=BB4_2974 Depth=4
	buffer_load_dword v11, off, s[0:3], s33 offset:140 ; 4-byte Folded Reload
	s_waitcnt vmcnt(0)
	v_add_co_u32_e32 v13, vcc, v3, v11
	buffer_load_dword v11, off, s[0:3], s33 offset:144 ; 4-byte Folded Reload
	s_waitcnt vmcnt(0)
	v_addc_co_u32_e32 v14, vcc, v4, v11, vcc
	flat_store_short v[3:4], v0 glc slc
	v_mov_b32_e32 v3, v13
	v_mov_b32_e32 v4, v14
.LBB4_2976:                             ;   in Loop: Header=BB4_2974 Depth=4
	s_or_b64 exec, exec, s[88:89]
	buffer_load_dword v11, off, s[0:3], s33 offset:140 ; 4-byte Folded Reload
	v_mov_b32_e32 v14, 0
	s_waitcnt vmcnt(0)
	v_add_co_u32_e32 v8, vcc, v8, v11
	buffer_load_dword v11, off, s[0:3], s33 offset:144 ; 4-byte Folded Reload
	s_waitcnt vmcnt(0)
	v_addc_co_u32_e32 v9, vcc, v9, v11, vcc
	v_lshlrev_b32_e32 v11, 7, v59
	v_sub_u32_e32 v13, v10, v11
	v_mov_b32_e32 v10, 0
	v_cmp_lt_i32_e64 s[78:79], 1, v13
	v_mov_b32_e32 v11, 0
	s_and_saveexec_b64 s[88:89], s[78:79]
	s_cbranch_execz .LBB4_2973
; %bb.2977:                             ;   in Loop: Header=BB4_2974 Depth=4
	flat_load_ushort v0, v[8:9] glc slc
	v_add_co_u32_e32 v8, vcc, 0x80, v8
	v_mov_b32_e32 v10, v40
	v_addc_co_u32_e32 v9, vcc, 0, v9, vcc
	v_lshlrev_b32_e32 v14, 7, v59
	v_mov_b32_e32 v11, v41
	s_branch .LBB4_2973
.LBB4_2978:                             ;   in Loop: Header=BB4_2776 Depth=3
	s_or_b64 exec, exec, s[28:29]
	s_and_b64 exec, exec, s[40:41]
	s_cbranch_execz .LBB4_2980
; %bb.2979:                             ;   in Loop: Header=BB4_2776 Depth=3
	s_waitcnt vmcnt(0)
	flat_store_short v[3:4], v0 glc slc
.LBB4_2980:                             ;   in Loop: Header=BB4_2776 Depth=3
	s_or_b64 exec, exec, s[26:27]
	v_cmp_lt_i32_e64 s[26:27], 0, v27
	s_and_saveexec_b64 s[28:29], s[10:11]
	s_cbranch_execz .LBB4_2865
.LBB4_2981:                             ;   in Loop: Header=BB4_2776 Depth=3
	s_and_saveexec_b64 s[40:41], s[56:57]
	s_xor_b64 s[40:41], exec, s[40:41]
	s_cbranch_execz .LBB4_2996
; %bb.2982:                             ;   in Loop: Header=BB4_2776 Depth=3
	s_and_saveexec_b64 s[78:79], s[16:17]
	s_cbranch_execz .LBB4_2995
; %bb.2983:                             ;   in Loop: Header=BB4_2776 Depth=3
	s_mov_b64 s[90:91], exec
	s_waitcnt vmcnt(0)
	v_mbcnt_lo_u32_b32 v0, s90, 0
	v_mbcnt_hi_u32_b32 v0, s91, v0
	v_cmp_eq_u32_e32 vcc, 0, v0
	s_waitcnt lgkmcnt(0)
	buffer_wbinvl1_vol
	s_and_saveexec_b64 s[88:89], vcc
	s_cbranch_execz .LBB4_2985
; %bb.2984:                             ;   in Loop: Header=BB4_2776 Depth=3
	s_bcnt1_i32_b64 s8, s[90:91]
	v_mov_b32_e32 v3, s8
	v_mov_b32_e32 v4, v2
	ds_add_u64 v0, v[3:4]
	s_trap 2
.LBB4_2985:                             ;   in Loop: Header=BB4_2776 Depth=3
	s_or_b64 exec, exec, s[88:89]
	s_trap 2
	ds_read_b64 v[3:4], v0
	s_waitcnt lgkmcnt(0)
	v_add_co_u32_e32 v36, vcc, v36, v59
	v_addc_co_u32_e32 v37, vcc, 0, v37, vcc
	v_cmp_lt_u64_e32 vcc, v[3:4], v[36:37]
	s_and_saveexec_b64 s[88:89], vcc
	s_cbranch_execz .LBB4_2994
; %bb.2986:                             ;   in Loop: Header=BB4_2776 Depth=3
	s_mov_b32 s8, 0
	s_mov_b64 s[90:91], 0
                                        ; implicit-def: $sgpr92_sgpr93
                                        ; implicit-def: $sgpr94_sgpr95
	s_branch .LBB4_2988
.LBB4_2987:                             ;   in Loop: Header=BB4_2988 Depth=4
	s_or_b64 exec, exec, s[34:35]
	s_and_b64 vcc, exec, vcc
	s_or_b64 s[90:91], vcc, s[90:91]
	s_andn2_b64 s[92:93], s[92:93], exec
	s_and_b64 vcc, s[94:95], exec
	s_or_b64 s[92:93], s[92:93], vcc
	s_andn2_b64 exec, exec, s[90:91]
	s_cbranch_execz .LBB4_2992
.LBB4_2988:                             ;   Parent Loop BB4_47 Depth=1
                                        ;     Parent Loop BB4_2773 Depth=2
                                        ;       Parent Loop BB4_2776 Depth=3
                                        ; =>      This Inner Loop Header: Depth=4
	s_add_i32 s8, s8, 1
	s_cmpk_lg_i32 s8, 0x2710
	s_cselect_b64 s[30:31], -1, 0
	s_and_b64 vcc, exec, s[30:31]
	s_cbranch_vccz .LBB4_2990
; %bb.2989:                             ;   in Loop: Header=BB4_2988 Depth=4
	s_mov_b64 vcc, -1
	s_or_b64 s[94:95], s[94:95], exec
	s_and_saveexec_b64 s[34:35], s[30:31]
	s_cbranch_execz .LBB4_2987
	s_branch .LBB4_2991
.LBB4_2990:                             ;   in Loop: Header=BB4_2988 Depth=4
	s_trap 2
	ds_read_b64 v[3:4], v0
	s_andn2_b64 s[30:31], s[30:31], exec
	s_mov_b32 s8, 0
	s_waitcnt lgkmcnt(0)
	flat_load_dword v0, v[3:4] glc
	s_waitcnt vmcnt(0) lgkmcnt(0)
	buffer_wbinvl1_vol
	v_cmp_eq_u32_e32 vcc, 0, v0
	s_and_b64 vcc, vcc, exec
	s_or_b64 s[30:31], s[30:31], vcc
	s_mov_b64 vcc, -1
	s_or_b64 s[94:95], s[94:95], exec
	s_and_saveexec_b64 s[34:35], s[30:31]
	s_cbranch_execz .LBB4_2987
.LBB4_2991:                             ;   in Loop: Header=BB4_2988 Depth=4
	s_sleep 1
	s_trap 2
	ds_read_b64 v[3:4], v0
	s_waitcnt lgkmcnt(0)
	s_andn2_b64 s[94:95], s[94:95], exec
	v_cmp_ge_u64_e32 vcc, v[3:4], v[36:37]
	s_orn2_b64 vcc, vcc, exec
	s_branch .LBB4_2987
.LBB4_2992:                             ;   in Loop: Header=BB4_2776 Depth=3
	s_or_b64 exec, exec, s[90:91]
	s_and_saveexec_b64 s[90:91], s[92:93]
	s_xor_b64 s[90:91], exec, s[90:91]
	s_cbranch_execz .LBB4_2994
; %bb.2993:                             ;   in Loop: Header=BB4_2776 Depth=3
	v_mov_b32_e32 v0, 1
	ds_write_b32 v0, v0
	s_trap 2
.LBB4_2994:                             ;   in Loop: Header=BB4_2776 Depth=3
	s_or_b64 exec, exec, s[88:89]
	;;#ASMSTART
	s_wakeup
	;;#ASMEND
.LBB4_2995:                             ;   in Loop: Header=BB4_2776 Depth=3
	s_or_b64 exec, exec, s[78:79]
.LBB4_2996:                             ;   in Loop: Header=BB4_2776 Depth=3
	s_andn2_saveexec_b64 s[40:41], s[40:41]
	s_cbranch_execz .LBB4_2998
; %bb.2997:                             ;   in Loop: Header=BB4_2776 Depth=3
	s_waitcnt vmcnt(0) lgkmcnt(0)
	buffer_wbinvl1_vol
	s_barrier
.LBB4_2998:                             ;   in Loop: Header=BB4_2776 Depth=3
	s_or_b64 exec, exec, s[40:41]
	s_or_b64 exec, exec, s[28:29]
                                        ; implicit-def: $vgpr0
	s_and_saveexec_b64 s[28:29], s[24:25]
	s_xor_b64 s[28:29], exec, s[28:29]
	s_cbranch_execnz .LBB4_2866
.LBB4_2999:                             ;   in Loop: Header=BB4_2776 Depth=3
	s_andn2_saveexec_b64 s[26:27], s[28:29]
	s_cbranch_execz .LBB4_3018
.LBB4_3000:                             ;   in Loop: Header=BB4_2776 Depth=3
	s_and_saveexec_b64 s[28:29], s[56:57]
	s_xor_b64 s[28:29], exec, s[28:29]
	s_cbranch_execz .LBB4_3015
; %bb.3001:                             ;   in Loop: Header=BB4_2776 Depth=3
	s_and_saveexec_b64 s[40:41], s[16:17]
	s_cbranch_execz .LBB4_3014
; %bb.3002:                             ;   in Loop: Header=BB4_2776 Depth=3
	s_mov_b64 s[88:89], exec
	s_waitcnt vmcnt(0)
	v_mbcnt_lo_u32_b32 v0, s88, 0
	v_mbcnt_hi_u32_b32 v0, s89, v0
	v_cmp_eq_u32_e32 vcc, 0, v0
	;;#ASMSTART
	s_waitcnt lgkmcnt(0) vmcnt(0)
	;;#ASMEND
	s_and_saveexec_b64 s[78:79], vcc
	s_cbranch_execz .LBB4_3004
; %bb.3003:                             ;   in Loop: Header=BB4_2776 Depth=3
	s_bcnt1_i32_b64 s8, s[88:89]
	v_mov_b32_e32 v3, s8
	v_mov_b32_e32 v4, v2
	s_waitcnt lgkmcnt(0)
	ds_add_u64 v0, v[3:4]
	s_trap 2
.LBB4_3004:                             ;   in Loop: Header=BB4_2776 Depth=3
	s_or_b64 exec, exec, s[78:79]
	s_trap 2
	ds_read_b64 v[3:4], v0
	s_waitcnt lgkmcnt(0)
	v_add_co_u32_e32 v36, vcc, v36, v59
	v_addc_co_u32_e32 v37, vcc, 0, v37, vcc
	v_cmp_lt_u64_e32 vcc, v[3:4], v[36:37]
	s_and_saveexec_b64 s[78:79], vcc
	s_cbranch_execz .LBB4_3013
; %bb.3005:                             ;   in Loop: Header=BB4_2776 Depth=3
	s_mov_b32 s8, 0
	s_mov_b64 s[88:89], 0
                                        ; implicit-def: $sgpr90_sgpr91
                                        ; implicit-def: $sgpr92_sgpr93
	s_branch .LBB4_3007
.LBB4_3006:                             ;   in Loop: Header=BB4_3007 Depth=4
	s_or_b64 exec, exec, s[30:31]
	s_and_b64 s[94:95], exec, vcc
	s_or_b64 s[88:89], s[94:95], s[88:89]
	s_andn2_b64 s[90:91], s[90:91], exec
	s_and_b64 s[94:95], s[92:93], exec
	s_or_b64 s[90:91], s[90:91], s[94:95]
	s_andn2_b64 exec, exec, s[88:89]
	s_cbranch_execz .LBB4_3011
.LBB4_3007:                             ;   Parent Loop BB4_47 Depth=1
                                        ;     Parent Loop BB4_2773 Depth=2
                                        ;       Parent Loop BB4_2776 Depth=3
                                        ; =>      This Inner Loop Header: Depth=4
	s_add_i32 s8, s8, 1
	s_cmpk_lg_i32 s8, 0x2710
	s_cselect_b64 s[94:95], -1, 0
	s_and_b64 vcc, exec, s[94:95]
	s_cbranch_vccz .LBB4_3009
; %bb.3008:                             ;   in Loop: Header=BB4_3007 Depth=4
	s_mov_b64 vcc, -1
	s_or_b64 s[92:93], s[92:93], exec
	s_and_saveexec_b64 s[30:31], s[94:95]
	s_cbranch_execz .LBB4_3006
	s_branch .LBB4_3010
.LBB4_3009:                             ;   in Loop: Header=BB4_3007 Depth=4
	s_trap 2
	ds_read_b64 v[3:4], v0
	s_andn2_b64 s[94:95], s[94:95], exec
	s_mov_b32 s8, 0
	s_waitcnt lgkmcnt(0)
	flat_load_dword v0, v[3:4] glc
	s_waitcnt vmcnt(0) lgkmcnt(0)
	buffer_wbinvl1_vol
	v_cmp_eq_u32_e32 vcc, 0, v0
	s_and_b64 vcc, vcc, exec
	s_or_b64 s[94:95], s[94:95], vcc
	s_mov_b64 vcc, -1
	s_or_b64 s[92:93], s[92:93], exec
	s_and_saveexec_b64 s[30:31], s[94:95]
	s_cbranch_execz .LBB4_3006
.LBB4_3010:                             ;   in Loop: Header=BB4_3007 Depth=4
	s_sleep 1
	s_trap 2
	ds_read_b64 v[3:4], v0
	s_waitcnt lgkmcnt(0)
	s_andn2_b64 s[92:93], s[92:93], exec
	v_cmp_ge_u64_e32 vcc, v[3:4], v[36:37]
	s_orn2_b64 vcc, vcc, exec
	s_branch .LBB4_3006
.LBB4_3011:                             ;   in Loop: Header=BB4_2776 Depth=3
	s_or_b64 exec, exec, s[88:89]
	s_and_saveexec_b64 s[88:89], s[90:91]
	s_xor_b64 s[88:89], exec, s[88:89]
	s_cbranch_execz .LBB4_3013
; %bb.3012:                             ;   in Loop: Header=BB4_2776 Depth=3
	v_mov_b32_e32 v0, 1
	ds_write_b32 v0, v0
	s_trap 2
.LBB4_3013:                             ;   in Loop: Header=BB4_2776 Depth=3
	s_or_b64 exec, exec, s[78:79]
	;;#ASMSTART
	s_wakeup
	;;#ASMEND
.LBB4_3014:                             ;   in Loop: Header=BB4_2776 Depth=3
	s_or_b64 exec, exec, s[40:41]
.LBB4_3015:                             ;   in Loop: Header=BB4_2776 Depth=3
	s_andn2_saveexec_b64 s[28:29], s[28:29]
	s_cbranch_execz .LBB4_3017
; %bb.3016:                             ;   in Loop: Header=BB4_2776 Depth=3
	;;#ASMSTART
	s_waitcnt lgkmcnt(0) vmcnt(0)
	;;#ASMEND
	s_waitcnt vmcnt(0) lgkmcnt(0)
	s_barrier
.LBB4_3017:                             ;   in Loop: Header=BB4_2776 Depth=3
	s_or_b64 exec, exec, s[28:29]
	s_waitcnt vmcnt(0)
	v_and_b32_e32 v0, 16, v5
.LBB4_3018:                             ;   in Loop: Header=BB4_2776 Depth=3
	s_or_b64 exec, exec, s[26:27]
	s_waitcnt vmcnt(0)
	v_cmp_ne_u32_e32 vcc, 0, v0
	s_xor_b64 s[26:27], s[12:13], -1
	s_and_b64 s[28:29], vcc, s[26:27]
	s_and_saveexec_b64 s[26:27], s[28:29]
	s_cbranch_execz .LBB4_3020
; %bb.3019:                             ;   in Loop: Header=BB4_2776 Depth=3
	buffer_load_dword v3, off, s[0:3], s33 offset:176 ; 4-byte Folded Reload
	buffer_load_dword v4, off, s[0:3], s33 offset:180 ; 4-byte Folded Reload
	v_mov_b32_e32 v0, 1
	s_waitcnt vmcnt(0)
	flat_store_dword v[3:4], v0
.LBB4_3020:                             ;   in Loop: Header=BB4_2776 Depth=3
	s_or_b64 exec, exec, s[26:27]
	v_and_b32_e32 v0, 48, v5
	v_cmp_ne_u32_e32 vcc, 0, v0
	s_and_saveexec_b64 s[26:27], vcc
	s_cbranch_execz .LBB4_2775
; %bb.3021:                             ;   in Loop: Header=BB4_2776 Depth=3
	v_add_co_u32_e32 v6, vcc, 2, v6
	v_addc_co_u32_e32 v7, vcc, 0, v7, vcc
	flat_store_dwordx2 v[32:33], v[6:7]
	s_branch .LBB4_2775
.LBB4_3022:                             ;   in Loop: Header=BB4_2773 Depth=2
	s_or_b64 exec, exec, s[42:43]
	v_cmp_gt_i32_e32 vcc, 2, v0
	s_and_saveexec_b64 s[28:29], vcc
	s_cbranch_execz .LBB4_3098
.LBB4_3023:                             ;   in Loop: Header=BB4_2773 Depth=2
	v_cmp_eq_u32_e64 s[42:43], 0, v0
	s_mov_b64 s[40:41], 0
	s_branch .LBB4_3025
.LBB4_3024:                             ;   in Loop: Header=BB4_3025 Depth=3
	s_or_b64 exec, exec, s[26:27]
	v_add_u32_e32 v28, v26, v28
	s_mov_b64 s[42:43], 0
	s_andn2_b64 exec, exec, s[40:41]
	s_cbranch_execz .LBB4_3099
.LBB4_3025:                             ;   Parent Loop BB4_47 Depth=1
                                        ;     Parent Loop BB4_2773 Depth=2
                                        ; =>    This Loop Header: Depth=3
                                        ;         Child Loop BB4_3031 Depth 4
                                        ;         Child Loop BB4_3059 Depth 4
	;; [unrolled: 1-line block ×3, first 2 shown]
	v_sub_u32_e32 v0, v31, v28
	v_min_i32_e32 v26, v26, v0
	v_and_b32_e32 v0, 12, v5
	v_cmp_ne_u32_e32 vcc, 0, v0
	s_and_saveexec_b64 s[74:75], vcc
	s_cbranch_execz .LBB4_3051
; %bb.3026:                             ;   in Loop: Header=BB4_3025 Depth=3
	v_and_b32_e32 v0, 8, v5
	s_waitcnt lgkmcnt(0)
	v_add_co_u32_e32 v8, vcc, v38, v0
	v_addc_co_u32_e32 v9, vcc, 0, v39, vcc
	v_add_co_u32_e32 v3, vcc, 2, v6
	v_addc_co_u32_e32 v4, vcc, 0, v7, vcc
	v_cmp_lt_u64_e32 vcc, v[8:9], v[3:4]
	s_and_saveexec_b64 s[76:77], vcc
	s_cbranch_execz .LBB4_3038
; %bb.3027:                             ;   in Loop: Header=BB4_3025 Depth=3
	v_and_b32_e32 v7, 64, v5
	s_mov_b32 s8, 0
	v_cmp_eq_u32_e32 vcc, 0, v7
	s_mov_b64 s[78:79], 0
                                        ; implicit-def: $sgpr88_sgpr89
                                        ; implicit-def: $sgpr90_sgpr91
                                        ; implicit-def: $sgpr92_sgpr93
	s_branch .LBB4_3031
.LBB4_3028:                             ;   in Loop: Header=BB4_3031 Depth=4
	s_waitcnt vmcnt(0) lgkmcnt(0)
	v_add_co_u32_e64 v9, s[26:27], v38, v0
	v_addc_co_u32_e64 v10, s[26:27], 0, v39, s[26:27]
	v_cmp_ge_u64_e64 s[26:27], v[9:10], v[3:4]
	s_or_b64 s[34:35], s[34:35], exec
	s_orn2_b64 s[30:31], s[26:27], exec
.LBB4_3029:                             ;   in Loop: Header=BB4_3031 Depth=4
	s_or_b64 exec, exec, s[38:39]
	s_andn2_b64 s[26:27], s[92:93], exec
	s_and_b64 s[92:93], s[34:35], exec
	s_or_b64 s[92:93], s[26:27], s[92:93]
	s_andn2_b64 s[26:27], s[90:91], exec
	s_and_b64 s[90:91], s[30:31], exec
	s_or_b64 s[90:91], s[26:27], s[90:91]
.LBB4_3030:                             ;   in Loop: Header=BB4_3031 Depth=4
	s_or_b64 exec, exec, s[94:95]
	s_and_b64 s[26:27], exec, s[90:91]
	s_or_b64 s[78:79], s[26:27], s[78:79]
	s_andn2_b64 s[26:27], s[88:89], exec
	s_and_b64 s[88:89], s[92:93], exec
	s_or_b64 s[88:89], s[26:27], s[88:89]
	s_andn2_b64 exec, exec, s[78:79]
	s_cbranch_execz .LBB4_3035
.LBB4_3031:                             ;   Parent Loop BB4_47 Depth=1
                                        ;     Parent Loop BB4_2773 Depth=2
                                        ;       Parent Loop BB4_3025 Depth=3
                                        ; =>      This Inner Loop Header: Depth=4
	s_sleep 1
	s_waitcnt vmcnt(0) lgkmcnt(0)
	flat_load_dwordx2 v[38:39], v[32:33] glc
	s_or_b64 s[92:93], s[92:93], exec
	s_or_b64 s[90:91], s[90:91], exec
                                        ; implicit-def: $vgpr8
	s_and_saveexec_b64 s[94:95], vcc
	s_cbranch_execz .LBB4_3030
; %bb.3032:                             ;   in Loop: Header=BB4_3031 Depth=4
	s_cmpk_lt_i32 s8, 0x270f
	s_cselect_b64 s[36:37], -1, 0
	s_cmpk_gt_i32 s8, 0x270e
	s_mov_b64 s[30:31], -1
	s_cbranch_scc0 .LBB4_3034
; %bb.3033:                             ;   in Loop: Header=BB4_3031 Depth=4
	s_trap 2
	ds_read_b64 v[7:8], v0
	s_andn2_b64 s[36:37], s[36:37], exec
	s_mov_b32 s8, 0
	s_mov_b64 s[34:35], 0
	s_waitcnt vmcnt(0) lgkmcnt(0)
	flat_load_dword v8, v[7:8] glc
	s_waitcnt vmcnt(0) lgkmcnt(0)
	buffer_wbinvl1_vol
	v_cmp_eq_u32_e64 s[26:27], 0, v8
	s_and_b64 s[26:27], s[26:27], exec
	s_or_b64 s[36:37], s[36:37], s[26:27]
	s_and_saveexec_b64 s[38:39], s[36:37]
	s_cbranch_execz .LBB4_3029
	s_branch .LBB4_3028
.LBB4_3034:                             ;   in Loop: Header=BB4_3031 Depth=4
	s_add_i32 s8, s8, 1
	s_mov_b64 s[34:35], -1
                                        ; implicit-def: $vgpr8
	s_and_saveexec_b64 s[38:39], s[36:37]
	s_cbranch_execz .LBB4_3029
	s_branch .LBB4_3028
.LBB4_3035:                             ;   in Loop: Header=BB4_3025 Depth=3
	s_or_b64 exec, exec, s[78:79]
	s_xor_b64 s[26:27], s[88:89], -1
	s_and_saveexec_b64 s[78:79], s[26:27]
	s_xor_b64 s[26:27], exec, s[78:79]
	s_cbranch_execz .LBB4_3037
; %bb.3036:                             ;   in Loop: Header=BB4_3025 Depth=3
	v_or_b32_e32 v5, 64, v5
	s_waitcnt lgkmcnt(0)
	ds_write_b32 v0, v8
	s_trap 2
.LBB4_3037:                             ;   in Loop: Header=BB4_3025 Depth=3
	s_or_b64 exec, exec, s[26:27]
.LBB4_3038:                             ;   in Loop: Header=BB4_3025 Depth=3
	s_or_b64 exec, exec, s[76:77]
	v_and_b32_e32 v7, 0x108, v5
	v_cmp_ne_u32_e32 vcc, s45, v7
	;;#ASMSTART
	s_wakeup
	;;#ASMEND
                                        ; implicit-def: $vgpr8_vgpr9
	s_and_saveexec_b64 s[26:27], vcc
	s_xor_b64 s[26:27], exec, s[26:27]
; %bb.3039:                             ;   in Loop: Header=BB4_3025 Depth=3
	v_and_b32_e32 v8, 7, v6
	v_mov_b32_e32 v9, v2
                                        ; implicit-def: $vgpr6_vgpr7
; %bb.3040:                             ;   in Loop: Header=BB4_3025 Depth=3
	s_andn2_saveexec_b64 s[26:27], s[26:27]
	s_cbranch_execz .LBB4_3042
; %bb.3041:                             ;   in Loop: Header=BB4_3025 Depth=3
	buffer_load_dword v9, off, s[0:3], s33 offset:160 ; 4-byte Folded Reload
	buffer_load_dword v10, off, s[0:3], s33 offset:164 ; 4-byte Folded Reload
	;; [unrolled: 1-line block ×4, first 2 shown]
	v_and_b32_e32 v8, 7, v6
	v_ashrrev_i32_e32 v27, 31, v26
	s_waitcnt vmcnt(0)
	v_mad_u64_u32 v[6:7], s[76:77], v8, 24, v[9:10]
	v_lshlrev_b64 v[10:11], 1, v[26:27]
	v_mov_b32_e32 v9, v2
	flat_store_dwordx2 v[6:7], v[10:11] offset:8
.LBB4_3042:                             ;   in Loop: Header=BB4_3025 Depth=3
	s_or_b64 exec, exec, s[26:27]
	v_and_b32_e32 v6, 0x100, v5
	v_cmp_ne_u32_e32 vcc, 0, v6
	s_mov_b64 s[26:27], -1
                                        ; implicit-def: $vgpr10_vgpr11
	s_and_saveexec_b64 s[76:77], vcc
	s_cbranch_execz .LBB4_3046
; %bb.3043:                             ;   in Loop: Header=BB4_3025 Depth=3
	buffer_load_dword v10, off, s[0:3], s33 offset:160 ; 4-byte Folded Reload
	buffer_load_dword v11, off, s[0:3], s33 offset:164 ; 4-byte Folded Reload
	;; [unrolled: 1-line block ×4, first 2 shown]
	s_waitcnt vmcnt(0)
	v_mad_u64_u32 v[12:13], s[26:27], v8, 24, v[10:11]
                                        ; implicit-def: $vgpr10_vgpr11
	v_mov_b32_e32 v6, v13
	v_mad_u64_u32 v[6:7], s[26:27], v9, 24, v[6:7]
	v_mov_b32_e32 v13, v6
	flat_load_dword v6, v[12:13]
	s_waitcnt vmcnt(0) lgkmcnt(0)
	v_cmp_ne_u32_e32 vcc, 1, v6
	v_cmp_eq_u32_e64 s[26:27], 1, v6
	s_and_saveexec_b64 s[78:79], s[26:27]
	s_cbranch_execz .LBB4_3045
; %bb.3044:                             ;   in Loop: Header=BB4_3025 Depth=3
	flat_load_dword v6, v[12:13] offset:4 glc
	s_waitcnt vmcnt(0) lgkmcnt(0)
	v_ashrrev_i32_e32 v7, 31, v6
	v_lshrrev_b64 v[10:11], 1, v[6:7]
.LBB4_3045:                             ;   in Loop: Header=BB4_3025 Depth=3
	s_or_b64 exec, exec, s[78:79]
	s_orn2_b64 s[26:27], vcc, exec
.LBB4_3046:                             ;   in Loop: Header=BB4_3025 Depth=3
	s_or_b64 exec, exec, s[76:77]
	s_and_saveexec_b64 s[76:77], s[26:27]
	s_cbranch_execz .LBB4_3048
; %bb.3047:                             ;   in Loop: Header=BB4_3025 Depth=3
	buffer_load_dword v10, off, s[0:3], s33 offset:184 ; 4-byte Folded Reload
	buffer_load_dword v7, off, s[0:3], s33 offset:196 ; 4-byte Folded Reload
	s_waitcnt vmcnt(0)
	v_mul_lo_u32 v6, v9, v10
	v_mul_lo_u32 v7, v8, v7
	v_mad_u64_u32 v[10:11], s[26:27], v8, v10, 0
	v_add3_u32 v11, v11, v7, v6
.LBB4_3048:                             ;   in Loop: Header=BB4_3025 Depth=3
	s_or_b64 exec, exec, s[76:77]
	buffer_load_dword v8, off, s[0:3], s33 offset:152 ; 4-byte Folded Reload
	buffer_load_dword v9, off, s[0:3], s33 offset:156 ; 4-byte Folded Reload
	v_cmp_eq_u32_e32 vcc, 0, v0
	v_mov_b32_e32 v0, 0xd0
	v_mov_b32_e32 v6, 0x88
	v_cndmask_b32_e32 v0, v0, v6, vcc
	v_lshlrev_b64 v[6:7], 1, v[10:11]
	v_add_u32_e32 v0, v0, v0
	s_waitcnt vmcnt(0)
	v_add_co_u32_e32 v6, vcc, v8, v6
	v_addc_co_u32_e32 v7, vcc, v9, v7, vcc
	ds_write_b64 v0, v[6:7] offset:584
	v_and_b32_e32 v0, 0x2000, v5
	v_cmp_ne_u32_e32 vcc, 0, v0
	s_and_saveexec_b64 s[26:27], vcc
	s_cbranch_execz .LBB4_3050
; %bb.3049:                             ;   in Loop: Header=BB4_3025 Depth=3
	ds_read_b64 v[6:7], v0 offset:872
	s_waitcnt lgkmcnt(0)
	v_add_co_u32_e32 v6, vcc, 1, v6
	v_addc_co_u32_e32 v7, vcc, 0, v7, vcc
	ds_write_b64 v0, v[6:7] offset:872
.LBB4_3050:                             ;   in Loop: Header=BB4_3025 Depth=3
	s_or_b64 exec, exec, s[26:27]
	v_mov_b32_e32 v7, v4
	v_mov_b32_e32 v6, v3
.LBB4_3051:                             ;   in Loop: Header=BB4_3025 Depth=3
	s_or_b64 exec, exec, s[74:75]
	s_xor_b64 s[26:27], s[42:43], -1
	s_and_b64 s[26:27], exec, s[26:27]
	s_or_b64 s[40:41], s[26:27], s[40:41]
	s_and_saveexec_b64 s[26:27], s[10:11]
	s_cbranch_execz .LBB4_3070
; %bb.3052:                             ;   in Loop: Header=BB4_3025 Depth=3
	s_and_saveexec_b64 s[42:43], s[56:57]
	s_xor_b64 s[42:43], exec, s[42:43]
	s_cbranch_execz .LBB4_3067
; %bb.3053:                             ;   in Loop: Header=BB4_3025 Depth=3
	s_and_saveexec_b64 s[74:75], s[16:17]
	s_cbranch_execz .LBB4_3066
; %bb.3054:                             ;   in Loop: Header=BB4_3025 Depth=3
	s_mov_b64 s[78:79], exec
	v_mbcnt_lo_u32_b32 v0, s78, 0
	v_mbcnt_hi_u32_b32 v0, s79, v0
	v_cmp_eq_u32_e32 vcc, 0, v0
	s_waitcnt vmcnt(0) lgkmcnt(0)
	buffer_wbinvl1_vol
	s_and_saveexec_b64 s[76:77], vcc
	s_cbranch_execz .LBB4_3056
; %bb.3055:                             ;   in Loop: Header=BB4_3025 Depth=3
	s_bcnt1_i32_b64 s8, s[78:79]
	v_mov_b32_e32 v3, s8
	v_mov_b32_e32 v4, v2
	ds_add_u64 v0, v[3:4]
	s_trap 2
.LBB4_3056:                             ;   in Loop: Header=BB4_3025 Depth=3
	s_or_b64 exec, exec, s[76:77]
	s_trap 2
	ds_read_b64 v[3:4], v0
	s_waitcnt lgkmcnt(0)
	v_add_co_u32_e32 v36, vcc, v36, v59
	v_addc_co_u32_e32 v37, vcc, 0, v37, vcc
	v_cmp_lt_u64_e32 vcc, v[3:4], v[36:37]
	s_and_saveexec_b64 s[76:77], vcc
	s_cbranch_execz .LBB4_3065
; %bb.3057:                             ;   in Loop: Header=BB4_3025 Depth=3
	s_mov_b32 s8, 0
	s_mov_b64 s[78:79], 0
                                        ; implicit-def: $sgpr88_sgpr89
                                        ; implicit-def: $sgpr90_sgpr91
	s_branch .LBB4_3059
.LBB4_3058:                             ;   in Loop: Header=BB4_3059 Depth=4
	s_or_b64 exec, exec, s[94:95]
	s_and_b64 s[92:93], exec, vcc
	s_or_b64 s[78:79], s[92:93], s[78:79]
	s_andn2_b64 s[88:89], s[88:89], exec
	s_and_b64 s[92:93], s[90:91], exec
	s_or_b64 s[88:89], s[88:89], s[92:93]
	s_andn2_b64 exec, exec, s[78:79]
	s_cbranch_execz .LBB4_3063
.LBB4_3059:                             ;   Parent Loop BB4_47 Depth=1
                                        ;     Parent Loop BB4_2773 Depth=2
                                        ;       Parent Loop BB4_3025 Depth=3
                                        ; =>      This Inner Loop Header: Depth=4
	s_add_i32 s8, s8, 1
	s_cmpk_lg_i32 s8, 0x2710
	s_cselect_b64 s[92:93], -1, 0
	s_and_b64 vcc, exec, s[92:93]
	s_cbranch_vccz .LBB4_3061
; %bb.3060:                             ;   in Loop: Header=BB4_3059 Depth=4
	s_mov_b64 vcc, -1
	s_or_b64 s[90:91], s[90:91], exec
	s_and_saveexec_b64 s[94:95], s[92:93]
	s_cbranch_execz .LBB4_3058
	s_branch .LBB4_3062
.LBB4_3061:                             ;   in Loop: Header=BB4_3059 Depth=4
	s_trap 2
	ds_read_b64 v[3:4], v0
	s_andn2_b64 s[92:93], s[92:93], exec
	s_mov_b32 s8, 0
	s_waitcnt lgkmcnt(0)
	flat_load_dword v0, v[3:4] glc
	s_waitcnt vmcnt(0) lgkmcnt(0)
	buffer_wbinvl1_vol
	v_cmp_eq_u32_e32 vcc, 0, v0
	s_and_b64 s[94:95], vcc, exec
	s_or_b64 s[92:93], s[92:93], s[94:95]
	s_mov_b64 vcc, -1
	s_or_b64 s[90:91], s[90:91], exec
	s_and_saveexec_b64 s[94:95], s[92:93]
	s_cbranch_execz .LBB4_3058
.LBB4_3062:                             ;   in Loop: Header=BB4_3059 Depth=4
	s_sleep 1
	s_trap 2
	ds_read_b64 v[3:4], v0
	s_waitcnt lgkmcnt(0)
	s_andn2_b64 s[90:91], s[90:91], exec
	v_cmp_ge_u64_e32 vcc, v[3:4], v[36:37]
	s_orn2_b64 vcc, vcc, exec
	s_branch .LBB4_3058
.LBB4_3063:                             ;   in Loop: Header=BB4_3025 Depth=3
	s_or_b64 exec, exec, s[78:79]
	s_and_saveexec_b64 s[78:79], s[88:89]
	s_xor_b64 s[78:79], exec, s[78:79]
	s_cbranch_execz .LBB4_3065
; %bb.3064:                             ;   in Loop: Header=BB4_3025 Depth=3
	v_mov_b32_e32 v0, 1
	ds_write_b32 v0, v0
	s_trap 2
.LBB4_3065:                             ;   in Loop: Header=BB4_3025 Depth=3
	s_or_b64 exec, exec, s[76:77]
	;;#ASMSTART
	s_wakeup
	;;#ASMEND
.LBB4_3066:                             ;   in Loop: Header=BB4_3025 Depth=3
	s_or_b64 exec, exec, s[74:75]
.LBB4_3067:                             ;   in Loop: Header=BB4_3025 Depth=3
	s_andn2_saveexec_b64 s[42:43], s[42:43]
	s_cbranch_execz .LBB4_3069
; %bb.3068:                             ;   in Loop: Header=BB4_3025 Depth=3
	s_waitcnt vmcnt(0) lgkmcnt(0)
	buffer_wbinvl1_vol
	s_barrier
.LBB4_3069:                             ;   in Loop: Header=BB4_3025 Depth=3
	s_or_b64 exec, exec, s[42:43]
.LBB4_3070:                             ;   in Loop: Header=BB4_3025 Depth=3
	s_or_b64 exec, exec, s[26:27]
                                        ; implicit-def: $vgpr0
	s_and_saveexec_b64 s[26:27], s[24:25]
	s_xor_b64 s[26:27], exec, s[26:27]
	s_cbranch_execz .LBB4_3074
; %bb.3071:                             ;   in Loop: Header=BB4_3025 Depth=3
	s_trap 2
	ds_read_b32 v0, v0
	v_cmp_lt_i32_e32 vcc, 0, v26
	v_and_b32_e32 v3, 16, v5
	s_waitcnt lgkmcnt(0)
	v_readfirstlane_b32 s8, v0
	s_cmp_eq_u32 s8, 0
	s_cselect_b64 s[42:43], -1, 0
	s_and_b64 s[42:43], vcc, s[42:43]
	v_cmp_ne_u32_e32 vcc, 0, v3
	v_and_b32_e32 v0, 16, v5
	s_and_b64 s[74:75], vcc, s[42:43]
	s_and_saveexec_b64 s[42:43], s[74:75]
	s_cbranch_execz .LBB4_3073
; %bb.3072:                             ;   in Loop: Header=BB4_3025 Depth=3
	v_mov_b32_e32 v0, 1
	s_waitcnt vmcnt(0)
	buffer_wbinvl1_vol
.LBB4_3073:                             ;   in Loop: Header=BB4_3025 Depth=3
	s_or_b64 exec, exec, s[42:43]
	s_andn2_saveexec_b64 s[26:27], s[26:27]
	s_cbranch_execz .LBB4_3093
	s_branch .LBB4_3075
.LBB4_3074:                             ;   in Loop: Header=BB4_3025 Depth=3
	s_andn2_saveexec_b64 s[26:27], s[26:27]
	s_cbranch_execz .LBB4_3093
.LBB4_3075:                             ;   in Loop: Header=BB4_3025 Depth=3
	s_and_saveexec_b64 s[42:43], s[56:57]
	s_xor_b64 s[42:43], exec, s[42:43]
	s_cbranch_execz .LBB4_3090
; %bb.3076:                             ;   in Loop: Header=BB4_3025 Depth=3
	s_and_saveexec_b64 s[74:75], s[16:17]
	s_cbranch_execz .LBB4_3089
; %bb.3077:                             ;   in Loop: Header=BB4_3025 Depth=3
	s_mov_b64 s[78:79], exec
	v_mbcnt_lo_u32_b32 v0, s78, 0
	v_mbcnt_hi_u32_b32 v0, s79, v0
	v_cmp_eq_u32_e32 vcc, 0, v0
	;;#ASMSTART
	s_waitcnt lgkmcnt(0) vmcnt(0)
	;;#ASMEND
	s_and_saveexec_b64 s[76:77], vcc
	s_cbranch_execz .LBB4_3079
; %bb.3078:                             ;   in Loop: Header=BB4_3025 Depth=3
	s_bcnt1_i32_b64 s8, s[78:79]
	v_mov_b32_e32 v3, s8
	v_mov_b32_e32 v4, v2
	s_waitcnt lgkmcnt(0)
	ds_add_u64 v0, v[3:4]
	s_trap 2
.LBB4_3079:                             ;   in Loop: Header=BB4_3025 Depth=3
	s_or_b64 exec, exec, s[76:77]
	s_trap 2
	ds_read_b64 v[3:4], v0
	s_waitcnt lgkmcnt(0)
	v_add_co_u32_e32 v36, vcc, v36, v59
	v_addc_co_u32_e32 v37, vcc, 0, v37, vcc
	v_cmp_lt_u64_e32 vcc, v[3:4], v[36:37]
	s_and_saveexec_b64 s[76:77], vcc
	s_cbranch_execz .LBB4_3088
; %bb.3080:                             ;   in Loop: Header=BB4_3025 Depth=3
	s_mov_b32 s8, 0
	s_mov_b64 s[78:79], 0
                                        ; implicit-def: $sgpr88_sgpr89
                                        ; implicit-def: $sgpr90_sgpr91
	s_branch .LBB4_3082
.LBB4_3081:                             ;   in Loop: Header=BB4_3082 Depth=4
	s_or_b64 exec, exec, s[94:95]
	s_and_b64 s[92:93], exec, vcc
	s_or_b64 s[78:79], s[92:93], s[78:79]
	s_andn2_b64 s[88:89], s[88:89], exec
	s_and_b64 s[92:93], s[90:91], exec
	s_or_b64 s[88:89], s[88:89], s[92:93]
	s_andn2_b64 exec, exec, s[78:79]
	s_cbranch_execz .LBB4_3086
.LBB4_3082:                             ;   Parent Loop BB4_47 Depth=1
                                        ;     Parent Loop BB4_2773 Depth=2
                                        ;       Parent Loop BB4_3025 Depth=3
                                        ; =>      This Inner Loop Header: Depth=4
	s_add_i32 s8, s8, 1
	s_cmpk_lg_i32 s8, 0x2710
	s_cselect_b64 s[92:93], -1, 0
	s_and_b64 vcc, exec, s[92:93]
	s_cbranch_vccz .LBB4_3084
; %bb.3083:                             ;   in Loop: Header=BB4_3082 Depth=4
	s_mov_b64 vcc, -1
	s_or_b64 s[90:91], s[90:91], exec
	s_and_saveexec_b64 s[94:95], s[92:93]
	s_cbranch_execz .LBB4_3081
	s_branch .LBB4_3085
.LBB4_3084:                             ;   in Loop: Header=BB4_3082 Depth=4
	s_trap 2
	ds_read_b64 v[3:4], v0
	s_andn2_b64 s[92:93], s[92:93], exec
	s_mov_b32 s8, 0
	s_waitcnt vmcnt(0) lgkmcnt(0)
	flat_load_dword v0, v[3:4] glc
	s_waitcnt vmcnt(0) lgkmcnt(0)
	buffer_wbinvl1_vol
	v_cmp_eq_u32_e32 vcc, 0, v0
	s_and_b64 s[94:95], vcc, exec
	s_or_b64 s[92:93], s[92:93], s[94:95]
	s_mov_b64 vcc, -1
	s_or_b64 s[90:91], s[90:91], exec
	s_and_saveexec_b64 s[94:95], s[92:93]
	s_cbranch_execz .LBB4_3081
.LBB4_3085:                             ;   in Loop: Header=BB4_3082 Depth=4
	s_sleep 1
	s_trap 2
	ds_read_b64 v[3:4], v0
	s_waitcnt lgkmcnt(0)
	s_andn2_b64 s[90:91], s[90:91], exec
	v_cmp_ge_u64_e32 vcc, v[3:4], v[36:37]
	s_orn2_b64 vcc, vcc, exec
	s_branch .LBB4_3081
.LBB4_3086:                             ;   in Loop: Header=BB4_3025 Depth=3
	s_or_b64 exec, exec, s[78:79]
	s_and_saveexec_b64 s[78:79], s[88:89]
	s_xor_b64 s[78:79], exec, s[78:79]
	s_cbranch_execz .LBB4_3088
; %bb.3087:                             ;   in Loop: Header=BB4_3025 Depth=3
	v_mov_b32_e32 v0, 1
	ds_write_b32 v0, v0
	s_trap 2
.LBB4_3088:                             ;   in Loop: Header=BB4_3025 Depth=3
	s_or_b64 exec, exec, s[76:77]
	;;#ASMSTART
	s_wakeup
	;;#ASMEND
.LBB4_3089:                             ;   in Loop: Header=BB4_3025 Depth=3
	s_or_b64 exec, exec, s[74:75]
.LBB4_3090:                             ;   in Loop: Header=BB4_3025 Depth=3
	s_andn2_saveexec_b64 s[42:43], s[42:43]
	s_cbranch_execz .LBB4_3092
; %bb.3091:                             ;   in Loop: Header=BB4_3025 Depth=3
	;;#ASMSTART
	s_waitcnt lgkmcnt(0) vmcnt(0)
	;;#ASMEND
	s_waitcnt vmcnt(0) lgkmcnt(0)
	s_barrier
.LBB4_3092:                             ;   in Loop: Header=BB4_3025 Depth=3
	s_or_b64 exec, exec, s[42:43]
	v_and_b32_e32 v0, 16, v5
.LBB4_3093:                             ;   in Loop: Header=BB4_3025 Depth=3
	s_or_b64 exec, exec, s[26:27]
	v_cmp_ne_u32_e32 vcc, 0, v0
	s_xor_b64 s[26:27], s[12:13], -1
	s_and_b64 s[42:43], vcc, s[26:27]
	s_and_saveexec_b64 s[26:27], s[42:43]
	s_cbranch_execz .LBB4_3095
; %bb.3094:                             ;   in Loop: Header=BB4_3025 Depth=3
	buffer_load_dword v3, off, s[0:3], s33 offset:176 ; 4-byte Folded Reload
	buffer_load_dword v4, off, s[0:3], s33 offset:180 ; 4-byte Folded Reload
	v_mov_b32_e32 v0, 1
	s_waitcnt vmcnt(0)
	flat_store_dword v[3:4], v0
.LBB4_3095:                             ;   in Loop: Header=BB4_3025 Depth=3
	s_or_b64 exec, exec, s[26:27]
	v_and_b32_e32 v0, 48, v5
	v_cmp_ne_u32_e32 vcc, 0, v0
	s_and_saveexec_b64 s[26:27], vcc
	s_cbranch_execz .LBB4_3024
; %bb.3096:                             ;   in Loop: Header=BB4_3025 Depth=3
	v_add_co_u32_e32 v6, vcc, 2, v6
	v_addc_co_u32_e32 v7, vcc, 0, v7, vcc
	flat_store_dwordx2 v[32:33], v[6:7]
	s_branch .LBB4_3024
.LBB4_3097:                             ;   in Loop: Header=BB4_2773 Depth=2
	s_or_b64 exec, exec, s[74:75]
	s_or_b64 exec, exec, s[42:43]
	v_cmp_gt_i32_e32 vcc, 2, v0
	s_and_saveexec_b64 s[28:29], vcc
	s_cbranch_execnz .LBB4_3023
.LBB4_3098:                             ;   in Loop: Header=BB4_2773 Depth=2
	s_or_b64 exec, exec, s[28:29]
	s_add_i32 s8, s9, 1
	s_cmp_eq_u32 s9, s97
	s_cbranch_scc0 .LBB4_3100
	s_branch .LBB4_3101
.LBB4_3099:                             ;   in Loop: Header=BB4_2773 Depth=2
	s_or_b64 exec, exec, s[40:41]
	s_or_b64 exec, exec, s[28:29]
	s_add_i32 s8, s9, 1
	s_cmp_eq_u32 s9, s97
	s_cbranch_scc1 .LBB4_3101
.LBB4_3100:                             ;   in Loop: Header=BB4_2773 Depth=2
	s_mov_b32 s9, s8
	s_branch .LBB4_2773
.LBB4_3101:                             ;   in Loop: Header=BB4_47 Depth=1
	buffer_load_dword v10, off, s[0:3], s33 offset:236 ; 4-byte Folded Reload
	buffer_load_dword v11, off, s[0:3], s33 offset:240 ; 4-byte Folded Reload
	s_waitcnt lgkmcnt(0)
	v_mov_b32_e32 v24, 0
	s_waitcnt vmcnt(0)
	v_mul_lo_u32 v8, v10, s96
	v_mul_lo_u32 v0, v11, s87
	v_mad_u64_u32 v[3:4], s[8:9], v10, s87, 0
	v_add3_u32 v4, v4, v8, v0
	buffer_load_dword v8, off, s[0:3], s33 offset:228 ; 4-byte Folded Reload
	buffer_load_dword v9, off, s[0:3], s33 offset:232 ; 4-byte Folded Reload
	v_mov_b32_e32 v0, 0
	s_waitcnt vmcnt(1)
	v_sub_co_u32_e32 v8, vcc, v8, v3
	s_waitcnt vmcnt(0)
	v_subb_co_u32_e32 v9, vcc, v9, v4, vcc
	v_cmp_lt_i64_e32 vcc, v[10:11], v[8:9]
	v_cndmask_b32_e32 v8, v8, v10, vcc
	v_max_i32_e32 v52, 0, v8
	v_add_u32_e32 v9, 31, v52
	v_lshrrev_b32_e32 v9, 1, v9
	v_and_b32_e32 v9, 0x3ffffff0, v9
	v_cmp_lt_i32_e32 vcc, 0, v8
	v_max_i32_e32 v53, s66, v9
	s_and_b64 s[8:9], s[72:73], vcc
	s_and_saveexec_b64 s[28:29], s[8:9]
	s_cbranch_execz .LBB4_3270
; %bb.3102:                             ;   in Loop: Header=BB4_47 Depth=1
	buffer_load_dword v8, off, s[0:3], s33 offset:204 ; 4-byte Folded Reload
	buffer_load_dword v9, off, s[0:3], s33 offset:208 ; 4-byte Folded Reload
	s_mov_b32 s9, 1
	s_mov_b64 s[42:43], -1
	v_mov_b32_e32 v24, 0
	s_mov_b64 s[40:41], 0
	s_waitcnt vmcnt(1)
	v_add_co_u32_e32 v3, vcc, v3, v8
	s_waitcnt vmcnt(0)
	v_addc_co_u32_e32 v4, vcc, v4, v9, vcc
	v_lshlrev_b64 v[26:27], 1, v[3:4]
	s_branch .LBB4_3104
.LBB4_3103:                             ;   in Loop: Header=BB4_3104 Depth=2
	s_or_b64 exec, exec, s[26:27]
	v_add_u32_e32 v24, v53, v24
	v_cmp_ge_i32_e32 vcc, v24, v52
	s_xor_b64 s[26:27], s[42:43], -1
	s_or_b64 s[26:27], s[26:27], vcc
	s_and_b64 s[26:27], exec, s[26:27]
	s_or_b64 s[40:41], s[26:27], s[40:41]
	s_mov_b64 s[42:43], 0
	v_mov_b32_e32 v0, s9
	s_mov_b32 s9, 2
	s_andn2_b64 exec, exec, s[40:41]
	s_cbranch_execz .LBB4_3269
.LBB4_3104:                             ;   Parent Loop BB4_47 Depth=1
                                        ; =>  This Loop Header: Depth=2
                                        ;       Child Loop BB4_3112 Depth 3
                                        ;       Child Loop BB4_3136 Depth 3
	;; [unrolled: 1-line block ×9, first 2 shown]
	s_and_saveexec_b64 s[26:27], s[4:5]
	s_cbranch_execz .LBB4_3106
; %bb.3105:                             ;   in Loop: Header=BB4_3104 Depth=2
	s_trap 2
	ds_read_b128 v[8:11], v0
	v_ashrrev_i32_e32 v25, 31, v24
	v_lshlrev_b64 v[3:4], 1, v[24:25]
	s_waitcnt lgkmcnt(0)
	v_add_co_u32_e32 v0, vcc, v8, v26
	v_addc_co_u32_e32 v9, vcc, v9, v27, vcc
	v_add_co_u32_e32 v8, vcc, v0, v3
	v_addc_co_u32_e32 v9, vcc, v9, v4, vcc
	ds_write_b64 v0, v[8:9]
	v_add_co_u32_e32 v0, vcc, v10, v26
	v_addc_co_u32_e32 v8, vcc, v11, v27, vcc
	v_add_co_u32_e32 v0, vcc, v0, v3
	v_addc_co_u32_e32 v3, vcc, v8, v4, vcc
	v_cmp_ne_u64_e32 vcc, 0, v[10:11]
	v_cndmask_b32_e32 v4, 0, v3, vcc
	v_cndmask_b32_e32 v3, 0, v0, vcc
	ds_write_b64 v0, v[3:4]
.LBB4_3106:                             ;   in Loop: Header=BB4_3104 Depth=2
	s_or_b64 exec, exec, s[26:27]
	v_and_b32_e32 v0, 4, v5
	v_cmp_ne_u32_e32 vcc, 0, v0
	s_and_saveexec_b64 s[74:75], vcc
	s_cbranch_execz .LBB4_3128
; %bb.3107:                             ;   in Loop: Header=BB4_3104 Depth=2
	v_add_co_u32_e32 v3, vcc, 2, v6
	v_addc_co_u32_e32 v4, vcc, 0, v7, vcc
	v_cmp_lt_u64_e32 vcc, v[38:39], v[3:4]
	s_and_saveexec_b64 s[76:77], vcc
	s_cbranch_execz .LBB4_3119
; %bb.3108:                             ;   in Loop: Header=BB4_3104 Depth=2
	v_and_b32_e32 v0, 64, v5
	s_mov_b32 s8, 0
	v_cmp_eq_u32_e32 vcc, 0, v0
	s_mov_b64 s[78:79], 0
                                        ; implicit-def: $sgpr88_sgpr89
                                        ; implicit-def: $sgpr90_sgpr91
                                        ; implicit-def: $sgpr92_sgpr93
	s_branch .LBB4_3112
.LBB4_3109:                             ;   in Loop: Header=BB4_3112 Depth=3
	s_waitcnt vmcnt(0) lgkmcnt(0)
	v_cmp_ge_u64_e64 s[26:27], v[38:39], v[3:4]
	s_or_b64 s[34:35], s[34:35], exec
	s_orn2_b64 s[30:31], s[26:27], exec
.LBB4_3110:                             ;   in Loop: Header=BB4_3112 Depth=3
	s_or_b64 exec, exec, s[38:39]
	s_andn2_b64 s[26:27], s[92:93], exec
	s_and_b64 s[92:93], s[34:35], exec
	s_or_b64 s[92:93], s[26:27], s[92:93]
	s_andn2_b64 s[26:27], s[90:91], exec
	s_and_b64 s[90:91], s[30:31], exec
	s_or_b64 s[90:91], s[26:27], s[90:91]
.LBB4_3111:                             ;   in Loop: Header=BB4_3112 Depth=3
	s_or_b64 exec, exec, s[94:95]
	s_and_b64 s[26:27], exec, s[90:91]
	s_or_b64 s[78:79], s[26:27], s[78:79]
	s_andn2_b64 s[26:27], s[88:89], exec
	s_and_b64 s[88:89], s[92:93], exec
	s_or_b64 s[88:89], s[26:27], s[88:89]
	s_andn2_b64 exec, exec, s[78:79]
	s_cbranch_execz .LBB4_3116
.LBB4_3112:                             ;   Parent Loop BB4_47 Depth=1
                                        ;     Parent Loop BB4_3104 Depth=2
                                        ; =>    This Inner Loop Header: Depth=3
	s_sleep 1
	s_waitcnt vmcnt(0) lgkmcnt(0)
	flat_load_dwordx2 v[38:39], v[32:33] glc
	s_or_b64 s[92:93], s[92:93], exec
	s_or_b64 s[90:91], s[90:91], exec
                                        ; implicit-def: $vgpr0
	s_and_saveexec_b64 s[94:95], vcc
	s_cbranch_execz .LBB4_3111
; %bb.3113:                             ;   in Loop: Header=BB4_3112 Depth=3
	s_cmpk_lt_i32 s8, 0x270f
	s_cselect_b64 s[36:37], -1, 0
	s_cmpk_gt_i32 s8, 0x270e
	s_mov_b64 s[30:31], -1
	s_cbranch_scc0 .LBB4_3115
; %bb.3114:                             ;   in Loop: Header=BB4_3112 Depth=3
	s_trap 2
	ds_read_b64 v[7:8], v0
	s_andn2_b64 s[36:37], s[36:37], exec
	s_mov_b32 s8, 0
	s_mov_b64 s[34:35], 0
	s_waitcnt vmcnt(0) lgkmcnt(0)
	flat_load_dword v0, v[7:8] glc
	s_waitcnt vmcnt(0) lgkmcnt(0)
	buffer_wbinvl1_vol
	v_cmp_eq_u32_e64 s[26:27], 0, v0
	s_and_b64 s[26:27], s[26:27], exec
	s_or_b64 s[36:37], s[36:37], s[26:27]
	s_and_saveexec_b64 s[38:39], s[36:37]
	s_cbranch_execz .LBB4_3110
	s_branch .LBB4_3109
.LBB4_3115:                             ;   in Loop: Header=BB4_3112 Depth=3
	s_add_i32 s8, s8, 1
	s_mov_b64 s[34:35], -1
                                        ; implicit-def: $vgpr0
	s_and_saveexec_b64 s[38:39], s[36:37]
	s_cbranch_execz .LBB4_3110
	s_branch .LBB4_3109
.LBB4_3116:                             ;   in Loop: Header=BB4_3104 Depth=2
	s_or_b64 exec, exec, s[78:79]
	s_xor_b64 s[26:27], s[88:89], -1
	s_and_saveexec_b64 s[78:79], s[26:27]
	s_xor_b64 s[26:27], exec, s[78:79]
	s_cbranch_execz .LBB4_3118
; %bb.3117:                             ;   in Loop: Header=BB4_3104 Depth=2
	v_or_b32_e32 v5, 64, v5
	s_waitcnt lgkmcnt(0)
	ds_write_b32 v0, v0
	s_trap 2
.LBB4_3118:                             ;   in Loop: Header=BB4_3104 Depth=2
	s_or_b64 exec, exec, s[26:27]
.LBB4_3119:                             ;   in Loop: Header=BB4_3104 Depth=2
	s_or_b64 exec, exec, s[76:77]
	v_and_b32_e32 v0, 0x100, v5
	v_cmp_ne_u32_e32 vcc, 0, v0
	v_and_b32_e32 v0, 7, v6
	s_mov_b64 s[26:27], -1
	;;#ASMSTART
	s_wakeup
	;;#ASMEND
                                        ; implicit-def: $vgpr8_vgpr9
	s_and_saveexec_b64 s[76:77], vcc
	s_cbranch_execz .LBB4_3123
; %bb.3120:                             ;   in Loop: Header=BB4_3104 Depth=2
	buffer_load_dword v6, off, s[0:3], s33 offset:160 ; 4-byte Folded Reload
	buffer_load_dword v7, off, s[0:3], s33 offset:164 ; 4-byte Folded Reload
	;; [unrolled: 1-line block ×4, first 2 shown]
                                        ; implicit-def: $vgpr8_vgpr9
	s_waitcnt vmcnt(0)
	v_mad_u64_u32 v[10:11], s[26:27], v0, 24, v[6:7]
	flat_load_dword v6, v[10:11]
	s_waitcnt vmcnt(0) lgkmcnt(0)
	v_cmp_ne_u32_e32 vcc, 1, v6
	v_cmp_eq_u32_e64 s[26:27], 1, v6
	s_and_saveexec_b64 s[78:79], s[26:27]
	s_cbranch_execz .LBB4_3122
; %bb.3121:                             ;   in Loop: Header=BB4_3104 Depth=2
	flat_load_dword v6, v[10:11] offset:4 glc
	s_waitcnt vmcnt(0) lgkmcnt(0)
	v_ashrrev_i32_e32 v7, 31, v6
	v_lshrrev_b64 v[8:9], 1, v[6:7]
.LBB4_3122:                             ;   in Loop: Header=BB4_3104 Depth=2
	s_or_b64 exec, exec, s[78:79]
	s_orn2_b64 s[26:27], vcc, exec
.LBB4_3123:                             ;   in Loop: Header=BB4_3104 Depth=2
	s_or_b64 exec, exec, s[76:77]
	s_and_saveexec_b64 s[76:77], s[26:27]
	s_cbranch_execz .LBB4_3125
; %bb.3124:                             ;   in Loop: Header=BB4_3104 Depth=2
	buffer_load_dword v6, off, s[0:3], s33 offset:184 ; 4-byte Folded Reload
	s_waitcnt vmcnt(0)
	v_mad_i64_i32 v[8:9], s[26:27], v0, v6, 0
.LBB4_3125:                             ;   in Loop: Header=BB4_3104 Depth=2
	s_or_b64 exec, exec, s[76:77]
	v_lshlrev_b64 v[6:7], 1, v[8:9]
	buffer_load_dword v8, off, s[0:3], s33 offset:152 ; 4-byte Folded Reload
	buffer_load_dword v9, off, s[0:3], s33 offset:156 ; 4-byte Folded Reload
	s_waitcnt vmcnt(0)
	v_add_co_u32_e32 v6, vcc, v8, v6
	v_addc_co_u32_e32 v7, vcc, v9, v7, vcc
	ds_write_b64 v0, v[6:7] offset:720
	v_and_b32_e32 v0, 0x2000, v5
	v_cmp_ne_u32_e32 vcc, 0, v0
	s_and_saveexec_b64 s[26:27], vcc
	s_cbranch_execz .LBB4_3127
; %bb.3126:                             ;   in Loop: Header=BB4_3104 Depth=2
	ds_read_b64 v[6:7], v0 offset:872
	s_waitcnt lgkmcnt(0)
	v_add_co_u32_e32 v6, vcc, 1, v6
	v_addc_co_u32_e32 v7, vcc, 0, v7, vcc
	ds_write_b64 v0, v[6:7] offset:872
.LBB4_3127:                             ;   in Loop: Header=BB4_3104 Depth=2
	s_or_b64 exec, exec, s[26:27]
	v_mov_b32_e32 v7, v4
	v_mov_b32_e32 v6, v3
.LBB4_3128:                             ;   in Loop: Header=BB4_3104 Depth=2
	s_or_b64 exec, exec, s[74:75]
	s_and_saveexec_b64 s[26:27], s[10:11]
	s_cbranch_execz .LBB4_3147
; %bb.3129:                             ;   in Loop: Header=BB4_3104 Depth=2
	s_and_saveexec_b64 s[74:75], s[56:57]
	s_xor_b64 s[74:75], exec, s[74:75]
	s_cbranch_execz .LBB4_3144
; %bb.3130:                             ;   in Loop: Header=BB4_3104 Depth=2
	s_and_saveexec_b64 s[76:77], s[16:17]
	s_cbranch_execz .LBB4_3143
; %bb.3131:                             ;   in Loop: Header=BB4_3104 Depth=2
	s_mov_b64 s[88:89], exec
	v_mbcnt_lo_u32_b32 v0, s88, 0
	v_mbcnt_hi_u32_b32 v0, s89, v0
	v_cmp_eq_u32_e32 vcc, 0, v0
	s_waitcnt vmcnt(0) lgkmcnt(0)
	buffer_wbinvl1_vol
	s_and_saveexec_b64 s[78:79], vcc
	s_cbranch_execz .LBB4_3133
; %bb.3132:                             ;   in Loop: Header=BB4_3104 Depth=2
	s_bcnt1_i32_b64 s8, s[88:89]
	v_mov_b32_e32 v3, s8
	v_mov_b32_e32 v4, v2
	ds_add_u64 v0, v[3:4]
	s_trap 2
.LBB4_3133:                             ;   in Loop: Header=BB4_3104 Depth=2
	s_or_b64 exec, exec, s[78:79]
	s_trap 2
	ds_read_b64 v[3:4], v0
	s_waitcnt lgkmcnt(0)
	v_add_co_u32_e32 v36, vcc, v36, v59
	v_addc_co_u32_e32 v37, vcc, 0, v37, vcc
	v_cmp_lt_u64_e32 vcc, v[3:4], v[36:37]
	s_and_saveexec_b64 s[78:79], vcc
	s_cbranch_execz .LBB4_3142
; %bb.3134:                             ;   in Loop: Header=BB4_3104 Depth=2
	s_mov_b32 s8, 0
	s_mov_b64 s[88:89], 0
                                        ; implicit-def: $sgpr90_sgpr91
                                        ; implicit-def: $sgpr92_sgpr93
	s_branch .LBB4_3136
.LBB4_3135:                             ;   in Loop: Header=BB4_3136 Depth=3
	s_or_b64 exec, exec, s[30:31]
	s_and_b64 s[94:95], exec, vcc
	s_or_b64 s[88:89], s[94:95], s[88:89]
	s_andn2_b64 s[90:91], s[90:91], exec
	s_and_b64 s[94:95], s[92:93], exec
	s_or_b64 s[90:91], s[90:91], s[94:95]
	s_andn2_b64 exec, exec, s[88:89]
	s_cbranch_execz .LBB4_3140
.LBB4_3136:                             ;   Parent Loop BB4_47 Depth=1
                                        ;     Parent Loop BB4_3104 Depth=2
                                        ; =>    This Inner Loop Header: Depth=3
	s_add_i32 s8, s8, 1
	s_cmpk_lg_i32 s8, 0x2710
	s_cselect_b64 s[94:95], -1, 0
	s_and_b64 vcc, exec, s[94:95]
	s_cbranch_vccz .LBB4_3138
; %bb.3137:                             ;   in Loop: Header=BB4_3136 Depth=3
	s_mov_b64 vcc, -1
	s_or_b64 s[92:93], s[92:93], exec
	s_and_saveexec_b64 s[30:31], s[94:95]
	s_cbranch_execz .LBB4_3135
	s_branch .LBB4_3139
.LBB4_3138:                             ;   in Loop: Header=BB4_3136 Depth=3
	s_trap 2
	ds_read_b64 v[3:4], v0
	s_andn2_b64 s[94:95], s[94:95], exec
	s_mov_b32 s8, 0
	s_waitcnt lgkmcnt(0)
	flat_load_dword v0, v[3:4] glc
	s_waitcnt vmcnt(0) lgkmcnt(0)
	buffer_wbinvl1_vol
	v_cmp_eq_u32_e32 vcc, 0, v0
	s_and_b64 vcc, vcc, exec
	s_or_b64 s[94:95], s[94:95], vcc
	s_mov_b64 vcc, -1
	s_or_b64 s[92:93], s[92:93], exec
	s_and_saveexec_b64 s[30:31], s[94:95]
	s_cbranch_execz .LBB4_3135
.LBB4_3139:                             ;   in Loop: Header=BB4_3136 Depth=3
	s_sleep 1
	s_trap 2
	ds_read_b64 v[3:4], v0
	s_waitcnt lgkmcnt(0)
	s_andn2_b64 s[92:93], s[92:93], exec
	v_cmp_ge_u64_e32 vcc, v[3:4], v[36:37]
	s_orn2_b64 vcc, vcc, exec
	s_branch .LBB4_3135
.LBB4_3140:                             ;   in Loop: Header=BB4_3104 Depth=2
	s_or_b64 exec, exec, s[88:89]
	s_and_saveexec_b64 s[88:89], s[90:91]
	s_xor_b64 s[88:89], exec, s[88:89]
	s_cbranch_execz .LBB4_3142
; %bb.3141:                             ;   in Loop: Header=BB4_3104 Depth=2
	v_mov_b32_e32 v0, 1
	ds_write_b32 v0, v0
	s_trap 2
.LBB4_3142:                             ;   in Loop: Header=BB4_3104 Depth=2
	s_or_b64 exec, exec, s[78:79]
	;;#ASMSTART
	s_wakeup
	;;#ASMEND
.LBB4_3143:                             ;   in Loop: Header=BB4_3104 Depth=2
	s_or_b64 exec, exec, s[76:77]
.LBB4_3144:                             ;   in Loop: Header=BB4_3104 Depth=2
	s_andn2_saveexec_b64 s[74:75], s[74:75]
	s_cbranch_execz .LBB4_3146
; %bb.3145:                             ;   in Loop: Header=BB4_3104 Depth=2
	s_waitcnt vmcnt(0) lgkmcnt(0)
	buffer_wbinvl1_vol
	s_barrier
.LBB4_3146:                             ;   in Loop: Header=BB4_3104 Depth=2
	s_or_b64 exec, exec, s[74:75]
.LBB4_3147:                             ;   in Loop: Header=BB4_3104 Depth=2
	s_or_b64 exec, exec, s[26:27]
	s_trap 2
	ds_read_b32 v0, v0
	v_and_b32_e32 v3, 0x4000, v5
	v_cmp_ne_u32_e32 vcc, 0, v3
	s_xor_b64 s[26:27], s[6:7], -1
	s_and_b64 s[74:75], s[26:27], vcc
	s_and_saveexec_b64 s[26:27], s[74:75]
	s_cbranch_execz .LBB4_3166
; %bb.3148:                             ;   in Loop: Header=BB4_3104 Depth=2
	s_and_saveexec_b64 s[74:75], s[56:57]
	s_xor_b64 s[74:75], exec, s[74:75]
	s_cbranch_execz .LBB4_3163
; %bb.3149:                             ;   in Loop: Header=BB4_3104 Depth=2
	s_and_saveexec_b64 s[76:77], s[16:17]
	s_cbranch_execz .LBB4_3162
; %bb.3150:                             ;   in Loop: Header=BB4_3104 Depth=2
	s_mov_b64 s[88:89], exec
	v_mbcnt_lo_u32_b32 v3, s88, 0
	v_mbcnt_hi_u32_b32 v3, s89, v3
	v_cmp_eq_u32_e32 vcc, 0, v3
	s_waitcnt vmcnt(0) lgkmcnt(0)
	buffer_wbinvl1_vol
	s_and_saveexec_b64 s[78:79], vcc
	s_cbranch_execz .LBB4_3152
; %bb.3151:                             ;   in Loop: Header=BB4_3104 Depth=2
	s_bcnt1_i32_b64 s8, s[88:89]
	v_mov_b32_e32 v3, s8
	v_mov_b32_e32 v4, v2
	ds_add_u64 v0, v[3:4]
	s_trap 2
.LBB4_3152:                             ;   in Loop: Header=BB4_3104 Depth=2
	s_or_b64 exec, exec, s[78:79]
	s_trap 2
	ds_read_b64 v[3:4], v0
	s_waitcnt lgkmcnt(0)
	v_add_co_u32_e32 v36, vcc, v36, v59
	v_addc_co_u32_e32 v37, vcc, 0, v37, vcc
	v_cmp_lt_u64_e32 vcc, v[3:4], v[36:37]
	s_and_saveexec_b64 s[78:79], vcc
	s_cbranch_execz .LBB4_3161
; %bb.3153:                             ;   in Loop: Header=BB4_3104 Depth=2
	s_mov_b32 s8, 0
	s_mov_b64 s[88:89], 0
                                        ; implicit-def: $sgpr90_sgpr91
                                        ; implicit-def: $sgpr92_sgpr93
	s_branch .LBB4_3155
.LBB4_3154:                             ;   in Loop: Header=BB4_3155 Depth=3
	s_or_b64 exec, exec, s[30:31]
	s_and_b64 s[94:95], exec, vcc
	s_or_b64 s[88:89], s[94:95], s[88:89]
	s_andn2_b64 s[90:91], s[90:91], exec
	s_and_b64 s[94:95], s[92:93], exec
	s_or_b64 s[90:91], s[90:91], s[94:95]
	s_andn2_b64 exec, exec, s[88:89]
	s_cbranch_execz .LBB4_3159
.LBB4_3155:                             ;   Parent Loop BB4_47 Depth=1
                                        ;     Parent Loop BB4_3104 Depth=2
                                        ; =>    This Inner Loop Header: Depth=3
	s_add_i32 s8, s8, 1
	s_cmpk_lg_i32 s8, 0x2710
	s_cselect_b64 s[94:95], -1, 0
	s_and_b64 vcc, exec, s[94:95]
	s_cbranch_vccz .LBB4_3157
; %bb.3156:                             ;   in Loop: Header=BB4_3155 Depth=3
	s_mov_b64 vcc, -1
	s_or_b64 s[92:93], s[92:93], exec
	s_and_saveexec_b64 s[30:31], s[94:95]
	s_cbranch_execz .LBB4_3154
	s_branch .LBB4_3158
.LBB4_3157:                             ;   in Loop: Header=BB4_3155 Depth=3
	s_trap 2
	ds_read_b64 v[3:4], v0
	s_andn2_b64 s[94:95], s[94:95], exec
	s_mov_b32 s8, 0
	s_waitcnt lgkmcnt(0)
	flat_load_dword v3, v[3:4] glc
	s_waitcnt vmcnt(0) lgkmcnt(0)
	buffer_wbinvl1_vol
	v_cmp_eq_u32_e32 vcc, 0, v3
	s_and_b64 vcc, vcc, exec
	s_or_b64 s[94:95], s[94:95], vcc
	s_mov_b64 vcc, -1
	s_or_b64 s[92:93], s[92:93], exec
	s_and_saveexec_b64 s[30:31], s[94:95]
	s_cbranch_execz .LBB4_3154
.LBB4_3158:                             ;   in Loop: Header=BB4_3155 Depth=3
	s_sleep 1
	s_trap 2
	ds_read_b64 v[3:4], v0
	s_waitcnt lgkmcnt(0)
	s_andn2_b64 s[92:93], s[92:93], exec
	v_cmp_ge_u64_e32 vcc, v[3:4], v[36:37]
	s_orn2_b64 vcc, vcc, exec
	s_branch .LBB4_3154
.LBB4_3159:                             ;   in Loop: Header=BB4_3104 Depth=2
	s_or_b64 exec, exec, s[88:89]
	s_and_saveexec_b64 s[88:89], s[90:91]
	s_xor_b64 s[88:89], exec, s[88:89]
	s_cbranch_execz .LBB4_3161
; %bb.3160:                             ;   in Loop: Header=BB4_3104 Depth=2
	v_mov_b32_e32 v3, 1
	ds_write_b32 v0, v3
	s_trap 2
.LBB4_3161:                             ;   in Loop: Header=BB4_3104 Depth=2
	s_or_b64 exec, exec, s[78:79]
	;;#ASMSTART
	s_wakeup
	;;#ASMEND
.LBB4_3162:                             ;   in Loop: Header=BB4_3104 Depth=2
	s_or_b64 exec, exec, s[76:77]
.LBB4_3163:                             ;   in Loop: Header=BB4_3104 Depth=2
	s_andn2_saveexec_b64 s[74:75], s[74:75]
	s_cbranch_execz .LBB4_3165
; %bb.3164:                             ;   in Loop: Header=BB4_3104 Depth=2
	s_waitcnt vmcnt(0) lgkmcnt(0)
	buffer_wbinvl1_vol
	s_barrier
.LBB4_3165:                             ;   in Loop: Header=BB4_3104 Depth=2
	s_or_b64 exec, exec, s[74:75]
.LBB4_3166:                             ;   in Loop: Header=BB4_3104 Depth=2
	s_or_b64 exec, exec, s[26:27]
	s_trap 2
	s_waitcnt lgkmcnt(0)
	ds_read_b64 v[28:29], v0
	v_sub_u32_e32 v3, v52, v24
	v_min_i32_e32 v53, v53, v3
	s_waitcnt lgkmcnt(0)
	v_cmp_eq_u64_e32 vcc, 0, v[28:29]
	s_cbranch_vccnz .LBB4_3174
; %bb.3167:                             ;   in Loop: Header=BB4_3104 Depth=2
	s_trap 2
	ds_read_b64 v[30:31], v0
	s_waitcnt lgkmcnt(0)
	v_cmp_eq_u64_e32 vcc, 0, v[30:31]
	s_cbranch_vccnz .LBB4_3174
; %bb.3168:                             ;   in Loop: Header=BB4_3104 Depth=2
	s_mov_b64 s[74:75], -1
	s_and_saveexec_b64 s[26:27], s[20:21]
	s_cbranch_execz .LBB4_3170
; %bb.3169:                             ;   in Loop: Header=BB4_3104 Depth=2
	ds_read_b32 v3, v0 offset:720
	s_waitcnt lgkmcnt(0)
	v_and_b32_e32 v3, 15, v3
	v_cmp_eq_u32_e32 vcc, 0, v3
	s_orn2_b64 s[74:75], vcc, exec
.LBB4_3170:                             ;   in Loop: Header=BB4_3104 Depth=2
	s_or_b64 exec, exec, s[26:27]
	s_and_saveexec_b64 s[26:27], s[18:19]
	s_cbranch_execz .LBB4_3172
; %bb.3171:                             ;   in Loop: Header=BB4_3104 Depth=2
	ds_read_b32 v3, v0 offset:784
	s_waitcnt lgkmcnt(0)
	v_and_b32_e32 v3, 15, v3
	v_cmp_eq_u32_e32 vcc, 0, v3
	s_and_b64 s[76:77], s[74:75], vcc
	s_andn2_b64 s[74:75], s[74:75], exec
	s_and_b64 s[76:77], s[76:77], exec
	s_or_b64 s[74:75], s[74:75], s[76:77]
.LBB4_3172:                             ;   in Loop: Header=BB4_3104 Depth=2
	s_or_b64 exec, exec, s[26:27]
	s_xor_b64 s[74:75], s[74:75], -1
	v_cmp_eq_u32_e64 s[26:27], 0, v0
	v_cndmask_b32_e64 v0, 0, 1, s[74:75]
	s_mov_b64 s[76:77], -1
	v_cmp_ne_u32_e32 vcc, 0, v0
	s_cbranch_vccz .LBB4_3179
; %bb.3173:                             ;   in Loop: Header=BB4_3104 Depth=2
	s_mov_b64 s[76:77], 0
	s_mov_b64 s[74:75], -1
	s_branch .LBB4_3180
.LBB4_3174:                             ;   in Loop: Header=BB4_3104 Depth=2
	s_mov_b64 s[26:27], 0
	s_and_saveexec_b64 s[74:75], s[10:11]
	s_cbranch_execnz .LBB4_3230
.LBB4_3175:                             ;   in Loop: Header=BB4_3104 Depth=2
	s_or_b64 exec, exec, s[74:75]
	s_and_saveexec_b64 s[74:75], s[24:25]
	s_xor_b64 s[74:75], exec, s[74:75]
	s_cbranch_execz .LBB4_3248
.LBB4_3176:                             ;   in Loop: Header=BB4_3104 Depth=2
	s_waitcnt vmcnt(0)
	v_and_b32_e32 v0, 16, v5
	v_cmp_ne_u32_e32 vcc, 0, v0
	s_and_b64 s[76:77], vcc, s[26:27]
	s_and_saveexec_b64 s[26:27], s[76:77]
	s_cbranch_execz .LBB4_3178
; %bb.3177:                             ;   in Loop: Header=BB4_3104 Depth=2
	s_waitcnt lgkmcnt(0)
	buffer_wbinvl1_vol
.LBB4_3178:                             ;   in Loop: Header=BB4_3104 Depth=2
	s_or_b64 exec, exec, s[26:27]
	s_andn2_saveexec_b64 s[26:27], s[74:75]
	s_cbranch_execz .LBB4_3267
	s_branch .LBB4_3249
.LBB4_3179:                             ;   in Loop: Header=BB4_3104 Depth=2
	s_mov_b64 s[74:75], 0
.LBB4_3180:                             ;   in Loop: Header=BB4_3104 Depth=2
	v_cndmask_b32_e64 v25, 0, v53, s[26:27]
	v_lshlrev_b32_e32 v60, 1, v25
	s_andn2_b64 vcc, exec, s[76:77]
	v_mov_b32_e32 v0, 0
	s_cbranch_vccnz .LBB4_3188
; %bb.3181:                             ;   in Loop: Header=BB4_3104 Depth=2
	buffer_load_dword v3, off, s[0:3], s33 offset:220 ; 4-byte Folded Reload
	v_ashrrev_i32_e32 v0, 31, v60
	v_lshrrev_b32_e32 v0, 21, v0
	v_add_u32_e32 v0, v60, v0
	v_ashrrev_i32_e32 v0, 11, v0
	s_mov_b64 s[76:77], 0
                                        ; implicit-def: $vgpr8_vgpr9
                                        ; implicit-def: $vgpr12_vgpr13
	s_waitcnt vmcnt(0)
	v_sub_u32_e32 v34, v0, v3
	buffer_load_dword v3, off, s[0:3], s33 offset:224 ; 4-byte Folded Reload
	s_waitcnt vmcnt(0)
	v_add_co_u32_e32 v3, vcc, v30, v3
	v_addc_co_u32_e32 v4, vcc, 0, v31, vcc
	v_cmp_lt_i32_e32 vcc, 0, v34
	s_and_saveexec_b64 s[26:27], vcc
	s_cbranch_execz .LBB4_3190
; %bb.3182:                             ;   in Loop: Header=BB4_3104 Depth=2
	buffer_load_dword v8, off, s[0:3], s33 offset:224 ; 4-byte Folded Reload
	s_mov_b64 s[88:89], 0
                                        ; implicit-def: $sgpr78_sgpr79
                                        ; implicit-def: $vgpr12_vgpr13
	s_waitcnt vmcnt(0)
	v_add_co_u32_e32 v50, vcc, v28, v8
	v_addc_co_u32_e32 v51, vcc, 0, v29, vcc
                                        ; implicit-def: $vgpr8_vgpr9
	s_branch .LBB4_3184
.LBB4_3183:                             ;   in Loop: Header=BB4_3184 Depth=3
	s_or_b64 exec, exec, s[90:91]
	global_store_dwordx4 v[3:4], v[16:19], off glc slc
	global_store_dwordx4 v[3:4], v[20:23], off offset:1024 glc slc
	s_waitcnt vmcnt(3)
	v_add_co_u32_e32 v3, vcc, v3, v56
	s_waitcnt vmcnt(2)
	v_addc_co_u32_e32 v4, vcc, v4, v57, vcc
	v_add_co_u32_e32 v3, vcc, 0x800, v3
	v_addc_co_u32_e32 v4, vcc, 0, v4, vcc
	v_add_co_u32_e32 v50, vcc, v50, v56
	v_addc_co_u32_e32 v51, vcc, v51, v57, vcc
	v_sub_u32_e32 v34, v34, v35
	v_cmp_gt_i32_e32 vcc, 1, v34
	s_or_b64 s[76:77], vcc, s[76:77]
	s_andn2_b64 s[78:79], s[78:79], exec
	s_and_b64 s[90:91], s[88:89], exec
	s_or_b64 s[78:79], s[78:79], s[90:91]
	s_andn2_b64 exec, exec, s[76:77]
	s_cbranch_execz .LBB4_3189
.LBB4_3184:                             ;   Parent Loop BB4_47 Depth=1
                                        ;     Parent Loop BB4_3104 Depth=2
                                        ; =>    This Inner Loop Header: Depth=3
	global_load_dwordx4 v[16:19], v[50:51], off glc slc
	global_load_dwordx4 v[20:23], v[50:51], off offset:1024 glc slc
	s_and_saveexec_b64 s[90:91], s[88:89]
	s_cbranch_execz .LBB4_3186
; %bb.3185:                             ;   in Loop: Header=BB4_3184 Depth=3
	buffer_load_dword v35, off, s[0:3], s33 offset:148 ; 4-byte Folded Reload
	v_add_co_u32_e32 v43, vcc, v3, v47
	global_store_dwordx4 v[3:4], v[8:11], off glc slc
	global_store_dwordx4 v[3:4], v[12:15], off offset:1024 glc slc
	s_waitcnt vmcnt(2)
	v_addc_co_u32_e32 v44, vcc, v4, v35, vcc
	v_mov_b32_e32 v3, v43
	v_mov_b32_e32 v4, v44
.LBB4_3186:                             ;   in Loop: Header=BB4_3184 Depth=3
	s_or_b64 exec, exec, s[90:91]
	buffer_load_dword v35, off, s[0:3], s33 offset:148 ; 4-byte Folded Reload
	v_add_co_u32_e32 v50, vcc, v50, v47
	v_sub_u32_e32 v34, v34, v59
	v_mov_b32_e32 v56, 0
	v_mov_b32_e32 v57, 0
	v_cmp_lt_i32_e64 s[88:89], 0, v34
	s_waitcnt vmcnt(0)
	v_addc_co_u32_e32 v51, vcc, v51, v35, vcc
	v_mov_b32_e32 v35, 0
	s_and_saveexec_b64 s[90:91], s[88:89]
	s_cbranch_execz .LBB4_3183
; %bb.3187:                             ;   in Loop: Header=BB4_3184 Depth=3
	global_load_dwordx4 v[8:11], v[50:51], off glc slc
	global_load_dwordx4 v[12:15], v[50:51], off offset:1024 glc slc
	buffer_load_dword v56, off, s[0:3], s33 offset:188 ; 4-byte Folded Reload
	buffer_load_dword v57, off, s[0:3], s33 offset:192 ; 4-byte Folded Reload
	v_add_co_u32_e32 v50, vcc, 0x800, v50
	v_addc_co_u32_e32 v51, vcc, 0, v51, vcc
	v_mov_b32_e32 v35, v59
	s_branch .LBB4_3183
.LBB4_3188:                             ;   in Loop: Header=BB4_3104 Depth=2
	buffer_load_dword v3, off, s[0:3], s33 offset:216 ; 4-byte Folded Reload
	buffer_load_dword v12, off, s[0:3], s33 offset:200 ; 4-byte Folded Reload
	s_and_saveexec_b64 s[26:27], s[74:75]
	s_cbranch_execnz .LBB4_3209
	s_branch .LBB4_3229
.LBB4_3189:                             ;   in Loop: Header=BB4_3104 Depth=2
	s_or_b64 exec, exec, s[76:77]
	s_and_b64 s[76:77], s[78:79], exec
.LBB4_3190:                             ;   in Loop: Header=BB4_3104 Depth=2
	s_or_b64 exec, exec, s[26:27]
	s_and_saveexec_b64 s[26:27], s[76:77]
	s_cbranch_execz .LBB4_3192
; %bb.3191:                             ;   in Loop: Header=BB4_3104 Depth=2
	global_store_dwordx4 v[3:4], v[8:11], off glc slc
	global_store_dwordx4 v[3:4], v[12:15], off offset:1024 glc slc
.LBB4_3192:                             ;   in Loop: Header=BB4_3104 Depth=2
	s_or_b64 exec, exec, s[26:27]
	v_lshlrev_b32_e32 v18, 11, v0
	v_cmp_ne_u32_e32 vcc, v60, v18
                                        ; implicit-def: $vgpr0
                                        ; implicit-def: $vgpr3
                                        ; implicit-def: $vgpr12
	s_and_saveexec_b64 s[76:77], vcc
	s_cbranch_execz .LBB4_3208
; %bb.3193:                             ;   in Loop: Header=BB4_3104 Depth=2
	buffer_load_dword v4, off, s[0:3], s33 offset:200 ; 4-byte Folded Reload
	v_lshlrev_b32_e32 v0, 6, v34
	v_sub_u32_e32 v3, v60, v18
	s_mov_b64 s[88:89], 0
	s_waitcnt vmcnt(0)
	v_sub_u32_e32 v0, v4, v0
	v_ashrrev_i32_e32 v4, 31, v0
	v_lshrrev_b32_e32 v4, 26, v4
	v_add_u32_e32 v4, v0, v4
	v_ashrrev_i32_e32 v8, 6, v4
	v_and_b32_e32 v4, 0xffffffc0, v4
	v_sub_u32_e32 v19, v0, v4
	v_ashrrev_i32_e32 v4, 31, v3
	v_lshrrev_b32_e32 v4, 22, v4
	v_add_u32_e32 v4, v3, v4
	v_and_b32_e32 v20, 0xfffffc00, v4
	v_lshlrev_b32_e32 v0, 4, v19
	v_sub_u32_e32 v22, v3, v20
	v_lshl_add_u32 v0, v8, 10, v0
	v_ashrrev_i32_e32 v9, 10, v4
	v_cmp_lt_i32_e64 s[26:27], 15, v22
	v_add_u32_e32 v10, v0, v18
	v_sub_u32_e32 v0, v3, v0
	v_addc_co_u32_e64 v3, vcc, 0, v9, s[26:27]
	v_sub_u32_e32 v21, v3, v8
	v_ashrrev_i32_e32 v11, 31, v10
	v_add_co_u32_e32 v3, vcc, v10, v30
	v_addc_co_u32_e32 v4, vcc, v11, v31, vcc
	v_cmp_lt_i32_e32 vcc, 15, v0
                                        ; implicit-def: $vgpr8_vgpr9
	s_and_saveexec_b64 s[78:79], vcc
	s_cbranch_execz .LBB4_3203
; %bb.3194:                             ;   in Loop: Header=BB4_3104 Depth=2
	v_add_co_u32_e32 v16, vcc, v10, v28
	v_addc_co_u32_e32 v17, vcc, v11, v29, vcc
	s_mov_b64 s[92:93], 0
                                        ; implicit-def: $sgpr90_sgpr91
                                        ; implicit-def: $vgpr8_vgpr9
	s_branch .LBB4_3196
.LBB4_3195:                             ;   in Loop: Header=BB4_3196 Depth=3
	s_or_b64 exec, exec, s[94:95]
	v_cmp_gt_i32_e32 vcc, 16, v0
	s_or_b64 s[88:89], vcc, s[88:89]
	s_andn2_b64 s[90:91], s[90:91], exec
	s_and_b64 s[94:95], s[92:93], exec
	s_or_b64 s[90:91], s[90:91], s[94:95]
	s_andn2_b64 exec, exec, s[88:89]
	s_cbranch_execz .LBB4_3202
.LBB4_3196:                             ;   Parent Loop BB4_47 Depth=1
                                        ;     Parent Loop BB4_3104 Depth=2
                                        ; =>    This Inner Loop Header: Depth=3
	global_load_dwordx4 v[12:15], v[16:17], off glc slc
	s_and_saveexec_b64 s[94:95], s[92:93]
	s_cbranch_execz .LBB4_3198
; %bb.3197:                             ;   in Loop: Header=BB4_3196 Depth=3
	buffer_load_dword v23, off, s[0:3], s33 offset:132 ; 4-byte Folded Reload
	s_waitcnt vmcnt(0)
	v_add_co_u32_e32 v34, vcc, v3, v23
	buffer_load_dword v23, off, s[0:3], s33 offset:136 ; 4-byte Folded Reload
	s_waitcnt vmcnt(0)
	v_addc_co_u32_e32 v35, vcc, v4, v23, vcc
	global_store_dwordx4 v[3:4], v[8:11], off glc slc
	v_mov_b32_e32 v3, v34
	v_mov_b32_e32 v4, v35
.LBB4_3198:                             ;   in Loop: Header=BB4_3196 Depth=3
	s_or_b64 exec, exec, s[94:95]
	buffer_load_dword v23, off, s[0:3], s33 offset:132 ; 4-byte Folded Reload
	s_waitcnt vmcnt(0)
	v_add_co_u32_e32 v16, vcc, v16, v23
	buffer_load_dword v23, off, s[0:3], s33 offset:136 ; 4-byte Folded Reload
	s_waitcnt vmcnt(0)
	v_addc_co_u32_e32 v17, vcc, v17, v23, vcc
	v_lshlrev_b32_e32 v23, 10, v59
	v_sub_u32_e32 v0, v0, v23
	v_cmp_lt_i32_e64 s[92:93], 15, v0
	s_and_saveexec_b64 s[94:95], s[92:93]
	s_cbranch_execz .LBB4_3200
; %bb.3199:                             ;   in Loop: Header=BB4_3196 Depth=3
	global_load_dwordx4 v[8:11], v[16:17], off glc slc
	v_add_co_u32_e32 v16, vcc, 0x400, v16
	v_addc_co_u32_e32 v17, vcc, 0, v17, vcc
.LBB4_3200:                             ;   in Loop: Header=BB4_3196 Depth=3
	s_or_b64 exec, exec, s[94:95]
	global_store_dwordx4 v[3:4], v[12:15], off glc slc
	v_add_co_u32_e32 v3, vcc, 0x400, v3
	v_sub_u32_e32 v21, v21, v59
	v_addc_co_u32_e32 v4, vcc, 0, v4, vcc
	s_and_saveexec_b64 s[94:95], s[92:93]
	s_cbranch_execz .LBB4_3195
; %bb.3201:                             ;   in Loop: Header=BB4_3196 Depth=3
	v_lshlrev_b32_e32 v12, 10, v59
	v_sub_u32_e32 v0, v0, v12
	buffer_load_dword v12, off, s[0:3], s33 offset:128 ; 4-byte Folded Reload
	v_sub_u32_e32 v21, v21, v59
	s_waitcnt vmcnt(0)
	v_add_co_u32_e32 v16, vcc, v16, v12
	v_addc_co_u32_e32 v17, vcc, v17, v49, vcc
	v_add_co_u32_e32 v3, vcc, v3, v12
	v_addc_co_u32_e32 v4, vcc, v4, v49, vcc
	s_branch .LBB4_3195
.LBB4_3202:                             ;   in Loop: Header=BB4_3104 Depth=2
	s_or_b64 exec, exec, s[88:89]
	s_and_b64 s[88:89], s[90:91], exec
.LBB4_3203:                             ;   in Loop: Header=BB4_3104 Depth=2
	s_or_b64 exec, exec, s[78:79]
	s_and_saveexec_b64 s[78:79], s[88:89]
	s_cbranch_execz .LBB4_3205
; %bb.3204:                             ;   in Loop: Header=BB4_3104 Depth=2
	s_waitcnt vmcnt(1)
	global_store_dwordx4 v[3:4], v[8:11], off glc slc
.LBB4_3205:                             ;   in Loop: Header=BB4_3104 Depth=2
	s_or_b64 exec, exec, s[78:79]
	v_and_b32_e32 v4, 14, v60
	v_cndmask_b32_e64 v60, v22, v4, s[26:27]
	v_cmp_ne_u32_e32 vcc, 0, v60
	s_mov_b64 s[88:89], s[74:75]
                                        ; implicit-def: $vgpr0
                                        ; implicit-def: $vgpr3
                                        ; implicit-def: $vgpr12
	s_and_saveexec_b64 s[78:79], vcc
	s_cbranch_execz .LBB4_3207
; %bb.3206:                             ;   in Loop: Header=BB4_3104 Depth=2
	v_cmp_lt_i32_e32 vcc, 0, v21
	v_cndmask_b32_e32 v3, 0, v59, vcc
	v_sub_u32_e32 v3, v3, v21
	v_lshl_add_u32 v3, v3, 6, v19
	v_sub_u32_e32 v0, v22, v4
	v_ashrrev_i32_e32 v4, 31, v3
	v_lshrrev_b32_e32 v4, 26, v4
	v_add_u32_e32 v4, v3, v4
	v_cndmask_b32_e64 v0, 0, v0, s[26:27]
	v_and_b32_e32 v4, 0xffffffc0, v4
	v_add3_u32 v0, v20, v18, v0
	v_sub_u32_e32 v12, v3, v4
	s_or_b64 s[88:89], s[74:75], exec
.LBB4_3207:                             ;   in Loop: Header=BB4_3104 Depth=2
	s_or_b64 exec, exec, s[78:79]
	s_andn2_b64 s[26:27], s[74:75], exec
	s_and_b64 s[74:75], s[88:89], exec
	s_or_b64 s[74:75], s[26:27], s[74:75]
.LBB4_3208:                             ;   in Loop: Header=BB4_3104 Depth=2
	s_or_b64 exec, exec, s[76:77]
	s_and_saveexec_b64 s[26:27], s[74:75]
	s_cbranch_execz .LBB4_3229
.LBB4_3209:                             ;   in Loop: Header=BB4_3104 Depth=2
	s_waitcnt vmcnt(0)
	v_ashrrev_i32_e32 v4, 31, v3
	v_lshrrev_b32_e32 v4, 26, v4
	v_add_u32_e32 v3, v3, v4
	v_ashrrev_i32_e32 v3, 6, v3
	v_lshlrev_b32_e32 v4, 9, v3
	s_waitcnt vmcnt(0)
	v_lshlrev_b32_e32 v8, 1, v12
	v_add3_u32 v8, v0, v8, v4
	v_ashrrev_i32_e32 v4, 31, v60
	v_lshrrev_b32_e32 v4, 23, v4
	v_add_u32_e32 v4, v60, v4
	v_ashrrev_i32_e32 v13, 9, v4
	v_sub_u32_e32 v10, v13, v3
	v_ashrrev_i32_e32 v9, 31, v8
	v_add_co_u32_e32 v3, vcc, v30, v8
	v_addc_co_u32_e32 v4, vcc, v31, v9, vcc
	v_cmp_lt_i32_e32 vcc, 0, v10
	s_mov_b64 s[76:77], 0
                                        ; implicit-def: $vgpr14
                                        ; implicit-def: $vgpr15
                                        ; implicit-def: $vgpr16
                                        ; implicit-def: $vgpr17
	s_and_saveexec_b64 s[74:75], vcc
	s_cbranch_execz .LBB4_3217
; %bb.3210:                             ;   in Loop: Header=BB4_3104 Depth=2
	v_add_co_u32_e32 v8, vcc, v8, v28
	v_addc_co_u32_e32 v9, vcc, v9, v29, vcc
	s_mov_b64 s[88:89], 0
                                        ; implicit-def: $sgpr78_sgpr79
                                        ; implicit-def: $vgpr14
                                        ; implicit-def: $vgpr15
                                        ; implicit-def: $vgpr16
                                        ; implicit-def: $vgpr17
	s_branch .LBB4_3212
.LBB4_3211:                             ;   in Loop: Header=BB4_3212 Depth=3
	s_or_b64 exec, exec, s[90:91]
	s_waitcnt vmcnt(0) lgkmcnt(0)
	flat_store_short v[3:4], v18 glc slc
	flat_store_short v[3:4], v19 offset:128 glc slc
	flat_store_short v[3:4], v20 offset:256 glc slc
	;; [unrolled: 1-line block ×3, first 2 shown]
	v_add_co_u32_e32 v3, vcc, v3, v10
	v_addc_co_u32_e32 v4, vcc, v4, v11, vcc
	v_add_co_u32_e32 v3, vcc, 0x200, v3
	v_addc_co_u32_e32 v4, vcc, 0, v4, vcc
	;; [unrolled: 2-line block ×3, first 2 shown]
	v_sub_u32_e32 v10, v22, v23
	v_cmp_gt_i32_e32 vcc, 1, v10
	s_or_b64 s[76:77], vcc, s[76:77]
	s_andn2_b64 s[78:79], s[78:79], exec
	s_and_b64 s[90:91], s[88:89], exec
	s_or_b64 s[78:79], s[78:79], s[90:91]
	s_andn2_b64 exec, exec, s[76:77]
	s_cbranch_execz .LBB4_3216
.LBB4_3212:                             ;   Parent Loop BB4_47 Depth=1
                                        ;     Parent Loop BB4_3104 Depth=2
                                        ; =>    This Inner Loop Header: Depth=3
	flat_load_ushort v18, v[8:9] glc slc
	flat_load_ushort v19, v[8:9] offset:128 glc slc
	flat_load_ushort v20, v[8:9] offset:256 glc slc
	flat_load_ushort v21, v[8:9] offset:384 glc slc
	s_and_saveexec_b64 s[90:91], s[88:89]
	s_cbranch_execz .LBB4_3214
; %bb.3213:                             ;   in Loop: Header=BB4_3212 Depth=3
	flat_store_short v[3:4], v14 glc slc
	flat_store_short v[3:4], v15 offset:128 glc slc
	flat_store_short v[3:4], v16 offset:256 glc slc
	;; [unrolled: 1-line block ×3, first 2 shown]
	v_add_co_u32_e32 v3, vcc, v3, v1
	v_addc_co_u32_e32 v4, vcc, v4, v42, vcc
.LBB4_3214:                             ;   in Loop: Header=BB4_3212 Depth=3
	s_or_b64 exec, exec, s[90:91]
	v_add_co_u32_e32 v8, vcc, v8, v1
	v_sub_u32_e32 v22, v10, v59
	v_mov_b32_e32 v10, 0
	v_addc_co_u32_e32 v9, vcc, v9, v42, vcc
	v_mov_b32_e32 v23, 0
	v_mov_b32_e32 v11, 0
	v_cmp_lt_i32_e64 s[88:89], 0, v22
	s_and_saveexec_b64 s[90:91], s[88:89]
	s_cbranch_execz .LBB4_3211
; %bb.3215:                             ;   in Loop: Header=BB4_3212 Depth=3
	flat_load_ushort v14, v[8:9] glc slc
	flat_load_ushort v15, v[8:9] offset:128 glc slc
	flat_load_ushort v16, v[8:9] offset:256 glc slc
	flat_load_ushort v17, v[8:9] offset:384 glc slc
	v_add_co_u32_e32 v8, vcc, 0x200, v8
	v_mov_b32_e32 v10, v54
	v_addc_co_u32_e32 v9, vcc, 0, v9, vcc
	v_mov_b32_e32 v23, v59
	v_mov_b32_e32 v11, v55
	s_branch .LBB4_3211
.LBB4_3216:                             ;   in Loop: Header=BB4_3104 Depth=2
	s_or_b64 exec, exec, s[76:77]
	s_and_b64 s[76:77], s[78:79], exec
.LBB4_3217:                             ;   in Loop: Header=BB4_3104 Depth=2
	s_or_b64 exec, exec, s[74:75]
	s_and_saveexec_b64 s[74:75], s[76:77]
	s_cbranch_execz .LBB4_3219
; %bb.3218:                             ;   in Loop: Header=BB4_3104 Depth=2
	flat_store_short v[3:4], v14 glc slc
	flat_store_short v[3:4], v15 offset:128 glc slc
	flat_store_short v[3:4], v16 offset:256 glc slc
	;; [unrolled: 1-line block ×3, first 2 shown]
.LBB4_3219:                             ;   in Loop: Header=BB4_3104 Depth=2
	s_or_b64 exec, exec, s[74:75]
	v_lshlrev_b32_e32 v3, 9, v13
	v_cmp_ne_u32_e32 vcc, v60, v3
	s_and_b64 exec, exec, vcc
	s_cbranch_execz .LBB4_3229
; %bb.3220:                             ;   in Loop: Header=BB4_3104 Depth=2
	v_lshlrev_b32_e32 v4, 6, v10
	v_sub_u32_e32 v4, v12, v4
	v_ashrrev_i32_e32 v8, 31, v4
	v_lshrrev_b32_e32 v8, 26, v8
	v_add_u32_e32 v8, v4, v8
	v_and_b32_e32 v9, 0x7fffffc0, v8
	v_sub_u32_e32 v4, v4, v9
	v_lshlrev_b32_e32 v8, 1, v8
	v_and_b32_e32 v8, 0xffffff80, v8
	v_lshlrev_b32_e32 v4, 1, v4
	v_add3_u32 v3, v8, v4, v3
	v_sub_u32_e32 v10, v60, v3
	v_cmp_lt_i32_e32 vcc, 1, v10
	s_and_b64 exec, exec, vcc
	s_cbranch_execz .LBB4_3229
; %bb.3221:                             ;   in Loop: Header=BB4_3104 Depth=2
	v_add_u32_e32 v0, v3, v0
	v_ashrrev_i32_e32 v9, 31, v0
	v_add_co_u32_e32 v3, vcc, v30, v0
	v_addc_co_u32_e32 v4, vcc, v31, v9, vcc
	v_add_co_u32_e32 v8, vcc, v0, v28
	v_addc_co_u32_e32 v9, vcc, v9, v29, vcc
	s_mov_b64 s[78:79], 0
	s_mov_b64 s[74:75], 0
                                        ; implicit-def: $sgpr76_sgpr77
                                        ; implicit-def: $vgpr0
	s_branch .LBB4_3223
.LBB4_3222:                             ;   in Loop: Header=BB4_3223 Depth=3
	s_or_b64 exec, exec, s[88:89]
	s_waitcnt lgkmcnt(0)
	flat_store_short v[3:4], v12 glc slc
	v_add_co_u32_e32 v3, vcc, v3, v10
	v_addc_co_u32_e32 v4, vcc, v4, v11, vcc
	v_add_co_u32_e32 v8, vcc, v8, v10
	v_addc_co_u32_e32 v9, vcc, v9, v11, vcc
	;; [unrolled: 2-line block ×3, first 2 shown]
	v_sub_u32_e32 v10, v13, v14
	v_cmp_gt_i32_e32 vcc, 2, v10
	s_or_b64 s[74:75], vcc, s[74:75]
	s_andn2_b64 s[76:77], s[76:77], exec
	s_and_b64 s[88:89], s[78:79], exec
	s_or_b64 s[76:77], s[76:77], s[88:89]
	s_andn2_b64 exec, exec, s[74:75]
	s_cbranch_execz .LBB4_3227
.LBB4_3223:                             ;   Parent Loop BB4_47 Depth=1
                                        ;     Parent Loop BB4_3104 Depth=2
                                        ; =>    This Inner Loop Header: Depth=3
	flat_load_ushort v12, v[8:9] glc slc
	s_and_saveexec_b64 s[88:89], s[78:79]
	s_cbranch_execz .LBB4_3225
; %bb.3224:                             ;   in Loop: Header=BB4_3223 Depth=3
	buffer_load_dword v11, off, s[0:3], s33 offset:140 ; 4-byte Folded Reload
	s_waitcnt vmcnt(0)
	v_add_co_u32_e32 v13, vcc, v3, v11
	buffer_load_dword v11, off, s[0:3], s33 offset:144 ; 4-byte Folded Reload
	s_waitcnt vmcnt(0)
	v_addc_co_u32_e32 v14, vcc, v4, v11, vcc
	flat_store_short v[3:4], v0 glc slc
	v_mov_b32_e32 v3, v13
	v_mov_b32_e32 v4, v14
.LBB4_3225:                             ;   in Loop: Header=BB4_3223 Depth=3
	s_or_b64 exec, exec, s[88:89]
	buffer_load_dword v11, off, s[0:3], s33 offset:140 ; 4-byte Folded Reload
	v_mov_b32_e32 v14, 0
	s_waitcnt vmcnt(0)
	v_add_co_u32_e32 v8, vcc, v8, v11
	buffer_load_dword v11, off, s[0:3], s33 offset:144 ; 4-byte Folded Reload
	s_waitcnt vmcnt(0)
	v_addc_co_u32_e32 v9, vcc, v9, v11, vcc
	v_lshlrev_b32_e32 v11, 7, v59
	v_sub_u32_e32 v13, v10, v11
	v_mov_b32_e32 v10, 0
	v_cmp_lt_i32_e64 s[78:79], 1, v13
	v_mov_b32_e32 v11, 0
	s_and_saveexec_b64 s[88:89], s[78:79]
	s_cbranch_execz .LBB4_3222
; %bb.3226:                             ;   in Loop: Header=BB4_3223 Depth=3
	flat_load_ushort v0, v[8:9] glc slc
	v_add_co_u32_e32 v8, vcc, 0x80, v8
	v_mov_b32_e32 v10, v40
	v_addc_co_u32_e32 v9, vcc, 0, v9, vcc
	v_lshlrev_b32_e32 v14, 7, v59
	v_mov_b32_e32 v11, v41
	s_branch .LBB4_3222
.LBB4_3227:                             ;   in Loop: Header=BB4_3104 Depth=2
	s_or_b64 exec, exec, s[74:75]
	s_and_b64 exec, exec, s[76:77]
	s_cbranch_execz .LBB4_3229
; %bb.3228:                             ;   in Loop: Header=BB4_3104 Depth=2
	s_waitcnt vmcnt(0)
	flat_store_short v[3:4], v0 glc slc
.LBB4_3229:                             ;   in Loop: Header=BB4_3104 Depth=2
	s_or_b64 exec, exec, s[26:27]
	v_cmp_lt_i32_e64 s[26:27], 0, v25
	s_and_saveexec_b64 s[74:75], s[10:11]
	s_cbranch_execz .LBB4_3175
.LBB4_3230:                             ;   in Loop: Header=BB4_3104 Depth=2
	s_and_saveexec_b64 s[76:77], s[56:57]
	s_xor_b64 s[76:77], exec, s[76:77]
	s_cbranch_execz .LBB4_3245
; %bb.3231:                             ;   in Loop: Header=BB4_3104 Depth=2
	s_and_saveexec_b64 s[78:79], s[16:17]
	s_cbranch_execz .LBB4_3244
; %bb.3232:                             ;   in Loop: Header=BB4_3104 Depth=2
	s_mov_b64 s[90:91], exec
	s_waitcnt vmcnt(0)
	v_mbcnt_lo_u32_b32 v0, s90, 0
	v_mbcnt_hi_u32_b32 v0, s91, v0
	v_cmp_eq_u32_e32 vcc, 0, v0
	s_waitcnt lgkmcnt(0)
	buffer_wbinvl1_vol
	s_and_saveexec_b64 s[88:89], vcc
	s_cbranch_execz .LBB4_3234
; %bb.3233:                             ;   in Loop: Header=BB4_3104 Depth=2
	s_bcnt1_i32_b64 s8, s[90:91]
	v_mov_b32_e32 v3, s8
	v_mov_b32_e32 v4, v2
	ds_add_u64 v0, v[3:4]
	s_trap 2
.LBB4_3234:                             ;   in Loop: Header=BB4_3104 Depth=2
	s_or_b64 exec, exec, s[88:89]
	s_trap 2
	ds_read_b64 v[3:4], v0
	s_waitcnt lgkmcnt(0)
	v_add_co_u32_e32 v36, vcc, v36, v59
	v_addc_co_u32_e32 v37, vcc, 0, v37, vcc
	v_cmp_lt_u64_e32 vcc, v[3:4], v[36:37]
	s_and_saveexec_b64 s[88:89], vcc
	s_cbranch_execz .LBB4_3243
; %bb.3235:                             ;   in Loop: Header=BB4_3104 Depth=2
	s_mov_b32 s8, 0
	s_mov_b64 s[90:91], 0
                                        ; implicit-def: $sgpr92_sgpr93
                                        ; implicit-def: $sgpr94_sgpr95
	s_branch .LBB4_3237
.LBB4_3236:                             ;   in Loop: Header=BB4_3237 Depth=3
	s_or_b64 exec, exec, s[34:35]
	s_and_b64 vcc, exec, vcc
	s_or_b64 s[90:91], vcc, s[90:91]
	s_andn2_b64 s[92:93], s[92:93], exec
	s_and_b64 vcc, s[94:95], exec
	s_or_b64 s[92:93], s[92:93], vcc
	s_andn2_b64 exec, exec, s[90:91]
	s_cbranch_execz .LBB4_3241
.LBB4_3237:                             ;   Parent Loop BB4_47 Depth=1
                                        ;     Parent Loop BB4_3104 Depth=2
                                        ; =>    This Inner Loop Header: Depth=3
	s_add_i32 s8, s8, 1
	s_cmpk_lg_i32 s8, 0x2710
	s_cselect_b64 s[30:31], -1, 0
	s_and_b64 vcc, exec, s[30:31]
	s_cbranch_vccz .LBB4_3239
; %bb.3238:                             ;   in Loop: Header=BB4_3237 Depth=3
	s_mov_b64 vcc, -1
	s_or_b64 s[94:95], s[94:95], exec
	s_and_saveexec_b64 s[34:35], s[30:31]
	s_cbranch_execz .LBB4_3236
	s_branch .LBB4_3240
.LBB4_3239:                             ;   in Loop: Header=BB4_3237 Depth=3
	s_trap 2
	ds_read_b64 v[3:4], v0
	s_andn2_b64 s[30:31], s[30:31], exec
	s_mov_b32 s8, 0
	s_waitcnt lgkmcnt(0)
	flat_load_dword v0, v[3:4] glc
	s_waitcnt vmcnt(0) lgkmcnt(0)
	buffer_wbinvl1_vol
	v_cmp_eq_u32_e32 vcc, 0, v0
	s_and_b64 vcc, vcc, exec
	s_or_b64 s[30:31], s[30:31], vcc
	s_mov_b64 vcc, -1
	s_or_b64 s[94:95], s[94:95], exec
	s_and_saveexec_b64 s[34:35], s[30:31]
	s_cbranch_execz .LBB4_3236
.LBB4_3240:                             ;   in Loop: Header=BB4_3237 Depth=3
	s_sleep 1
	s_trap 2
	ds_read_b64 v[3:4], v0
	s_waitcnt lgkmcnt(0)
	s_andn2_b64 s[94:95], s[94:95], exec
	v_cmp_ge_u64_e32 vcc, v[3:4], v[36:37]
	s_orn2_b64 vcc, vcc, exec
	s_branch .LBB4_3236
.LBB4_3241:                             ;   in Loop: Header=BB4_3104 Depth=2
	s_or_b64 exec, exec, s[90:91]
	s_and_saveexec_b64 s[90:91], s[92:93]
	s_xor_b64 s[90:91], exec, s[90:91]
	s_cbranch_execz .LBB4_3243
; %bb.3242:                             ;   in Loop: Header=BB4_3104 Depth=2
	v_mov_b32_e32 v0, 1
	ds_write_b32 v0, v0
	s_trap 2
.LBB4_3243:                             ;   in Loop: Header=BB4_3104 Depth=2
	s_or_b64 exec, exec, s[88:89]
	;;#ASMSTART
	s_wakeup
	;;#ASMEND
.LBB4_3244:                             ;   in Loop: Header=BB4_3104 Depth=2
	s_or_b64 exec, exec, s[78:79]
.LBB4_3245:                             ;   in Loop: Header=BB4_3104 Depth=2
	s_andn2_saveexec_b64 s[76:77], s[76:77]
	s_cbranch_execz .LBB4_3247
; %bb.3246:                             ;   in Loop: Header=BB4_3104 Depth=2
	s_waitcnt vmcnt(0) lgkmcnt(0)
	buffer_wbinvl1_vol
	s_barrier
.LBB4_3247:                             ;   in Loop: Header=BB4_3104 Depth=2
	s_or_b64 exec, exec, s[76:77]
	s_or_b64 exec, exec, s[74:75]
	s_and_saveexec_b64 s[74:75], s[24:25]
	s_xor_b64 s[74:75], exec, s[74:75]
	s_cbranch_execnz .LBB4_3176
.LBB4_3248:                             ;   in Loop: Header=BB4_3104 Depth=2
	s_andn2_saveexec_b64 s[26:27], s[74:75]
	s_cbranch_execz .LBB4_3267
.LBB4_3249:                             ;   in Loop: Header=BB4_3104 Depth=2
	s_and_saveexec_b64 s[74:75], s[56:57]
	s_xor_b64 s[74:75], exec, s[74:75]
	s_cbranch_execz .LBB4_3264
; %bb.3250:                             ;   in Loop: Header=BB4_3104 Depth=2
	s_and_saveexec_b64 s[76:77], s[16:17]
	s_cbranch_execz .LBB4_3263
; %bb.3251:                             ;   in Loop: Header=BB4_3104 Depth=2
	s_mov_b64 s[88:89], exec
	s_waitcnt vmcnt(0)
	v_mbcnt_lo_u32_b32 v0, s88, 0
	v_mbcnt_hi_u32_b32 v0, s89, v0
	v_cmp_eq_u32_e32 vcc, 0, v0
	;;#ASMSTART
	s_waitcnt lgkmcnt(0) vmcnt(0)
	;;#ASMEND
	s_and_saveexec_b64 s[78:79], vcc
	s_cbranch_execz .LBB4_3253
; %bb.3252:                             ;   in Loop: Header=BB4_3104 Depth=2
	s_bcnt1_i32_b64 s8, s[88:89]
	v_mov_b32_e32 v3, s8
	v_mov_b32_e32 v4, v2
	s_waitcnt lgkmcnt(0)
	ds_add_u64 v0, v[3:4]
	s_trap 2
.LBB4_3253:                             ;   in Loop: Header=BB4_3104 Depth=2
	s_or_b64 exec, exec, s[78:79]
	s_trap 2
	ds_read_b64 v[3:4], v0
	s_waitcnt lgkmcnt(0)
	v_add_co_u32_e32 v36, vcc, v36, v59
	v_addc_co_u32_e32 v37, vcc, 0, v37, vcc
	v_cmp_lt_u64_e32 vcc, v[3:4], v[36:37]
	s_and_saveexec_b64 s[78:79], vcc
	s_cbranch_execz .LBB4_3262
; %bb.3254:                             ;   in Loop: Header=BB4_3104 Depth=2
	s_mov_b32 s8, 0
	s_mov_b64 s[88:89], 0
                                        ; implicit-def: $sgpr90_sgpr91
                                        ; implicit-def: $sgpr92_sgpr93
	s_branch .LBB4_3256
.LBB4_3255:                             ;   in Loop: Header=BB4_3256 Depth=3
	s_or_b64 exec, exec, s[30:31]
	s_and_b64 s[94:95], exec, vcc
	s_or_b64 s[88:89], s[94:95], s[88:89]
	s_andn2_b64 s[90:91], s[90:91], exec
	s_and_b64 s[94:95], s[92:93], exec
	s_or_b64 s[90:91], s[90:91], s[94:95]
	s_andn2_b64 exec, exec, s[88:89]
	s_cbranch_execz .LBB4_3260
.LBB4_3256:                             ;   Parent Loop BB4_47 Depth=1
                                        ;     Parent Loop BB4_3104 Depth=2
                                        ; =>    This Inner Loop Header: Depth=3
	s_add_i32 s8, s8, 1
	s_cmpk_lg_i32 s8, 0x2710
	s_cselect_b64 s[94:95], -1, 0
	s_and_b64 vcc, exec, s[94:95]
	s_cbranch_vccz .LBB4_3258
; %bb.3257:                             ;   in Loop: Header=BB4_3256 Depth=3
	s_mov_b64 vcc, -1
	s_or_b64 s[92:93], s[92:93], exec
	s_and_saveexec_b64 s[30:31], s[94:95]
	s_cbranch_execz .LBB4_3255
	s_branch .LBB4_3259
.LBB4_3258:                             ;   in Loop: Header=BB4_3256 Depth=3
	s_trap 2
	ds_read_b64 v[3:4], v0
	s_andn2_b64 s[94:95], s[94:95], exec
	s_mov_b32 s8, 0
	s_waitcnt lgkmcnt(0)
	flat_load_dword v0, v[3:4] glc
	s_waitcnt vmcnt(0) lgkmcnt(0)
	buffer_wbinvl1_vol
	v_cmp_eq_u32_e32 vcc, 0, v0
	s_and_b64 vcc, vcc, exec
	s_or_b64 s[94:95], s[94:95], vcc
	s_mov_b64 vcc, -1
	s_or_b64 s[92:93], s[92:93], exec
	s_and_saveexec_b64 s[30:31], s[94:95]
	s_cbranch_execz .LBB4_3255
.LBB4_3259:                             ;   in Loop: Header=BB4_3256 Depth=3
	s_sleep 1
	s_trap 2
	ds_read_b64 v[3:4], v0
	s_waitcnt lgkmcnt(0)
	s_andn2_b64 s[92:93], s[92:93], exec
	v_cmp_ge_u64_e32 vcc, v[3:4], v[36:37]
	s_orn2_b64 vcc, vcc, exec
	s_branch .LBB4_3255
.LBB4_3260:                             ;   in Loop: Header=BB4_3104 Depth=2
	s_or_b64 exec, exec, s[88:89]
	s_and_saveexec_b64 s[88:89], s[90:91]
	s_xor_b64 s[88:89], exec, s[88:89]
	s_cbranch_execz .LBB4_3262
; %bb.3261:                             ;   in Loop: Header=BB4_3104 Depth=2
	v_mov_b32_e32 v0, 1
	ds_write_b32 v0, v0
	s_trap 2
.LBB4_3262:                             ;   in Loop: Header=BB4_3104 Depth=2
	s_or_b64 exec, exec, s[78:79]
	;;#ASMSTART
	s_wakeup
	;;#ASMEND
.LBB4_3263:                             ;   in Loop: Header=BB4_3104 Depth=2
	s_or_b64 exec, exec, s[76:77]
.LBB4_3264:                             ;   in Loop: Header=BB4_3104 Depth=2
	s_andn2_saveexec_b64 s[74:75], s[74:75]
	s_cbranch_execz .LBB4_3266
; %bb.3265:                             ;   in Loop: Header=BB4_3104 Depth=2
	;;#ASMSTART
	s_waitcnt lgkmcnt(0) vmcnt(0)
	;;#ASMEND
	s_waitcnt vmcnt(0) lgkmcnt(0)
	s_barrier
.LBB4_3266:                             ;   in Loop: Header=BB4_3104 Depth=2
	s_or_b64 exec, exec, s[74:75]
.LBB4_3267:                             ;   in Loop: Header=BB4_3104 Depth=2
	s_or_b64 exec, exec, s[26:27]
	s_waitcnt vmcnt(0)
	v_and_b32_e32 v0, 32, v5
	v_cmp_ne_u32_e32 vcc, 0, v0
	s_and_saveexec_b64 s[26:27], vcc
	s_cbranch_execz .LBB4_3103
; %bb.3268:                             ;   in Loop: Header=BB4_3104 Depth=2
	v_add_co_u32_e32 v6, vcc, 2, v6
	v_addc_co_u32_e32 v7, vcc, 0, v7, vcc
	flat_store_dwordx2 v[32:33], v[6:7]
	s_branch .LBB4_3103
.LBB4_3269:                             ;   in Loop: Header=BB4_47 Depth=1
	s_or_b64 exec, exec, s[40:41]
.LBB4_3270:                             ;   in Loop: Header=BB4_47 Depth=1
	s_or_b64 exec, exec, s[28:29]
	v_cmp_gt_i32_e32 vcc, 2, v0
	s_and_saveexec_b64 s[28:29], vcc
	s_cbranch_execz .LBB4_46
; %bb.3271:                             ;   in Loop: Header=BB4_47 Depth=1
	v_cmp_eq_u32_e64 s[42:43], 0, v0
	s_mov_b64 s[40:41], 0
	s_branch .LBB4_3273
.LBB4_3272:                             ;   in Loop: Header=BB4_3273 Depth=2
	s_or_b64 exec, exec, s[26:27]
	v_add_u32_e32 v24, v53, v24
	s_mov_b64 s[42:43], 0
	s_andn2_b64 exec, exec, s[40:41]
	s_cbranch_execz .LBB4_45
.LBB4_3273:                             ;   Parent Loop BB4_47 Depth=1
                                        ; =>  This Loop Header: Depth=2
                                        ;       Child Loop BB4_3279 Depth 3
                                        ;       Child Loop BB4_3303 Depth 3
	;; [unrolled: 1-line block ×3, first 2 shown]
	v_and_b32_e32 v0, 4, v5
	v_cmp_ne_u32_e32 vcc, 0, v0
	s_and_saveexec_b64 s[74:75], vcc
	s_cbranch_execz .LBB4_3295
; %bb.3274:                             ;   in Loop: Header=BB4_3273 Depth=2
	v_add_co_u32_e32 v3, vcc, 2, v6
	v_addc_co_u32_e32 v4, vcc, 0, v7, vcc
	s_waitcnt lgkmcnt(0)
	v_cmp_lt_u64_e32 vcc, v[38:39], v[3:4]
	s_and_saveexec_b64 s[76:77], vcc
	s_cbranch_execz .LBB4_3286
; %bb.3275:                             ;   in Loop: Header=BB4_3273 Depth=2
	v_and_b32_e32 v0, 64, v5
	s_mov_b32 s8, 0
	v_cmp_eq_u32_e32 vcc, 0, v0
	s_mov_b64 s[78:79], 0
                                        ; implicit-def: $sgpr88_sgpr89
                                        ; implicit-def: $sgpr90_sgpr91
                                        ; implicit-def: $sgpr92_sgpr93
	s_branch .LBB4_3279
.LBB4_3276:                             ;   in Loop: Header=BB4_3279 Depth=3
	s_waitcnt vmcnt(0) lgkmcnt(0)
	v_cmp_ge_u64_e64 s[26:27], v[38:39], v[3:4]
	s_or_b64 s[34:35], s[34:35], exec
	s_orn2_b64 s[30:31], s[26:27], exec
.LBB4_3277:                             ;   in Loop: Header=BB4_3279 Depth=3
	s_or_b64 exec, exec, s[38:39]
	s_andn2_b64 s[26:27], s[92:93], exec
	s_and_b64 s[92:93], s[34:35], exec
	s_or_b64 s[92:93], s[26:27], s[92:93]
	s_andn2_b64 s[26:27], s[90:91], exec
	s_and_b64 s[90:91], s[30:31], exec
	s_or_b64 s[90:91], s[26:27], s[90:91]
.LBB4_3278:                             ;   in Loop: Header=BB4_3279 Depth=3
	s_or_b64 exec, exec, s[94:95]
	s_and_b64 s[26:27], exec, s[90:91]
	s_or_b64 s[78:79], s[26:27], s[78:79]
	s_andn2_b64 s[26:27], s[88:89], exec
	s_and_b64 s[88:89], s[92:93], exec
	s_or_b64 s[88:89], s[26:27], s[88:89]
	s_andn2_b64 exec, exec, s[78:79]
	s_cbranch_execz .LBB4_3283
.LBB4_3279:                             ;   Parent Loop BB4_47 Depth=1
                                        ;     Parent Loop BB4_3273 Depth=2
                                        ; =>    This Inner Loop Header: Depth=3
	s_sleep 1
	s_waitcnt vmcnt(0) lgkmcnt(0)
	flat_load_dwordx2 v[38:39], v[32:33] glc
	s_or_b64 s[92:93], s[92:93], exec
	s_or_b64 s[90:91], s[90:91], exec
                                        ; implicit-def: $vgpr0
	s_and_saveexec_b64 s[94:95], vcc
	s_cbranch_execz .LBB4_3278
; %bb.3280:                             ;   in Loop: Header=BB4_3279 Depth=3
	s_cmpk_lt_i32 s8, 0x270f
	s_cselect_b64 s[36:37], -1, 0
	s_cmpk_gt_i32 s8, 0x270e
	s_mov_b64 s[30:31], -1
	s_cbranch_scc0 .LBB4_3282
; %bb.3281:                             ;   in Loop: Header=BB4_3279 Depth=3
	s_trap 2
	ds_read_b64 v[7:8], v0
	s_andn2_b64 s[36:37], s[36:37], exec
	s_mov_b32 s8, 0
	s_mov_b64 s[34:35], 0
	s_waitcnt vmcnt(0) lgkmcnt(0)
	flat_load_dword v0, v[7:8] glc
	s_waitcnt vmcnt(0) lgkmcnt(0)
	buffer_wbinvl1_vol
	v_cmp_eq_u32_e64 s[26:27], 0, v0
	s_and_b64 s[26:27], s[26:27], exec
	s_or_b64 s[36:37], s[36:37], s[26:27]
	s_and_saveexec_b64 s[38:39], s[36:37]
	s_cbranch_execz .LBB4_3277
	s_branch .LBB4_3276
.LBB4_3282:                             ;   in Loop: Header=BB4_3279 Depth=3
	s_add_i32 s8, s8, 1
	s_mov_b64 s[34:35], -1
                                        ; implicit-def: $vgpr0
	s_and_saveexec_b64 s[38:39], s[36:37]
	s_cbranch_execz .LBB4_3277
	s_branch .LBB4_3276
.LBB4_3283:                             ;   in Loop: Header=BB4_3273 Depth=2
	s_or_b64 exec, exec, s[78:79]
	s_xor_b64 s[8:9], s[88:89], -1
	s_and_saveexec_b64 s[26:27], s[8:9]
	s_xor_b64 s[26:27], exec, s[26:27]
	s_cbranch_execz .LBB4_3285
; %bb.3284:                             ;   in Loop: Header=BB4_3273 Depth=2
	v_or_b32_e32 v5, 64, v5
	s_waitcnt lgkmcnt(0)
	ds_write_b32 v0, v0
	s_trap 2
.LBB4_3285:                             ;   in Loop: Header=BB4_3273 Depth=2
	s_or_b64 exec, exec, s[26:27]
.LBB4_3286:                             ;   in Loop: Header=BB4_3273 Depth=2
	s_or_b64 exec, exec, s[76:77]
	v_and_b32_e32 v0, 0x100, v5
	v_cmp_ne_u32_e32 vcc, 0, v0
	v_and_b32_e32 v0, 7, v6
	s_mov_b64 s[26:27], -1
	;;#ASMSTART
	s_wakeup
	;;#ASMEND
                                        ; implicit-def: $vgpr8_vgpr9
	s_and_saveexec_b64 s[76:77], vcc
	s_cbranch_execz .LBB4_3290
; %bb.3287:                             ;   in Loop: Header=BB4_3273 Depth=2
	buffer_load_dword v6, off, s[0:3], s33 offset:160 ; 4-byte Folded Reload
	buffer_load_dword v7, off, s[0:3], s33 offset:164 ; 4-byte Folded Reload
	;; [unrolled: 1-line block ×4, first 2 shown]
                                        ; implicit-def: $vgpr8_vgpr9
	s_waitcnt vmcnt(0)
	v_mad_u64_u32 v[10:11], s[8:9], v0, 24, v[6:7]
	flat_load_dword v6, v[10:11]
	s_waitcnt vmcnt(0) lgkmcnt(0)
	v_cmp_ne_u32_e32 vcc, 1, v6
	v_cmp_eq_u32_e64 s[26:27], 1, v6
	s_and_saveexec_b64 s[78:79], s[26:27]
	s_cbranch_execz .LBB4_3289
; %bb.3288:                             ;   in Loop: Header=BB4_3273 Depth=2
	flat_load_dword v6, v[10:11] offset:4 glc
	s_waitcnt vmcnt(0) lgkmcnt(0)
	v_ashrrev_i32_e32 v7, 31, v6
	v_lshrrev_b64 v[8:9], 1, v[6:7]
.LBB4_3289:                             ;   in Loop: Header=BB4_3273 Depth=2
	s_or_b64 exec, exec, s[78:79]
	s_orn2_b64 s[26:27], vcc, exec
.LBB4_3290:                             ;   in Loop: Header=BB4_3273 Depth=2
	s_or_b64 exec, exec, s[76:77]
	s_and_saveexec_b64 s[76:77], s[26:27]
	s_cbranch_execz .LBB4_3292
; %bb.3291:                             ;   in Loop: Header=BB4_3273 Depth=2
	buffer_load_dword v6, off, s[0:3], s33 offset:184 ; 4-byte Folded Reload
	s_waitcnt vmcnt(0)
	v_mad_i64_i32 v[8:9], s[8:9], v0, v6, 0
.LBB4_3292:                             ;   in Loop: Header=BB4_3273 Depth=2
	s_or_b64 exec, exec, s[76:77]
	v_lshlrev_b64 v[6:7], 1, v[8:9]
	buffer_load_dword v8, off, s[0:3], s33 offset:152 ; 4-byte Folded Reload
	buffer_load_dword v9, off, s[0:3], s33 offset:156 ; 4-byte Folded Reload
	s_waitcnt vmcnt(0)
	v_add_co_u32_e32 v6, vcc, v8, v6
	v_addc_co_u32_e32 v7, vcc, v9, v7, vcc
	ds_write_b64 v0, v[6:7] offset:720
	v_and_b32_e32 v0, 0x2000, v5
	v_cmp_ne_u32_e32 vcc, 0, v0
	s_and_saveexec_b64 s[26:27], vcc
	s_cbranch_execz .LBB4_3294
; %bb.3293:                             ;   in Loop: Header=BB4_3273 Depth=2
	ds_read_b64 v[6:7], v0 offset:872
	s_waitcnt lgkmcnt(0)
	v_add_co_u32_e32 v6, vcc, 1, v6
	v_addc_co_u32_e32 v7, vcc, 0, v7, vcc
	ds_write_b64 v0, v[6:7] offset:872
.LBB4_3294:                             ;   in Loop: Header=BB4_3273 Depth=2
	s_or_b64 exec, exec, s[26:27]
	v_mov_b32_e32 v7, v4
	v_mov_b32_e32 v6, v3
.LBB4_3295:                             ;   in Loop: Header=BB4_3273 Depth=2
	s_or_b64 exec, exec, s[74:75]
	s_xor_b64 s[8:9], s[42:43], -1
	s_and_b64 s[8:9], exec, s[8:9]
	s_or_b64 s[40:41], s[8:9], s[40:41]
	s_and_saveexec_b64 s[26:27], s[10:11]
	s_cbranch_execz .LBB4_3314
; %bb.3296:                             ;   in Loop: Header=BB4_3273 Depth=2
	s_and_saveexec_b64 s[8:9], s[56:57]
	s_xor_b64 s[42:43], exec, s[8:9]
	s_cbranch_execz .LBB4_3311
; %bb.3297:                             ;   in Loop: Header=BB4_3273 Depth=2
	s_and_saveexec_b64 s[74:75], s[16:17]
	s_cbranch_execz .LBB4_3310
; %bb.3298:                             ;   in Loop: Header=BB4_3273 Depth=2
	s_mov_b64 s[78:79], exec
	v_mbcnt_lo_u32_b32 v0, s78, 0
	v_mbcnt_hi_u32_b32 v0, s79, v0
	v_cmp_eq_u32_e32 vcc, 0, v0
	s_waitcnt vmcnt(0) lgkmcnt(0)
	buffer_wbinvl1_vol
	s_and_saveexec_b64 s[76:77], vcc
	s_cbranch_execz .LBB4_3300
; %bb.3299:                             ;   in Loop: Header=BB4_3273 Depth=2
	s_bcnt1_i32_b64 s8, s[78:79]
	v_mov_b32_e32 v3, s8
	v_mov_b32_e32 v4, v2
	ds_add_u64 v0, v[3:4]
	s_trap 2
.LBB4_3300:                             ;   in Loop: Header=BB4_3273 Depth=2
	s_or_b64 exec, exec, s[76:77]
	s_trap 2
	ds_read_b64 v[3:4], v0
	s_waitcnt lgkmcnt(0)
	v_add_co_u32_e32 v36, vcc, v36, v59
	v_addc_co_u32_e32 v37, vcc, 0, v37, vcc
	v_cmp_lt_u64_e32 vcc, v[3:4], v[36:37]
	s_and_saveexec_b64 s[76:77], vcc
	s_cbranch_execz .LBB4_3309
; %bb.3301:                             ;   in Loop: Header=BB4_3273 Depth=2
	s_mov_b32 s8, 0
	s_mov_b64 s[78:79], 0
                                        ; implicit-def: $sgpr88_sgpr89
                                        ; implicit-def: $sgpr90_sgpr91
	s_branch .LBB4_3303
.LBB4_3302:                             ;   in Loop: Header=BB4_3303 Depth=3
	s_or_b64 exec, exec, s[94:95]
	s_and_b64 s[92:93], exec, vcc
	s_or_b64 s[78:79], s[92:93], s[78:79]
	s_andn2_b64 s[88:89], s[88:89], exec
	s_and_b64 s[92:93], s[90:91], exec
	s_or_b64 s[88:89], s[88:89], s[92:93]
	s_andn2_b64 exec, exec, s[78:79]
	s_cbranch_execz .LBB4_3307
.LBB4_3303:                             ;   Parent Loop BB4_47 Depth=1
                                        ;     Parent Loop BB4_3273 Depth=2
                                        ; =>    This Inner Loop Header: Depth=3
	s_add_i32 s8, s8, 1
	s_cmpk_lg_i32 s8, 0x2710
	s_cselect_b64 s[92:93], -1, 0
	s_and_b64 vcc, exec, s[92:93]
	s_cbranch_vccz .LBB4_3305
; %bb.3304:                             ;   in Loop: Header=BB4_3303 Depth=3
	s_mov_b64 vcc, -1
	s_or_b64 s[90:91], s[90:91], exec
	s_and_saveexec_b64 s[94:95], s[92:93]
	s_cbranch_execz .LBB4_3302
	s_branch .LBB4_3306
.LBB4_3305:                             ;   in Loop: Header=BB4_3303 Depth=3
	s_trap 2
	ds_read_b64 v[3:4], v0
	s_andn2_b64 s[92:93], s[92:93], exec
	s_mov_b32 s8, 0
	s_waitcnt lgkmcnt(0)
	flat_load_dword v0, v[3:4] glc
	s_waitcnt vmcnt(0) lgkmcnt(0)
	buffer_wbinvl1_vol
	v_cmp_eq_u32_e32 vcc, 0, v0
	s_and_b64 s[94:95], vcc, exec
	s_or_b64 s[92:93], s[92:93], s[94:95]
	s_mov_b64 vcc, -1
	s_or_b64 s[90:91], s[90:91], exec
	s_and_saveexec_b64 s[94:95], s[92:93]
	s_cbranch_execz .LBB4_3302
.LBB4_3306:                             ;   in Loop: Header=BB4_3303 Depth=3
	s_sleep 1
	s_trap 2
	ds_read_b64 v[3:4], v0
	s_waitcnt lgkmcnt(0)
	s_andn2_b64 s[90:91], s[90:91], exec
	v_cmp_ge_u64_e32 vcc, v[3:4], v[36:37]
	s_orn2_b64 vcc, vcc, exec
	s_branch .LBB4_3302
.LBB4_3307:                             ;   in Loop: Header=BB4_3273 Depth=2
	s_or_b64 exec, exec, s[78:79]
	s_and_saveexec_b64 s[8:9], s[88:89]
	s_xor_b64 s[8:9], exec, s[8:9]
	s_cbranch_execz .LBB4_3309
; %bb.3308:                             ;   in Loop: Header=BB4_3273 Depth=2
	v_mov_b32_e32 v0, 1
	ds_write_b32 v0, v0
	s_trap 2
.LBB4_3309:                             ;   in Loop: Header=BB4_3273 Depth=2
	s_or_b64 exec, exec, s[76:77]
	;;#ASMSTART
	s_wakeup
	;;#ASMEND
.LBB4_3310:                             ;   in Loop: Header=BB4_3273 Depth=2
	s_or_b64 exec, exec, s[74:75]
.LBB4_3311:                             ;   in Loop: Header=BB4_3273 Depth=2
	s_andn2_saveexec_b64 s[42:43], s[42:43]
	s_cbranch_execz .LBB4_3313
; %bb.3312:                             ;   in Loop: Header=BB4_3273 Depth=2
	s_waitcnt vmcnt(0) lgkmcnt(0)
	buffer_wbinvl1_vol
	s_barrier
.LBB4_3313:                             ;   in Loop: Header=BB4_3273 Depth=2
	s_or_b64 exec, exec, s[42:43]
.LBB4_3314:                             ;   in Loop: Header=BB4_3273 Depth=2
	s_or_b64 exec, exec, s[26:27]
	v_sub_u32_e32 v0, v52, v24
	v_min_i32_e32 v53, v53, v0
	s_and_saveexec_b64 s[8:9], s[24:25]
	s_xor_b64 s[26:27], exec, s[8:9]
	s_cbranch_execz .LBB4_3318
; %bb.3315:                             ;   in Loop: Header=BB4_3273 Depth=2
	s_trap 2
	ds_read_b32 v0, v0
	v_cmp_lt_i32_e32 vcc, 0, v53
	s_waitcnt lgkmcnt(0)
	v_readfirstlane_b32 s8, v0
	s_cmp_eq_u32 s8, 0
	s_cselect_b64 s[8:9], -1, 0
	v_and_b32_e32 v0, 16, v5
	s_and_b64 s[8:9], vcc, s[8:9]
	v_cmp_ne_u32_e32 vcc, 0, v0
	s_and_b64 s[8:9], vcc, s[8:9]
	s_and_saveexec_b64 s[42:43], s[8:9]
	s_cbranch_execz .LBB4_3317
; %bb.3316:                             ;   in Loop: Header=BB4_3273 Depth=2
	s_waitcnt vmcnt(0)
	buffer_wbinvl1_vol
.LBB4_3317:                             ;   in Loop: Header=BB4_3273 Depth=2
	s_or_b64 exec, exec, s[42:43]
.LBB4_3318:                             ;   in Loop: Header=BB4_3273 Depth=2
	s_andn2_saveexec_b64 s[26:27], s[26:27]
	s_cbranch_execz .LBB4_3337
; %bb.3319:                             ;   in Loop: Header=BB4_3273 Depth=2
	s_and_saveexec_b64 s[8:9], s[56:57]
	s_xor_b64 s[42:43], exec, s[8:9]
	s_cbranch_execz .LBB4_3334
; %bb.3320:                             ;   in Loop: Header=BB4_3273 Depth=2
	s_and_saveexec_b64 s[74:75], s[16:17]
	s_cbranch_execz .LBB4_3333
; %bb.3321:                             ;   in Loop: Header=BB4_3273 Depth=2
	s_mov_b64 s[78:79], exec
	v_mbcnt_lo_u32_b32 v0, s78, 0
	v_mbcnt_hi_u32_b32 v0, s79, v0
	v_cmp_eq_u32_e32 vcc, 0, v0
	;;#ASMSTART
	s_waitcnt lgkmcnt(0) vmcnt(0)
	;;#ASMEND
	s_and_saveexec_b64 s[76:77], vcc
	s_cbranch_execz .LBB4_3323
; %bb.3322:                             ;   in Loop: Header=BB4_3273 Depth=2
	s_bcnt1_i32_b64 s8, s[78:79]
	v_mov_b32_e32 v3, s8
	v_mov_b32_e32 v4, v2
	s_waitcnt lgkmcnt(0)
	ds_add_u64 v0, v[3:4]
	s_trap 2
.LBB4_3323:                             ;   in Loop: Header=BB4_3273 Depth=2
	s_or_b64 exec, exec, s[76:77]
	s_trap 2
	ds_read_b64 v[3:4], v0
	s_waitcnt lgkmcnt(0)
	v_add_co_u32_e32 v36, vcc, v36, v59
	v_addc_co_u32_e32 v37, vcc, 0, v37, vcc
	v_cmp_lt_u64_e32 vcc, v[3:4], v[36:37]
	s_and_saveexec_b64 s[76:77], vcc
	s_cbranch_execz .LBB4_3332
; %bb.3324:                             ;   in Loop: Header=BB4_3273 Depth=2
	s_mov_b32 s8, 0
	s_mov_b64 s[78:79], 0
                                        ; implicit-def: $sgpr88_sgpr89
                                        ; implicit-def: $sgpr90_sgpr91
	s_branch .LBB4_3326
.LBB4_3325:                             ;   in Loop: Header=BB4_3326 Depth=3
	s_or_b64 exec, exec, s[94:95]
	s_and_b64 s[92:93], exec, vcc
	s_or_b64 s[78:79], s[92:93], s[78:79]
	s_andn2_b64 s[88:89], s[88:89], exec
	s_and_b64 s[92:93], s[90:91], exec
	s_or_b64 s[88:89], s[88:89], s[92:93]
	s_andn2_b64 exec, exec, s[78:79]
	s_cbranch_execz .LBB4_3330
.LBB4_3326:                             ;   Parent Loop BB4_47 Depth=1
                                        ;     Parent Loop BB4_3273 Depth=2
                                        ; =>    This Inner Loop Header: Depth=3
	s_add_i32 s8, s8, 1
	s_cmpk_lg_i32 s8, 0x2710
	s_cselect_b64 s[92:93], -1, 0
	s_and_b64 vcc, exec, s[92:93]
	s_cbranch_vccz .LBB4_3328
; %bb.3327:                             ;   in Loop: Header=BB4_3326 Depth=3
	s_mov_b64 vcc, -1
	s_or_b64 s[90:91], s[90:91], exec
	s_and_saveexec_b64 s[94:95], s[92:93]
	s_cbranch_execz .LBB4_3325
	s_branch .LBB4_3329
.LBB4_3328:                             ;   in Loop: Header=BB4_3326 Depth=3
	s_trap 2
	ds_read_b64 v[3:4], v0
	s_andn2_b64 s[92:93], s[92:93], exec
	s_mov_b32 s8, 0
	s_waitcnt vmcnt(0) lgkmcnt(0)
	flat_load_dword v0, v[3:4] glc
	s_waitcnt vmcnt(0) lgkmcnt(0)
	buffer_wbinvl1_vol
	v_cmp_eq_u32_e32 vcc, 0, v0
	s_and_b64 s[94:95], vcc, exec
	s_or_b64 s[92:93], s[92:93], s[94:95]
	s_mov_b64 vcc, -1
	s_or_b64 s[90:91], s[90:91], exec
	s_and_saveexec_b64 s[94:95], s[92:93]
	s_cbranch_execz .LBB4_3325
.LBB4_3329:                             ;   in Loop: Header=BB4_3326 Depth=3
	s_sleep 1
	s_trap 2
	ds_read_b64 v[3:4], v0
	s_waitcnt lgkmcnt(0)
	s_andn2_b64 s[90:91], s[90:91], exec
	v_cmp_ge_u64_e32 vcc, v[3:4], v[36:37]
	s_orn2_b64 vcc, vcc, exec
	s_branch .LBB4_3325
.LBB4_3330:                             ;   in Loop: Header=BB4_3273 Depth=2
	s_or_b64 exec, exec, s[78:79]
	s_and_saveexec_b64 s[8:9], s[88:89]
	s_xor_b64 s[8:9], exec, s[8:9]
	s_cbranch_execz .LBB4_3332
; %bb.3331:                             ;   in Loop: Header=BB4_3273 Depth=2
	v_mov_b32_e32 v0, 1
	ds_write_b32 v0, v0
	s_trap 2
.LBB4_3332:                             ;   in Loop: Header=BB4_3273 Depth=2
	s_or_b64 exec, exec, s[76:77]
	;;#ASMSTART
	s_wakeup
	;;#ASMEND
.LBB4_3333:                             ;   in Loop: Header=BB4_3273 Depth=2
	s_or_b64 exec, exec, s[74:75]
.LBB4_3334:                             ;   in Loop: Header=BB4_3273 Depth=2
	s_andn2_saveexec_b64 s[42:43], s[42:43]
	s_cbranch_execz .LBB4_3336
; %bb.3335:                             ;   in Loop: Header=BB4_3273 Depth=2
	;;#ASMSTART
	s_waitcnt lgkmcnt(0) vmcnt(0)
	;;#ASMEND
	s_waitcnt vmcnt(0) lgkmcnt(0)
	s_barrier
.LBB4_3336:                             ;   in Loop: Header=BB4_3273 Depth=2
	s_or_b64 exec, exec, s[42:43]
.LBB4_3337:                             ;   in Loop: Header=BB4_3273 Depth=2
	s_or_b64 exec, exec, s[26:27]
	v_and_b32_e32 v0, 32, v5
	v_cmp_ne_u32_e32 vcc, 0, v0
	s_and_saveexec_b64 s[26:27], vcc
	s_cbranch_execz .LBB4_3272
; %bb.3338:                             ;   in Loop: Header=BB4_3273 Depth=2
	v_add_co_u32_e32 v6, vcc, 2, v6
	v_addc_co_u32_e32 v7, vcc, 0, v7, vcc
	flat_store_dwordx2 v[32:33], v[6:7]
	s_branch .LBB4_3272
.LBB4_3339:
	s_or_b64 exec, exec, s[58:59]
	buffer_load_dword v19, off, s[0:3], s33 offset:308 ; 4-byte Folded Reload
	buffer_load_dword v31, off, s[0:3], s33 offset:312 ; 4-byte Folded Reload
	;; [unrolled: 1-line block ×3, first 2 shown]
	v_readlane_b32 s28, v62, 4
	v_readlane_b32 s29, v62, 5
.LBB4_3340:
	v_readlane_b32 s4, v62, 2
	v_readlane_b32 s5, v62, 3
	s_or_b64 exec, exec, s[4:5]
	v_and_b32_e32 v0, 0x800, v5
	v_cmp_eq_u32_e32 vcc, 0, v0
	s_and_saveexec_b64 s[6:7], vcc
	s_cbranch_execz .LBB4_3373
; %bb.3341:
	v_and_b32_e32 v0, 48, v5
	v_cmp_ne_u32_e32 vcc, 0, v0
	s_and_saveexec_b64 s[4:5], vcc
	s_cbranch_execz .LBB4_3343
; %bb.3342:
	buffer_load_dword v0, off, s[0:3], s33 offset:300 ; 4-byte Folded Reload
	buffer_load_dword v1, off, s[0:3], s33 offset:304 ; 4-byte Folded Reload
	s_waitcnt vmcnt(0)
	flat_store_dwordx2 v[0:1], v[6:7] offset:104
.LBB4_3343:
	s_or_b64 exec, exec, s[4:5]
	s_movk_i32 s4, 0x88
	v_and_b32_e32 v0, 0x88, v5
	v_cmp_eq_u32_e32 vcc, s4, v0
	s_and_saveexec_b64 s[10:11], vcc
	s_cbranch_execz .LBB4_3353
; %bb.3344:
	buffer_load_dword v1, off, s[0:3], s33 offset:160 ; 4-byte Folded Reload
	buffer_load_dword v2, off, s[0:3], s33 offset:164 ; 4-byte Folded Reload
	buffer_load_dword v3, off, s[0:3], s33 offset:168 ; 4-byte Folded Reload
	buffer_load_dword v4, off, s[0:3], s33 offset:172 ; 4-byte Folded Reload
	v_add_u32_e32 v0, 6, v6
	v_and_b32_e32 v0, 7, v0
	s_waitcnt vmcnt(0)
	v_and_b32_e32 v4, 64, v5
	s_mov_b32 s8, 0
	v_mad_u64_u32 v[2:3], s[4:5], v0, 24, v[1:2]
	v_cmp_eq_u32_e64 s[4:5], 0, v4
	flat_load_dwordx2 v[0:1], v[2:3] offset:8 glc
	s_waitcnt vmcnt(0) lgkmcnt(0)
	v_cmp_ne_u64_e32 vcc, -1, v[0:1]
	s_and_b64 s[4:5], vcc, s[4:5]
	s_and_b64 exec, exec, s[4:5]
	s_cbranch_execz .LBB4_3353
; %bb.3345:
	s_mov_b64 s[4:5], 0
                                        ; implicit-def: $sgpr12_sgpr13
                                        ; implicit-def: $sgpr14_sgpr15
	s_branch .LBB4_3348
.LBB4_3346:                             ;   in Loop: Header=BB4_3348 Depth=1
	flat_load_dwordx2 v[6:7], v[2:3] offset:8 glc
	s_waitcnt vmcnt(0)
	s_andn2_b64 s[14:15], s[14:15], exec
	s_waitcnt lgkmcnt(0)
	v_cmp_eq_u64_e32 vcc, -1, v[6:7]
	s_orn2_b64 s[18:19], vcc, exec
.LBB4_3347:                             ;   in Loop: Header=BB4_3348 Depth=1
	s_or_b64 exec, exec, s[20:21]
	s_and_b64 s[16:17], exec, s[18:19]
	s_or_b64 s[4:5], s[16:17], s[4:5]
	s_andn2_b64 s[12:13], s[12:13], exec
	s_and_b64 s[16:17], s[14:15], exec
	s_or_b64 s[12:13], s[12:13], s[16:17]
	s_andn2_b64 exec, exec, s[4:5]
	s_cbranch_execz .LBB4_3351
.LBB4_3348:                             ; =>This Inner Loop Header: Depth=1
	s_cmpk_lt_i32 s8, 0x270f
	s_cselect_b64 s[16:17], -1, 0
	s_and_b64 vcc, exec, s[16:17]
	s_cbranch_vccnz .LBB4_3350
; %bb.3349:                             ;   in Loop: Header=BB4_3348 Depth=1
	s_trap 2
	ds_read_b64 v[0:1], v0
	s_andn2_b64 s[16:17], s[16:17], exec
	s_mov_b32 s8, 0
	s_waitcnt lgkmcnt(0)
	flat_load_dword v0, v[0:1] glc
	s_waitcnt vmcnt(0) lgkmcnt(0)
	buffer_wbinvl1_vol
	v_cmp_eq_u32_e32 vcc, 0, v0
	s_and_b64 s[18:19], vcc, exec
	s_or_b64 s[16:17], s[16:17], s[18:19]
	s_mov_b64 s[18:19], -1
	s_or_b64 s[14:15], s[14:15], exec
	s_and_saveexec_b64 s[20:21], s[16:17]
	s_cbranch_execz .LBB4_3347
	s_branch .LBB4_3346
.LBB4_3350:                             ;   in Loop: Header=BB4_3348 Depth=1
	s_add_i32 s8, s8, 1
                                        ; implicit-def: $vgpr0
	s_mov_b64 s[18:19], -1
	s_or_b64 s[14:15], s[14:15], exec
	s_and_saveexec_b64 s[20:21], s[16:17]
	s_cbranch_execz .LBB4_3347
	s_branch .LBB4_3346
.LBB4_3351:
	s_or_b64 exec, exec, s[4:5]
	s_and_saveexec_b64 s[4:5], s[12:13]
	s_xor_b64 s[4:5], exec, s[4:5]
	s_cbranch_execz .LBB4_3353
; %bb.3352:
	ds_write_b32 v0, v0
	s_trap 2
.LBB4_3353:
	s_or_b64 exec, exec, s[10:11]
	v_and_b32_e32 v0, 0x2000, v5
	v_cmp_ne_u32_e32 vcc, 0, v0
	s_and_saveexec_b64 s[4:5], vcc
	s_cbranch_execz .LBB4_3355
; %bb.3354:
	s_trap 2
	ds_read_b64 v[0:1], v0
	buffer_load_dword v2, off, s[0:3], s33 offset:320 ; 4-byte Folded Reload
	buffer_load_dword v3, off, s[0:3], s33 offset:324 ; 4-byte Folded Reload
	s_waitcnt vmcnt(0) lgkmcnt(0)
	flat_store_dwordx2 v[2:3], v[0:1] offset:16
.LBB4_3355:
	s_or_b64 exec, exec, s[4:5]
	s_waitcnt vmcnt(0)
	v_cmp_ne_u32_e32 vcc, 64, v19
	s_and_b64 exec, exec, vcc
	s_cbranch_execz .LBB4_3373
; %bb.3356:
	v_cmp_ne_u32_sdwa s[4:5], v19, v20 src0_sel:DWORD src1_sel:WORD_0
	s_and_saveexec_b64 s[8:9], s[4:5]
	s_xor_b64 s[4:5], exec, s[8:9]
	s_cbranch_execz .LBB4_3371
; %bb.3357:
	v_and_b32_e32 v0, 63, v31
	v_cmp_eq_u32_e32 vcc, 0, v0
	s_and_saveexec_b64 s[10:11], vcc
	s_cbranch_execz .LBB4_3370
; %bb.3358:
	s_mov_b64 s[14:15], exec
	v_mbcnt_lo_u32_b32 v0, s14, 0
	v_mbcnt_hi_u32_b32 v0, s15, v0
	v_cmp_eq_u32_e32 vcc, 0, v0
	s_waitcnt lgkmcnt(0)
	buffer_wbinvl1_vol
	s_and_saveexec_b64 s[12:13], vcc
	s_cbranch_execz .LBB4_3360
; %bb.3359:
	s_bcnt1_i32_b64 s8, s[14:15]
	v_mov_b32_e32 v0, s8
	v_mov_b32_e32 v1, 0
	ds_add_u64 v0, v[0:1]
	s_trap 2
.LBB4_3360:
	s_or_b64 exec, exec, s[12:13]
	v_lshrrev_b32_e32 v0, 6, v19
	s_trap 2
	ds_read_b64 v[2:3], v0
	s_waitcnt lgkmcnt(0)
	v_add_co_u32_e32 v0, vcc, v36, v0
	v_addc_co_u32_e32 v1, vcc, 0, v37, vcc
	v_cmp_lt_u64_e32 vcc, v[2:3], v[0:1]
	s_and_saveexec_b64 s[12:13], vcc
	s_cbranch_execz .LBB4_3369
; %bb.3361:
	s_mov_b32 s8, 0
	s_mov_b64 s[14:15], 0
                                        ; implicit-def: $sgpr16_sgpr17
                                        ; implicit-def: $sgpr18_sgpr19
	s_branch .LBB4_3363
.LBB4_3362:                             ;   in Loop: Header=BB4_3363 Depth=1
	s_or_b64 exec, exec, s[22:23]
	s_and_b64 s[20:21], exec, s[24:25]
	s_or_b64 s[14:15], s[20:21], s[14:15]
	s_andn2_b64 s[16:17], s[16:17], exec
	s_and_b64 s[20:21], s[18:19], exec
	s_or_b64 s[16:17], s[16:17], s[20:21]
	s_andn2_b64 exec, exec, s[14:15]
	s_cbranch_execz .LBB4_3367
.LBB4_3363:                             ; =>This Inner Loop Header: Depth=1
	s_add_i32 s8, s8, 1
	s_cmpk_lg_i32 s8, 0x2710
	s_cselect_b64 s[20:21], -1, 0
	s_and_b64 vcc, exec, s[20:21]
	s_cbranch_vccz .LBB4_3365
; %bb.3364:                             ;   in Loop: Header=BB4_3363 Depth=1
	s_mov_b64 s[24:25], -1
	s_or_b64 s[18:19], s[18:19], exec
	s_and_saveexec_b64 s[22:23], s[20:21]
	s_cbranch_execz .LBB4_3362
	s_branch .LBB4_3366
.LBB4_3365:                             ;   in Loop: Header=BB4_3363 Depth=1
	s_trap 2
	ds_read_b64 v[2:3], v0
	s_andn2_b64 s[20:21], s[20:21], exec
	s_mov_b32 s8, 0
	s_waitcnt lgkmcnt(0)
	flat_load_dword v2, v[2:3] glc
	s_waitcnt vmcnt(0) lgkmcnt(0)
	buffer_wbinvl1_vol
	v_cmp_eq_u32_e32 vcc, 0, v2
	s_and_b64 s[22:23], vcc, exec
	s_or_b64 s[20:21], s[20:21], s[22:23]
	s_mov_b64 s[24:25], -1
	s_or_b64 s[18:19], s[18:19], exec
	s_and_saveexec_b64 s[22:23], s[20:21]
	s_cbranch_execz .LBB4_3362
.LBB4_3366:                             ;   in Loop: Header=BB4_3363 Depth=1
	s_sleep 1
	s_trap 2
	ds_read_b64 v[2:3], v0
	s_waitcnt lgkmcnt(0)
	s_andn2_b64 s[18:19], s[18:19], exec
	v_cmp_ge_u64_e32 vcc, v[2:3], v[0:1]
	s_orn2_b64 s[24:25], vcc, exec
	s_branch .LBB4_3362
.LBB4_3367:
	s_or_b64 exec, exec, s[14:15]
	s_and_saveexec_b64 s[8:9], s[16:17]
	s_xor_b64 s[8:9], exec, s[8:9]
	s_cbranch_execz .LBB4_3369
; %bb.3368:
	v_mov_b32_e32 v0, 1
	ds_write_b32 v0, v0
	s_trap 2
.LBB4_3369:
	s_or_b64 exec, exec, s[12:13]
	;;#ASMSTART
	s_wakeup
	;;#ASMEND
.LBB4_3370:
	s_or_b64 exec, exec, s[10:11]
.LBB4_3371:
	s_andn2_saveexec_b64 s[4:5], s[4:5]
	s_cbranch_execz .LBB4_3373
; %bb.3372:
	s_waitcnt lgkmcnt(0)
	buffer_wbinvl1_vol
	s_barrier
.LBB4_3373:
	s_or_b64 exec, exec, s[6:7]
.LBB4_3374:
	v_readlane_b32 s4, v62, 0
	v_readlane_b32 s5, v62, 1
	s_andn2_saveexec_b64 s[26:27], s[4:5]
	s_cbranch_execz .LBB4_3376
; %bb.3375:
	s_getpc_b64 s[4:5]
	s_add_u32 s4, s4, __PRETTY_FUNCTION__._ZN10PrimitivesI12hip_bfloat1613FuncPreMulSumIS0_E12FanSymmetricILi1EELi0E11ProtoSimpleILi2ELi2ELi0ELi1ELi0ELi0EELi0ELb0ELi0ELi1ELi0EEC2EiiPKiS9_PKvPvmhhhP15ncclDevWorkCollP14ncclDevWorkP2pii@rel32@lo+4
	s_addc_u32 s5, s5, __PRETTY_FUNCTION__._ZN10PrimitivesI12hip_bfloat1613FuncPreMulSumIS0_E12FanSymmetricILi1EELi0E11ProtoSimpleILi2ELi2ELi0ELi1ELi0ELi0EELi0ELb0ELi0ELi1ELi0EEC2EiiPKiS9_PKvPvmhhhP15ncclDevWorkCollP14ncclDevWorkP2pii@rel32@hi+12
	s_getpc_b64 s[6:7]
	s_add_u32 s6, s6, __assert_fail@rel32@lo+4
	s_addc_u32 s7, s7, __assert_fail@rel32@hi+12
	s_mov_b64 s[8:9], s[28:29]
	v_mov_b32_e32 v0, s4
	v_mov_b32_e32 v1, s5
	s_swappc_b64 s[30:31], s[6:7]
	; divergent unreachable
.LBB4_3376:
	s_or_b64 exec, exec, s[26:27]
	buffer_load_dword v61, off, s[0:3], s33 ; 4-byte Folded Reload
	buffer_load_dword v60, off, s[0:3], s33 offset:4 ; 4-byte Folded Reload
	buffer_load_dword v59, off, s[0:3], s33 offset:8 ; 4-byte Folded Reload
	;; [unrolled: 1-line block ×13, first 2 shown]
	v_readlane_b32 s30, v63, 32
	v_readlane_b32 s31, v63, 33
	;; [unrolled: 1-line block ×34, first 2 shown]
	s_mov_b32 s32, s33
	v_readlane_b32 s4, v63, 34
	s_or_saveexec_b64 s[6:7], -1
	buffer_load_dword v63, off, s[0:3], s33 offset:328 ; 4-byte Folded Reload
	buffer_load_dword v62, off, s[0:3], s33 offset:332 ; 4-byte Folded Reload
	s_mov_b64 exec, s[6:7]
	s_mov_b32 s33, s4
	s_waitcnt vmcnt(0) lgkmcnt(0)
	s_setpc_b64 s[30:31]
.Lfunc_end4:
	.size	_ZN12_GLOBAL__N_17runRingI12hip_bfloat1613FuncPreMulSumIS1_E11ProtoSimpleILi2ELi2ELi0ELi1ELi0ELi0EELi0ELi0ELi1ELi1EEEviiP15ncclDevWorkColl, .Lfunc_end4-_ZN12_GLOBAL__N_17runRingI12hip_bfloat1613FuncPreMulSumIS1_E11ProtoSimpleILi2ELi2ELi0ELi1ELi0ELi0EELi0ELi0ELi1ELi1EEEviiP15ncclDevWorkColl
                                        ; -- End function
	.set .L_ZN12_GLOBAL__N_17runRingI12hip_bfloat1613FuncPreMulSumIS1_E11ProtoSimpleILi2ELi2ELi0ELi1ELi0ELi0EELi0ELi0ELi1ELi1EEEviiP15ncclDevWorkColl.num_vgpr, max(64, .L__assert_fail.num_vgpr)
	.set .L_ZN12_GLOBAL__N_17runRingI12hip_bfloat1613FuncPreMulSumIS1_E11ProtoSimpleILi2ELi2ELi0ELi1ELi0ELi0EELi0ELi0ELi1ELi1EEEviiP15ncclDevWorkColl.num_agpr, max(0, .L__assert_fail.num_agpr)
	.set .L_ZN12_GLOBAL__N_17runRingI12hip_bfloat1613FuncPreMulSumIS1_E11ProtoSimpleILi2ELi2ELi0ELi1ELi0ELi0EELi0ELi0ELi1ELi1EEEviiP15ncclDevWorkColl.numbered_sgpr, max(98, .L__assert_fail.numbered_sgpr)
	.set .L_ZN12_GLOBAL__N_17runRingI12hip_bfloat1613FuncPreMulSumIS1_E11ProtoSimpleILi2ELi2ELi0ELi1ELi0ELi0EELi0ELi0ELi1ELi1EEEviiP15ncclDevWorkColl.num_named_barrier, max(0, .L__assert_fail.num_named_barrier)
	.set .L_ZN12_GLOBAL__N_17runRingI12hip_bfloat1613FuncPreMulSumIS1_E11ProtoSimpleILi2ELi2ELi0ELi1ELi0ELi0EELi0ELi0ELi1ELi1EEEviiP15ncclDevWorkColl.private_seg_size, 352+max(.L__assert_fail.private_seg_size)
	.set .L_ZN12_GLOBAL__N_17runRingI12hip_bfloat1613FuncPreMulSumIS1_E11ProtoSimpleILi2ELi2ELi0ELi1ELi0ELi0EELi0ELi0ELi1ELi1EEEviiP15ncclDevWorkColl.uses_vcc, or(1, .L__assert_fail.uses_vcc)
	.set .L_ZN12_GLOBAL__N_17runRingI12hip_bfloat1613FuncPreMulSumIS1_E11ProtoSimpleILi2ELi2ELi0ELi1ELi0ELi0EELi0ELi0ELi1ELi1EEEviiP15ncclDevWorkColl.uses_flat_scratch, or(0, .L__assert_fail.uses_flat_scratch)
	.set .L_ZN12_GLOBAL__N_17runRingI12hip_bfloat1613FuncPreMulSumIS1_E11ProtoSimpleILi2ELi2ELi0ELi1ELi0ELi0EELi0ELi0ELi1ELi1EEEviiP15ncclDevWorkColl.has_dyn_sized_stack, or(0, .L__assert_fail.has_dyn_sized_stack)
	.set .L_ZN12_GLOBAL__N_17runRingI12hip_bfloat1613FuncPreMulSumIS1_E11ProtoSimpleILi2ELi2ELi0ELi1ELi0ELi0EELi0ELi0ELi1ELi1EEEviiP15ncclDevWorkColl.has_recursion, or(1, .L__assert_fail.has_recursion)
	.set .L_ZN12_GLOBAL__N_17runRingI12hip_bfloat1613FuncPreMulSumIS1_E11ProtoSimpleILi2ELi2ELi0ELi1ELi0ELi0EELi0ELi0ELi1ELi1EEEviiP15ncclDevWorkColl.has_indirect_call, or(0, .L__assert_fail.has_indirect_call)
	.section	.AMDGPU.csdata,"",@progbits
; Function info:
; codeLenInByte = 90504
; TotalNumSgprs: 102
; NumVgprs: 64
; ScratchSize: 416
; MemoryBound: 1
	.text
	.p2align	2                               ; -- Begin function _Z54ncclDevFunc_AllReduce_RING_SIMPLE_PreMulSum_bf16_0_1_1v
	.type	_Z54ncclDevFunc_AllReduce_RING_SIMPLE_PreMulSum_bf16_0_1_1v,@function
_Z54ncclDevFunc_AllReduce_RING_SIMPLE_PreMulSum_bf16_0_1_1v: ; @_Z54ncclDevFunc_AllReduce_RING_SIMPLE_PreMulSum_bf16_0_1_1v
; %bb.0:
	s_waitcnt vmcnt(0) expcnt(0) lgkmcnt(0)
	s_mov_b32 s4, s33
	s_mov_b32 s33, s32
	s_or_saveexec_b64 s[6:7], -1
	buffer_store_dword v43, off, s[0:3], s33 offset:20 ; 4-byte Folded Spill
	buffer_store_dword v44, off, s[0:3], s33 offset:24 ; 4-byte Folded Spill
	s_mov_b64 exec, s[6:7]
	v_writelane_b32 v44, s4, 38
	v_writelane_b32 v44, s100, 36
	;; [unrolled: 1-line block ×3, first 2 shown]
	s_addk_i32 s32, 0x800
	buffer_store_dword v40, off, s[0:3], s33 offset:12 ; 4-byte Folded Spill
	buffer_store_dword v41, off, s[0:3], s33 offset:8 ; 4-byte Folded Spill
	;; [unrolled: 1-line block ×3, first 2 shown]
	buffer_store_dword v62, off, s[0:3], s33 ; 4-byte Folded Spill
	v_writelane_b32 v44, s34, 0
	v_writelane_b32 v44, s35, 1
	;; [unrolled: 1-line block ×36, first 2 shown]
	s_trap 2
	ds_read_b32 v0, v0
	v_mov_b32_e32 v40, v31
                                        ; implicit-def: $vgpr43 : SGPR spill to VGPR lane
	v_and_b32_e32 v41, 0x3ff, v40
	s_mov_b32 s99, s12
	v_writelane_b32 v43, s8, 0
	s_waitcnt lgkmcnt(0)
	v_cmp_lt_i32_e32 vcc, v41, v0
	v_writelane_b32 v43, s9, 1
	s_and_saveexec_b64 s[4:5], vcc
	s_cbranch_execz .LBB5_5
; %bb.1:
	v_readlane_b32 s8, v43, 0
	v_readlane_b32 s9, v43, 1
	s_load_dword s6, s[8:9], 0x0
	v_mov_b32_e32 v1, 0
	s_mov_b32 s10, 0
	v_mov_b32_e32 v4, v41
                                        ; implicit-def: $vgpr3
	s_waitcnt lgkmcnt(0)
	s_cmp_lt_u32 s99, s6
	s_cselect_b32 s6, 12, 18
	s_add_u32 s6, s8, s6
	s_addc_u32 s7, s9, 0
	global_load_ushort v1, v1, s[6:7]
	s_trap 2
	ds_read_b32 v2, v0
	s_mov_b64 s[6:7], 0
	s_waitcnt vmcnt(0) lgkmcnt(0)
	v_mul_lo_u32 v2, v2, v1
	s_branch .LBB5_3
.LBB5_2:                                ;   in Loop: Header=BB5_3 Depth=1
	s_or_b64 exec, exec, s[8:9]
	v_add_u32_e32 v4, v4, v1
	v_cmp_ge_i32_e32 vcc, v4, v0
	s_or_b64 s[6:7], vcc, s[6:7]
	v_add_u32_e32 v3, v3, v2
	s_andn2_b64 exec, exec, s[6:7]
	s_cbranch_execz .LBB5_5
.LBB5_3:                                ; =>This Inner Loop Header: Depth=1
	ds_read_b32 v5, v3
	s_waitcnt lgkmcnt(0)
	v_and_b32_e32 v5, 0x1000000, v5
	v_cmp_ne_u32_e32 vcc, 0, v5
	s_and_saveexec_b64 s[8:9], vcc
	s_cbranch_execz .LBB5_2
; %bb.4:                                ;   in Loop: Header=BB5_3 Depth=1
	ds_read_b64 v[5:6], v3 offset:104
	s_waitcnt lgkmcnt(0)
	flat_load_ushort v5, v[5:6]
	v_mov_b32_e32 v6, s10
	s_waitcnt vmcnt(0) lgkmcnt(0)
	v_and_b32_e32 v5, 0xffff, v5
	ds_write_b64 v3, v[5:6] offset:104
	s_branch .LBB5_2
.LBB5_5:
	s_or_b64 exec, exec, s[4:5]
	s_waitcnt vmcnt(0) lgkmcnt(0)
	s_barrier
	s_trap 2
	ds_read_b32 v0, v0
	s_waitcnt lgkmcnt(0)
	v_cmp_gt_i32_e32 vcc, 1, v0
	s_cbranch_vccnz .LBB5_13
; %bb.6:
	s_mov_b32 s98, 0
	v_mov_b32_e32 v42, 6
	s_branch .LBB5_8
.LBB5_7:                                ;   in Loop: Header=BB5_8 Depth=1
	s_or_b64 exec, exec, s[6:7]
	s_trap 2
	ds_read_b32 v0, v0
	s_add_i32 s98, s98, 1
	s_waitcnt lgkmcnt(0)
	v_cmp_lt_i32_e32 vcc, s98, v0
	s_cbranch_vccz .LBB5_13
.LBB5_8:                                ; =>This Inner Loop Header: Depth=1
	s_trap 2
	ds_read_b32 v0, v0
	s_cmp_eq_u32 s98, 0
	s_cbranch_scc1 .LBB5_11
; %bb.9:                                ;   in Loop: Header=BB5_8 Depth=1
	s_trap 2
	s_waitcnt lgkmcnt(0)
	ds_read_b32 v1, v0
	s_waitcnt lgkmcnt(0)
	v_xor_b32_e32 v1, v1, v0
	v_and_b32_e32 v1, 0xff0000, v1
	v_cmp_eq_u32_e32 vcc, 0, v1
	s_cbranch_vccnz .LBB5_11
; %bb.10:                               ;   in Loop: Header=BB5_8 Depth=1
	s_barrier
	ds_read_b32 v0, v0
.LBB5_11:                               ;   in Loop: Header=BB5_8 Depth=1
	s_waitcnt lgkmcnt(0)
	v_lshlrev_b32_sdwa v1, v42, v0 dst_sel:DWORD dst_unused:UNUSED_PAD src0_sel:DWORD src1_sel:BYTE_2
	v_cmp_lt_u32_e32 vcc, v41, v1
	s_and_saveexec_b64 s[6:7], vcc
	s_cbranch_execz .LBB5_7
; %bb.12:                               ;   in Loop: Header=BB5_8 Depth=1
	v_writelane_b32 v43, s6, 2
	s_mov_b64 s[4:5], src_shared_base
	v_writelane_b32 v43, s7, 3
	s_or_saveexec_b64 s[100:101], -1
	buffer_store_dword v43, off, s[0:3], s33 offset:16 ; 4-byte Folded Spill
	s_mov_b64 exec, s[100:101]
	v_readlane_b32 s8, v43, 0
	s_getpc_b64 s[6:7]
	s_add_u32 s6, s6, _ZN12_GLOBAL__N_17runRingI12hip_bfloat1613FuncPreMulSumIS1_E11ProtoSimpleILi2ELi2ELi0ELi1ELi0ELi0EELi0ELi0ELi1ELi1EEEviiP15ncclDevWorkColl@rel32@lo+4
	s_addc_u32 s7, s7, _ZN12_GLOBAL__N_17runRingI12hip_bfloat1613FuncPreMulSumIS1_E11ProtoSimpleILi2ELi2ELi0ELi1ELi0ELi0EELi0ELi0ELi1ELi1EEEviiP15ncclDevWorkColl@rel32@hi+12
	v_readlane_b32 s9, v43, 1
	s_mov_b32 s12, s99
	v_mov_b32_e32 v31, v40
	v_mov_b32_e32 v0, v41
	v_mov_b32_e32 v3, s5
	s_swappc_b64 s[30:31], s[6:7]
	s_or_saveexec_b64 s[100:101], -1
	buffer_load_dword v43, off, s[0:3], s33 offset:16 ; 4-byte Folded Reload
	s_mov_b64 exec, s[100:101]
	s_waitcnt vmcnt(0)
	v_readlane_b32 s6, v43, 2
	v_readlane_b32 s7, v43, 3
	s_branch .LBB5_7
.LBB5_13:
	buffer_load_dword v62, off, s[0:3], s33 ; 4-byte Folded Reload
	buffer_load_dword v42, off, s[0:3], s33 offset:4 ; 4-byte Folded Reload
	buffer_load_dword v41, off, s[0:3], s33 offset:8 ; 4-byte Folded Reload
	;; [unrolled: 1-line block ×3, first 2 shown]
	v_readlane_b32 s30, v44, 34
	v_readlane_b32 s31, v44, 35
	;; [unrolled: 1-line block ×36, first 2 shown]
	s_mov_b32 s32, s33
	v_readlane_b32 s4, v44, 38
	v_readlane_b32 s100, v44, 36
	;; [unrolled: 1-line block ×3, first 2 shown]
	s_or_saveexec_b64 s[6:7], -1
	buffer_load_dword v43, off, s[0:3], s33 offset:20 ; 4-byte Folded Reload
	buffer_load_dword v44, off, s[0:3], s33 offset:24 ; 4-byte Folded Reload
	s_mov_b64 exec, s[6:7]
	s_mov_b32 s33, s4
	s_waitcnt vmcnt(0)
	s_setpc_b64 s[30:31]
.Lfunc_end5:
	.size	_Z54ncclDevFunc_AllReduce_RING_SIMPLE_PreMulSum_bf16_0_1_1v, .Lfunc_end5-_Z54ncclDevFunc_AllReduce_RING_SIMPLE_PreMulSum_bf16_0_1_1v
                                        ; -- End function
	.set .L_Z54ncclDevFunc_AllReduce_RING_SIMPLE_PreMulSum_bf16_0_1_1v.num_vgpr, max(63, .L_ZN12_GLOBAL__N_17runRingI12hip_bfloat1613FuncPreMulSumIS1_E11ProtoSimpleILi2ELi2ELi0ELi1ELi0ELi0EELi0ELi0ELi1ELi1EEEviiP15ncclDevWorkColl.num_vgpr)
	.set .L_Z54ncclDevFunc_AllReduce_RING_SIMPLE_PreMulSum_bf16_0_1_1v.num_agpr, max(0, .L_ZN12_GLOBAL__N_17runRingI12hip_bfloat1613FuncPreMulSumIS1_E11ProtoSimpleILi2ELi2ELi0ELi1ELi0ELi0EELi0ELi0ELi1ELi1EEEviiP15ncclDevWorkColl.num_agpr)
	.set .L_Z54ncclDevFunc_AllReduce_RING_SIMPLE_PreMulSum_bf16_0_1_1v.numbered_sgpr, max(102, .L_ZN12_GLOBAL__N_17runRingI12hip_bfloat1613FuncPreMulSumIS1_E11ProtoSimpleILi2ELi2ELi0ELi1ELi0ELi0EELi0ELi0ELi1ELi1EEEviiP15ncclDevWorkColl.numbered_sgpr)
	.set .L_Z54ncclDevFunc_AllReduce_RING_SIMPLE_PreMulSum_bf16_0_1_1v.num_named_barrier, max(0, .L_ZN12_GLOBAL__N_17runRingI12hip_bfloat1613FuncPreMulSumIS1_E11ProtoSimpleILi2ELi2ELi0ELi1ELi0ELi0EELi0ELi0ELi1ELi1EEEviiP15ncclDevWorkColl.num_named_barrier)
	.set .L_Z54ncclDevFunc_AllReduce_RING_SIMPLE_PreMulSum_bf16_0_1_1v.private_seg_size, 32+max(.L_ZN12_GLOBAL__N_17runRingI12hip_bfloat1613FuncPreMulSumIS1_E11ProtoSimpleILi2ELi2ELi0ELi1ELi0ELi0EELi0ELi0ELi1ELi1EEEviiP15ncclDevWorkColl.private_seg_size)
	.set .L_Z54ncclDevFunc_AllReduce_RING_SIMPLE_PreMulSum_bf16_0_1_1v.uses_vcc, or(1, .L_ZN12_GLOBAL__N_17runRingI12hip_bfloat1613FuncPreMulSumIS1_E11ProtoSimpleILi2ELi2ELi0ELi1ELi0ELi0EELi0ELi0ELi1ELi1EEEviiP15ncclDevWorkColl.uses_vcc)
	.set .L_Z54ncclDevFunc_AllReduce_RING_SIMPLE_PreMulSum_bf16_0_1_1v.uses_flat_scratch, or(0, .L_ZN12_GLOBAL__N_17runRingI12hip_bfloat1613FuncPreMulSumIS1_E11ProtoSimpleILi2ELi2ELi0ELi1ELi0ELi0EELi0ELi0ELi1ELi1EEEviiP15ncclDevWorkColl.uses_flat_scratch)
	.set .L_Z54ncclDevFunc_AllReduce_RING_SIMPLE_PreMulSum_bf16_0_1_1v.has_dyn_sized_stack, or(0, .L_ZN12_GLOBAL__N_17runRingI12hip_bfloat1613FuncPreMulSumIS1_E11ProtoSimpleILi2ELi2ELi0ELi1ELi0ELi0EELi0ELi0ELi1ELi1EEEviiP15ncclDevWorkColl.has_dyn_sized_stack)
	.set .L_Z54ncclDevFunc_AllReduce_RING_SIMPLE_PreMulSum_bf16_0_1_1v.has_recursion, or(1, .L_ZN12_GLOBAL__N_17runRingI12hip_bfloat1613FuncPreMulSumIS1_E11ProtoSimpleILi2ELi2ELi0ELi1ELi0ELi0EELi0ELi0ELi1ELi1EEEviiP15ncclDevWorkColl.has_recursion)
	.set .L_Z54ncclDevFunc_AllReduce_RING_SIMPLE_PreMulSum_bf16_0_1_1v.has_indirect_call, or(0, .L_ZN12_GLOBAL__N_17runRingI12hip_bfloat1613FuncPreMulSumIS1_E11ProtoSimpleILi2ELi2ELi0ELi1ELi0ELi0EELi0ELi0ELi1ELi1EEEviiP15ncclDevWorkColl.has_indirect_call)
	.section	.AMDGPU.csdata,"",@progbits
; Function info:
; codeLenInByte = 1340
; TotalNumSgprs: 106
; NumVgprs: 64
; ScratchSize: 448
; MemoryBound: 0
	.text
	.p2align	2                               ; -- Begin function _ZN12_GLOBAL__N_17runRingI12hip_bfloat1613FuncPreMulSumIS1_E11ProtoSimpleILi2ELi2ELi0ELi2ELi0ELi0EELi0ELi0ELi2ELi0EEEviiP15ncclDevWorkColl
	.type	_ZN12_GLOBAL__N_17runRingI12hip_bfloat1613FuncPreMulSumIS1_E11ProtoSimpleILi2ELi2ELi0ELi2ELi0ELi0EELi0ELi0ELi2ELi0EEEviiP15ncclDevWorkColl,@function
_ZN12_GLOBAL__N_17runRingI12hip_bfloat1613FuncPreMulSumIS1_E11ProtoSimpleILi2ELi2ELi0ELi2ELi0ELi0EELi0ELi0ELi2ELi0EEEviiP15ncclDevWorkColl: ; @_ZN12_GLOBAL__N_17runRingI12hip_bfloat1613FuncPreMulSumIS1_E11ProtoSimpleILi2ELi2ELi0ELi2ELi0ELi0EELi0ELi0ELi2ELi0EEEviiP15ncclDevWorkColl
; %bb.0:
	s_waitcnt vmcnt(0) expcnt(0) lgkmcnt(0)
	s_mov_b32 s4, s33
	s_mov_b32 s33, s32
	s_or_saveexec_b64 s[6:7], -1
	buffer_store_dword v63, off, s[0:3], s33 offset:268 ; 4-byte Folded Spill
	s_mov_b64 exec, s[6:7]
	v_writelane_b32 v63, s4, 30
	s_addk_i32 s32, 0x4800
	buffer_store_dword v40, off, s[0:3], s33 offset:56 ; 4-byte Folded Spill
	buffer_store_dword v41, off, s[0:3], s33 offset:52 ; 4-byte Folded Spill
	;; [unrolled: 1-line block ×14, first 2 shown]
	buffer_store_dword v62, off, s[0:3], s33 ; 4-byte Folded Spill
	v_writelane_b32 v63, s34, 0
	v_writelane_b32 v63, s35, 1
	;; [unrolled: 1-line block ×30, first 2 shown]
	v_mov_b32_e32 v17, v1
	s_trap 2
	flat_load_dword v1, v[2:3]
	ds_read_b32 v4, v0
                                        ; implicit-def: $vgpr5_vgpr6
	v_mov_b32_e32 v56, v0
                                        ; kill: killed $vgpr5_vgpr6
                                        ; implicit-def: $vgpr5_vgpr6
                                        ; implicit-def: $vgpr14_vgpr15
	buffer_store_dword v5, off, s[0:3], s33 offset:208 ; 4-byte Folded Spill
	s_nop 0
	buffer_store_dword v6, off, s[0:3], s33 offset:212 ; 4-byte Folded Spill
	buffer_store_dword v7, off, s[0:3], s33 offset:216 ; 4-byte Folded Spill
	;; [unrolled: 1-line block ×3, first 2 shown]
	s_waitcnt lgkmcnt(0)
	v_readfirstlane_b32 s52, v4
	s_waitcnt vmcnt(0)
	v_cmp_ne_u32_sdwa s[4:5], v4, v1 src0_sel:DWORD src1_sel:BYTE_0
	s_and_saveexec_b64 s[6:7], s[4:5]
	s_xor_b64 s[4:5], exec, s[6:7]
	s_cbranch_execz .LBB6_6
; %bb.1:
                                        ; implicit-def: $vgpr5_vgpr6
	v_not_b32_sdwa v0, v1 dst_sel:DWORD dst_unused:UNUSED_PAD src0_sel:BYTE_0
	v_cmp_ne_u32_sdwa s[6:7], v4, v1 src0_sel:DWORD src1_sel:BYTE_1
                                        ; kill: killed $vgpr5_vgpr6
                                        ; implicit-def: $vgpr5_vgpr6
                                        ; implicit-def: $vgpr14_vgpr15
	buffer_store_dword v5, off, s[0:3], s33 offset:208 ; 4-byte Folded Spill
	s_nop 0
	buffer_store_dword v6, off, s[0:3], s33 offset:212 ; 4-byte Folded Spill
	buffer_store_dword v7, off, s[0:3], s33 offset:216 ; 4-byte Folded Spill
	;; [unrolled: 1-line block ×3, first 2 shown]
	s_and_saveexec_b64 s[10:11], s[6:7]
	s_xor_b64 s[6:7], exec, s[10:11]
	s_cbranch_execz .LBB6_3
; %bb.2:
	flat_load_dwordx4 v[5:8], v[2:3] offset:72
	flat_load_dwordx2 v[9:10], v[2:3] offset:96
	v_add_u32_e32 v0, v4, v0
	v_ashrrev_i32_e32 v1, 31, v0
	s_waitcnt vmcnt(0) lgkmcnt(0)
	v_mul_lo_u32 v1, v7, v1
	v_mad_u64_u32 v[4:5], s[10:11], v7, v0, v[5:6]
	v_mul_lo_u32 v0, v8, v0
	v_lshrrev_b64 v[14:15], 13, v[9:10]
	v_add3_u32 v5, v0, v5, v1
	v_mov_b32_e32 v0, v7
	v_mov_b32_e32 v1, v8
	buffer_store_dword v4, off, s[0:3], s33 offset:224 ; 4-byte Folded Spill
	s_nop 0
	buffer_store_dword v5, off, s[0:3], s33 offset:228 ; 4-byte Folded Spill
	buffer_store_dword v0, off, s[0:3], s33 offset:208 ; 4-byte Folded Spill
	s_nop 0
	buffer_store_dword v1, off, s[0:3], s33 offset:212 ; 4-byte Folded Spill
	buffer_store_dword v2, off, s[0:3], s33 offset:216 ; 4-byte Folded Spill
	;; [unrolled: 1-line block ×3, first 2 shown]
                                        ; implicit-def: $vgpr1
                                        ; implicit-def: $vgpr0
.LBB6_3:
	s_andn2_saveexec_b64 s[6:7], s[6:7]
	s_cbranch_execz .LBB6_5
; %bb.4:
	flat_load_dwordx4 v[4:7], v[2:3] offset:72
	flat_load_dwordx4 v[8:11], v[2:3] offset:88
	v_add_u32_sdwa v0, v1, v0 dst_sel:DWORD dst_unused:UNUSED_PAD src0_sel:BYTE_1 src1_sel:DWORD
	v_ashrrev_i32_e32 v1, 31, v0
	s_waitcnt vmcnt(0) lgkmcnt(0)
	v_mul_lo_u32 v1, v6, v1
	v_mad_u64_u32 v[4:5], s[10:11], v6, v0, v[4:5]
	v_mul_lo_u32 v0, v7, v0
	v_lshrrev_b32_e32 v14, 2, v11
	v_add3_u32 v5, v0, v5, v1
	v_mov_b32_e32 v0, v8
	v_mov_b32_e32 v1, v9
	buffer_store_dword v4, off, s[0:3], s33 offset:224 ; 4-byte Folded Spill
	s_nop 0
	buffer_store_dword v5, off, s[0:3], s33 offset:228 ; 4-byte Folded Spill
	buffer_store_dword v0, off, s[0:3], s33 offset:208 ; 4-byte Folded Spill
	s_nop 0
	buffer_store_dword v1, off, s[0:3], s33 offset:212 ; 4-byte Folded Spill
	buffer_store_dword v2, off, s[0:3], s33 offset:216 ; 4-byte Folded Spill
	;; [unrolled: 1-line block ×3, first 2 shown]
.LBB6_5:
	s_or_b64 exec, exec, s[6:7]
.LBB6_6:
	s_andn2_saveexec_b64 s[4:5], s[4:5]
	s_cbranch_execz .LBB6_8
; %bb.7:
	flat_load_dwordx2 v[0:1], v[2:3] offset:96
	flat_load_dwordx2 v[4:5], v[2:3] offset:72
	s_waitcnt vmcnt(0) lgkmcnt(0)
	buffer_store_dword v4, off, s[0:3], s33 offset:208 ; 4-byte Folded Spill
	s_nop 0
	buffer_store_dword v5, off, s[0:3], s33 offset:212 ; 4-byte Folded Spill
	buffer_store_dword v6, off, s[0:3], s33 offset:216 ; 4-byte Folded Spill
	;; [unrolled: 1-line block ×3, first 2 shown]
	v_lshlrev_b64 v[14:15], 8, v[0:1]
	v_mov_b32_e32 v0, 0
	v_mov_b32_e32 v1, 0
	buffer_store_dword v0, off, s[0:3], s33 offset:224 ; 4-byte Folded Spill
	s_nop 0
	buffer_store_dword v1, off, s[0:3], s33 offset:228 ; 4-byte Folded Spill
.LBB6_8:
	s_or_b64 exec, exec, s[4:5]
	s_trap 2
	ds_read_b64 v[0:1], v0
	s_waitcnt lgkmcnt(0)
	v_cmp_ne_u32_e32 vcc, -1, v0
	v_cndmask_b32_e64 v0, 0, 1, vcc
	v_cmp_ne_u32_e32 vcc, -1, v1
	v_addc_co_u32_e64 v1, s[4:5], 0, v0, vcc
	v_lshlrev_b32_e32 v4, 1, v1
	v_cmp_le_u32_e64 s[4:5], v4, v17
	s_and_saveexec_b64 s[6:7], s[4:5]
	s_xor_b64 s[44:45], exec, s[6:7]
	s_cbranch_execz .LBB6_2230
; %bb.9:
	flat_load_dwordx4 v[10:13], v[2:3] offset:16
	flat_load_dwordx2 v[18:19], v[2:3] offset:104
	flat_load_ushort v7, v[2:3] offset:8
	flat_load_dword v6, v[2:3] offset:4
	s_trap 2
	s_load_dword s4, s[8:9], 0x0
	v_mov_b32_e32 v4, 0
	v_mov_b32_e32 v30, 4
	s_waitcnt lgkmcnt(0)
	s_cmp_lt_u32 s12, s4
	s_cselect_b32 s4, 12, 18
	s_add_u32 s4, s8, s4
	s_addc_u32 s5, s9, 0
	global_load_ushort v15, v4, s[4:5]
	ds_read_b32 v4, v0
	v_cmp_ge_u32_e64 s[4:5], v56, v0
	s_waitcnt lgkmcnt(0)
	v_readfirstlane_b32 s24, v4
	s_and_saveexec_b64 s[6:7], s[4:5]
	s_cbranch_execz .LBB6_19
; %bb.10:
	v_cmp_ge_u32_e64 s[4:5], v56, v1
                                        ; implicit-def: $vgpr30
	s_and_saveexec_b64 s[10:11], s[4:5]
	s_xor_b64 s[4:5], exec, s[10:11]
	s_cbranch_execz .LBB6_16
; %bb.11:
	v_cndmask_b32_e64 v4, 0, 1, vcc
	v_sub_u32_e32 v4, v17, v4
	v_cmp_ge_u32_e32 vcc, v56, v4
	s_and_saveexec_b64 s[10:11], vcc
	s_xor_b64 s[10:11], exec, s[10:11]
; %bb.12:
                                        ; implicit-def: $vgpr1
; %bb.13:
	s_or_saveexec_b64 s[10:11], s[10:11]
	v_mov_b32_e32 v30, 16
	s_xor_b64 exec, exec, s[10:11]
; %bb.14:
	v_sub_u32_e32 v1, v17, v1
	v_cmp_lt_i32_e32 vcc, v56, v1
	v_cndmask_b32_e64 v30, 32, 0, vcc
; %bb.15:
	s_or_b64 exec, exec, s[10:11]
.LBB6_16:
	s_andn2_saveexec_b64 s[4:5], s[4:5]
; %bb.17:
	v_mov_b32_e32 v30, 8
; %bb.18:
	s_or_b64 exec, exec, s[4:5]
.LBB6_19:
	s_or_b64 exec, exec, s[6:7]
	v_and_b32_e32 v1, 36, v30
	v_cmp_ne_u32_e32 vcc, 0, v1
	v_mov_b32_e32 v8, -1
	s_and_saveexec_b64 s[4:5], vcc
	s_cbranch_execz .LBB6_21
; %bb.20:
	s_trap 2
	ds_read_b32 v8, v0
.LBB6_21:
	s_or_b64 exec, exec, s[4:5]
	v_and_b32_e32 v1, 24, v30
	v_cmp_ne_u32_e64 s[4:5], 0, v1
	s_and_saveexec_b64 s[6:7], s[4:5]
	s_cbranch_execz .LBB6_23
; %bb.22:
	s_trap 2
	s_waitcnt lgkmcnt(0)
	ds_read_b32 v8, v0
.LBB6_23:
	s_or_b64 exec, exec, s[6:7]
	s_waitcnt vmcnt(0)
	v_lshrrev_b64 v[4:5], 31, v[6:7]
	v_mov_b32_e32 v20, 0
	v_mov_b32_e32 v58, 0
	v_and_b32_e32 v1, 3, v4
                                        ; implicit-def: $vgpr4_vgpr5
	v_mov_b32_e32 v21, 0
	v_mov_b32_e32 v59, 0
                                        ; kill: killed $vgpr4_vgpr5
                                        ; implicit-def: $vgpr4
                                        ; kill: killed $vgpr4
                                        ; implicit-def: $vgpr48_vgpr49
                                        ; implicit-def: $vgpr4_vgpr5
                                        ; kill: killed $vgpr4_vgpr5
                                        ; implicit-def: $vgpr28_vgpr29
                                        ; implicit-def: $vgpr22_vgpr23
	s_and_saveexec_b64 s[4:5], vcc
	s_cbranch_execz .LBB6_33
; %bb.24:
	s_trap 2
	ds_read_b64 v[4:5], v0
	s_waitcnt lgkmcnt(1)
	v_ashrrev_i32_e32 v9, 31, v8
	v_lshlrev_b64 v[6:7], 3, v[8:9]
	s_movk_i32 s6, 0xa8
	s_waitcnt lgkmcnt(0)
	v_add_co_u32_e32 v4, vcc, v4, v6
	v_addc_co_u32_e32 v5, vcc, v5, v7, vcc
	flat_load_dwordx2 v[4:5], v[4:5]
	v_and_b32_e32 v6, 0xffff, v1
	s_waitcnt vmcnt(0) lgkmcnt(0)
	v_mad_u64_u32 v[26:27], s[6:7], v6, s6, v[4:5]
	flat_load_dword v4, v[26:27] offset:640
	s_waitcnt vmcnt(0) lgkmcnt(0)
	v_cmp_eq_u32_e32 vcc, 1, v4
                                        ; implicit-def: $vgpr4_vgpr5
                                        ; kill: killed $vgpr4_vgpr5
	s_and_saveexec_b64 s[6:7], vcc
	s_cbranch_execz .LBB6_26
; %bb.25:
	flat_load_dwordx2 v[6:7], v[26:27] offset:648
	v_or_b32_e32 v30, 0x2000, v30
	s_waitcnt vmcnt(0) lgkmcnt(0)
	flat_load_dwordx2 v[4:5], v[6:7]
	s_trap 2
	s_waitcnt vmcnt(0) lgkmcnt(0)
	ds_write_b64 v0, v[4:5]
	flat_load_dwordx2 v[4:5], v[6:7] offset:8
	s_waitcnt vmcnt(0) lgkmcnt(0)
	ds_write_b64 v0, v[4:5]
	buffer_store_dword v6, off, s[0:3], s33 offset:260 ; 4-byte Folded Spill
	s_nop 0
	buffer_store_dword v7, off, s[0:3], s33 offset:264 ; 4-byte Folded Spill
	flat_load_dwordx2 v[4:5], v[6:7] offset:16
	s_waitcnt vmcnt(0) lgkmcnt(0)
	ds_write_b64 v0, v[4:5]
.LBB6_26:
	s_or_b64 exec, exec, s[6:7]
	flat_load_dwordx2 v[4:5], v[26:27] offset:608
	v_and_b32_e32 v6, 32, v30
                                        ; implicit-def: $vgpr22_vgpr23
	s_waitcnt vmcnt(0) lgkmcnt(0)
	v_add_co_u32_e32 v4, vcc, 3, v4
	v_addc_co_u32_e32 v49, vcc, 0, v5, vcc
	v_and_b32_e32 v48, -4, v4
	v_cmp_ne_u32_e32 vcc, 0, v6
	s_and_saveexec_b64 s[6:7], vcc
	s_cbranch_execz .LBB6_28
; %bb.27:
	flat_load_dwordx2 v[22:23], v[26:27] offset:560
	s_waitcnt vmcnt(0) lgkmcnt(0)
	flat_store_dwordx2 v[22:23], v[48:49]
.LBB6_28:
	s_or_b64 exec, exec, s[6:7]
	v_add_co_u32_e32 v20, vcc, 0x1f8, v26
	v_addc_co_u32_e32 v21, vcc, 0, v27, vcc
	v_and_b32_e32 v4, 4, v30
	v_mov_b32_e32 v58, 0
	v_mov_b32_e32 v59, 0
	v_cmp_ne_u32_e32 vcc, 0, v4
                                        ; implicit-def: $vgpr4
                                        ; kill: killed $vgpr4
                                        ; implicit-def: $vgpr4_vgpr5
                                        ; kill: killed $vgpr4_vgpr5
                                        ; implicit-def: $vgpr28_vgpr29
	s_and_saveexec_b64 s[6:7], vcc
	s_cbranch_execz .LBB6_32
; %bb.29:
	v_and_b32_e32 v4, 0x800, v30
	v_cmp_eq_u32_e32 vcc, 0, v4
	s_and_saveexec_b64 s[10:11], vcc
	s_cbranch_execz .LBB6_31
; %bb.30:
	s_trap 2
	ds_write_b64 v0, v[20:21]
.LBB6_31:
	s_or_b64 exec, exec, s[10:11]
	flat_load_dwordx2 v[22:23], v[26:27] offset:552
	s_waitcnt vmcnt(0) lgkmcnt(0)
	flat_load_dwordx2 v[28:29], v[22:23] glc
	flat_load_dword v4, v[26:27] offset:576
	flat_load_dwordx2 v[58:59], v[26:27] offset:600
	flat_load_dwordx2 v[5:6], v[26:27] offset:520
	s_waitcnt vmcnt(0) lgkmcnt(0)
	buffer_store_dword v5, off, s[0:3], s33 offset:60 ; 4-byte Folded Spill
	s_nop 0
	buffer_store_dword v6, off, s[0:3], s33 offset:64 ; 4-byte Folded Spill
	v_cmp_eq_u64_e32 vcc, 0, v[58:59]
	v_or_b32_e32 v5, 0x100, v30
	v_ashrrev_i32_e32 v4, 1, v4
	v_cndmask_b32_e32 v30, v5, v30, vcc
	buffer_store_dword v4, off, s[0:3], s33 offset:76 ; 4-byte Folded Spill
.LBB6_32:
	s_or_b64 exec, exec, s[6:7]
.LBB6_33:
	s_or_b64 exec, exec, s[4:5]
	v_and_b32_e32 v4, 24, v30
	v_cmp_ne_u32_e32 vcc, 0, v4
                                        ; implicit-def: $vgpr4_vgpr5
                                        ; kill: killed $vgpr4_vgpr5
	s_and_saveexec_b64 s[4:5], vcc
	s_cbranch_execz .LBB6_41
; %bb.34:
	s_trap 2
	ds_read_b64 v[4:5], v0
	s_waitcnt lgkmcnt(0)
	v_ashrrev_i32_e32 v9, 31, v8
	v_lshlrev_b64 v[6:7], 3, v[8:9]
	v_and_b32_e32 v1, 0xffff, v1
	s_movk_i32 s6, 0xa8
	v_add_co_u32_e32 v4, vcc, v4, v6
	v_addc_co_u32_e32 v5, vcc, v5, v7, vcc
	flat_load_dwordx2 v[4:5], v[4:5]
	s_waitcnt vmcnt(0) lgkmcnt(0)
	v_mad_u64_u32 v[20:21], s[6:7], v1, s6, v[4:5]
	v_or_b32_e32 v1, 0x100, v30
                                        ; implicit-def: $vgpr4_vgpr5
                                        ; kill: killed $vgpr4_vgpr5
	flat_load_dwordx4 v[58:61], v[20:21] offset:96
	s_waitcnt vmcnt(0) lgkmcnt(0)
	v_cmp_eq_u64_e32 vcc, 0, v[58:59]
	v_cndmask_b32_e32 v30, v1, v30, vcc
	v_and_b32_e32 v1, 16, v30
	v_cmp_ne_u32_e32 vcc, 0, v1
	s_and_saveexec_b64 s[6:7], vcc
	s_cbranch_execz .LBB6_36
; %bb.35:
	flat_load_dwordx2 v[22:23], v[20:21] offset:48
	flat_load_dwordx2 v[4:5], v[20:21] offset:120
	s_waitcnt vmcnt(0) lgkmcnt(0)
	buffer_store_dword v4, off, s[0:3], s33 offset:68 ; 4-byte Folded Spill
	s_nop 0
	buffer_store_dword v5, off, s[0:3], s33 offset:72 ; 4-byte Folded Spill
	flat_load_dwordx2 v[4:5], v[20:21] offset:16
	s_waitcnt vmcnt(0) lgkmcnt(0)
	buffer_store_dword v4, off, s[0:3], s33 offset:60 ; 4-byte Folded Spill
	s_nop 0
	buffer_store_dword v5, off, s[0:3], s33 offset:64 ; 4-byte Folded Spill
.LBB6_36:
	s_or_b64 exec, exec, s[6:7]
	v_add_co_u32_e32 v1, vcc, 3, v60
	v_addc_co_u32_e32 v49, vcc, 0, v61, vcc
	v_and_b32_e32 v48, -4, v1
	v_and_b32_e32 v1, 8, v30
	v_cmp_ne_u32_e32 vcc, 0, v1
	s_and_saveexec_b64 s[6:7], vcc
	s_cbranch_execz .LBB6_40
; %bb.37:
	v_and_b32_e32 v1, 0x800, v30
	v_cmp_eq_u32_e32 vcc, 0, v1
	s_and_saveexec_b64 s[10:11], vcc
	s_cbranch_execz .LBB6_39
; %bb.38:
	s_trap 2
	ds_write_b64 v0, v[20:21]
.LBB6_39:
	s_or_b64 exec, exec, s[10:11]
	flat_load_dwordx2 v[22:23], v[20:21] offset:56
	s_waitcnt vmcnt(0) lgkmcnt(0)
	flat_load_dwordx2 v[28:29], v[22:23] glc
	flat_load_dword v1, v[20:21] offset:72
	flat_load_dwordx2 v[4:5], v[20:21] offset:16
	s_waitcnt vmcnt(0) lgkmcnt(0)
	buffer_store_dword v4, off, s[0:3], s33 offset:60 ; 4-byte Folded Spill
	s_nop 0
	buffer_store_dword v5, off, s[0:3], s33 offset:64 ; 4-byte Folded Spill
	v_ashrrev_i32_e32 v1, 1, v1
	buffer_store_dword v1, off, s[0:3], s33 offset:76 ; 4-byte Folded Spill
.LBB6_40:
	s_or_b64 exec, exec, s[6:7]
.LBB6_41:
	s_or_b64 exec, exec, s[4:5]
	v_cmp_eq_u32_e64 s[4:5], 0, v56
	s_and_saveexec_b64 s[6:7], s[4:5]
	s_cbranch_execz .LBB6_43
; %bb.42:
	flat_load_dwordx2 v[4:5], v[2:3] offset:32
	v_mov_b32_e32 v6, v12
	v_mov_b32_e32 v7, v13
	s_waitcnt lgkmcnt(0)
	v_mov_b32_e32 v8, v10
	v_mov_b32_e32 v9, v11
	ds_write2_b64 v0, v[6:7], v[8:9] offset1:1
	s_trap 2
	s_waitcnt vmcnt(0)
	ds_write_b64 v0, v[4:5]
	ds_write_b64 v0, v[18:19]
.LBB6_43:
	s_or_b64 exec, exec, s[6:7]
	buffer_load_dword v4, off, s[0:3], s33 offset:208 ; 4-byte Folded Reload
	buffer_load_dword v5, off, s[0:3], s33 offset:212 ; 4-byte Folded Reload
	;; [unrolled: 1-line block ×4, first 2 shown]
	v_mov_b32_e32 v32, 0
	v_mov_b32_e32 v33, 0
	s_waitcnt vmcnt(0)
	v_cmp_lt_i64_e32 vcc, 0, v[4:5]
	s_and_saveexec_b64 s[46:47], vcc
	s_cbranch_execz .LBB6_2196
; %bb.44:
	buffer_store_dword v20, off, s[0:3], s33 offset:252 ; 4-byte Folded Spill
	s_nop 0
	buffer_store_dword v21, off, s[0:3], s33 offset:256 ; 4-byte Folded Spill
	buffer_load_dword v4, off, s[0:3], s33 offset:76 ; 4-byte Folded Reload
	v_and_b32_e32 v9, 0x1fffff00, v14
	flat_load_dword v3, v[2:3] offset:4
	v_mov_b32_e32 v2, 0
	buffer_store_dword v31, off, s[0:3], s33 offset:244 ; 4-byte Folded Spill
	v_mov_b32_e32 v10, v2
	v_and_b32_e32 v7, 63, v56
	v_lshrrev_b32_e32 v16, 6, v17
	s_waitcnt lgkmcnt(0)
	v_lshrrev_b32_e32 v8, 6, v56
	s_ashr_i32 s18, s24, 31
	v_and_b32_e32 v1, 63, v31
	v_cmp_lt_u32_e64 s[20:21], v7, v0
	v_lshlrev_b32_e32 v31, 10, v16
	v_cmp_le_u32_e64 s[22:23], v7, v0
	s_movk_i32 s25, 0x400
	s_lshr_b32 s27, s18, 29
	s_add_i32 s27, s24, s27
	s_movk_i32 s26, 0x80
	s_ashr_i32 s53, s52, 31
	s_ashr_i32 s28, s27, 4
	s_add_u32 s67, s52, -1
	s_addc_u32 s68, s53, -1
	s_add_i32 s69, s52, s52
	v_cmp_ge_u32_e32 vcc, v56, v17
	v_mov_b32_e32 v42, 0
	v_mov_b32_e32 v32, 0
	v_cmp_eq_u32_e64 s[6:7], 64, v17
	v_cmp_ne_u32_e64 s[10:11], 64, v17
	v_cmp_ne_u32_sdwa s[56:57], v17, v15 src0_sel:DWORD src1_sel:WORD_0
	s_mov_b64 s[58:59], 0
	s_movk_i32 s54, 0xff80
	s_mov_b32 s55, 0x7f800000
	s_movk_i32 s64, 0x7fff
	s_mov_b32 s65, 0xffff0000
	s_movk_i32 s66, 0x108
	v_mov_b32_e32 v43, 0
	v_cmp_eq_u32_e64 s[18:19], 0, v7
	v_lshlrev_b32_e32 v36, 11, v16
	v_mov_b32_e32 v33, 0
	s_waitcnt vmcnt(0)
	v_ashrrev_i32_e32 v4, 31, v4
	buffer_store_dword v4, off, s[0:3], s33 offset:92 ; 4-byte Folded Spill
	s_trap 2
	buffer_store_dword v15, off, s[0:3], s33 offset:248 ; 4-byte Folded Spill
	buffer_store_dword v17, off, s[0:3], s33 offset:240 ; 4-byte Folded Spill
	buffer_load_dword v5, off, s[0:3], s33 offset:68 ; 4-byte Folded Reload
	buffer_load_dword v6, off, s[0:3], s33 offset:72 ; 4-byte Folded Reload
	s_nop 0
	buffer_store_dword v9, off, s[0:3], s33 offset:160 ; 4-byte Folded Spill
	s_nop 0
	buffer_store_dword v10, off, s[0:3], s33 offset:164 ; 4-byte Folded Spill
	v_lshlrev_b32_e32 v4, 1, v17
	buffer_store_dword v7, off, s[0:3], s33 offset:140 ; 4-byte Folded Spill
	buffer_store_dword v8, off, s[0:3], s33 offset:132 ; 4-byte Folded Spill
	v_mad_i64_i32 v[9:10], s[16:17], v9, s52, 0
	s_waitcnt vmcnt(4)
	v_cmp_eq_u64_e64 s[12:13], 0, v[5:6]
	v_cmp_ne_u64_e64 s[14:15], 0, v[5:6]
	v_lshlrev_b32_e32 v5, 4, v7
	v_lshl_or_b32 v0, v8, 11, v5
	buffer_store_dword v0, off, s[0:3], s33 offset:168 ; 4-byte Folded Spill
	v_add_u32_e32 v0, 0xfffffc00, v31
	v_lshl_or_b32 v5, v8, 12, v5
	v_cmp_eq_u32_e64 s[16:17], 0, v1
	v_and_b32_e32 v1, 0x7f80, v4
	buffer_store_dword v5, off, s[0:3], s33 offset:136 ; 4-byte Folded Spill
	v_ashrrev_i32_e32 v5, 31, v0
	v_add_co_u32_e64 v0, s[24:25], s25, v0
	v_add_u32_e32 v4, 0xffffff80, v1
	buffer_store_dword v0, off, s[0:3], s33 offset:116 ; 4-byte Folded Spill
	buffer_store_dword v5, off, s[0:3], s33 offset:112 ; 4-byte Folded Spill
	v_addc_co_u32_e64 v0, s[24:25], 0, v5, s[24:25]
	v_ashrrev_i32_e32 v6, 31, v4
	buffer_store_dword v0, off, s[0:3], s33 offset:120 ; 4-byte Folded Spill
	v_add_co_u32_e64 v0, s[24:25], s26, v4
	buffer_store_dword v0, off, s[0:3], s33 offset:84 ; 4-byte Folded Spill
	buffer_store_dword v6, off, s[0:3], s33 offset:80 ; 4-byte Folded Spill
	v_addc_co_u32_e64 v0, s[24:25], 0, v6, s[24:25]
	buffer_store_dword v0, off, s[0:3], s33 offset:88 ; 4-byte Folded Spill
	buffer_store_dword v56, off, s[0:3], s33 offset:172 ; 4-byte Folded Spill
	v_and_b32_e32 v0, 1, v3
	buffer_load_dword v3, off, s[0:3], s33 offset:208 ; 4-byte Folded Reload
	buffer_load_dword v4, off, s[0:3], s33 offset:212 ; 4-byte Folded Reload
	;; [unrolled: 1-line block ×4, first 2 shown]
	s_not_b32 s24, s52
	s_cmp_gt_i32 s52, 0
	s_cselect_b32 s24, s24, -1
	s_ashr_i32 s25, s27, 31
	s_add_i32 s70, s24, s69
	s_lshr_b32 s24, s25, 28
	s_add_i32 s28, s28, s24
	s_ashr_i32 s71, s70, 31
	s_ashr_i32 s80, s28, 4
	s_cmp_gt_i32 s52, 2
	v_cmp_eq_u32_e64 s[24:25], 1, v0
	s_cselect_b64 s[60:61], -1, 0
	s_add_i32 s26, s52, 1
	s_xor_b64 s[62:63], s[24:25], -1
	s_cmp_ge_i32 s26, s52
	s_cselect_b32 s27, s52, 0
	s_sub_i32 s82, s26, s27
	s_waitcnt vmcnt(0)
	v_mov_b32_e32 v5, v58
	s_add_i32 s81, s52, -2
	s_xor_b64 s[72:73], vcc, -1
	s_ashr_i32 s74, s53, 31
	s_ashr_i32 s83, s82, 31
	v_mov_b32_e32 v6, v59
	buffer_store_dword v5, off, s[0:3], s33 offset:96 ; 4-byte Folded Spill
	s_nop 0
	buffer_store_dword v6, off, s[0:3], s33 offset:100 ; 4-byte Folded Spill
	buffer_store_dword v7, off, s[0:3], s33 offset:104 ; 4-byte Folded Spill
	;; [unrolled: 1-line block ×4, first 2 shown]
	s_nop 0
	buffer_store_dword v10, off, s[0:3], s33 offset:236 ; 4-byte Folded Spill
	s_branch .LBB6_47
.LBB6_45:                               ;   in Loop: Header=BB6_47 Depth=1
	s_or_b64 exec, exec, s[40:41]
.LBB6_46:                               ;   in Loop: Header=BB6_47 Depth=1
	s_or_b64 exec, exec, s[28:29]
	buffer_load_dword v9, off, s[0:3], s33 offset:232 ; 4-byte Folded Reload
	buffer_load_dword v10, off, s[0:3], s33 offset:236 ; 4-byte Folded Reload
	;; [unrolled: 1-line block ×6, first 2 shown]
	s_waitcnt vmcnt(0)
	v_add_co_u32_e32 v42, vcc, v42, v9
	v_addc_co_u32_e32 v43, vcc, v43, v10, vcc
	v_cmp_ge_i64_e32 vcc, v[42:43], v[3:4]
	s_or_b64 s[58:59], vcc, s[58:59]
	s_andn2_b64 exec, exec, s[58:59]
	s_cbranch_execz .LBB6_2195
.LBB6_47:                               ; =>This Loop Header: Depth=1
                                        ;     Child Loop BB6_57 Depth 2
                                        ;       Child Loop BB6_65 Depth 3
                                        ;       Child Loop BB6_89 Depth 3
	;; [unrolled: 1-line block ×9, first 2 shown]
                                        ;     Child Loop BB6_393 Depth 2
                                        ;       Child Loop BB6_399 Depth 3
                                        ;       Child Loop BB6_423 Depth 3
	;; [unrolled: 1-line block ×3, first 2 shown]
                                        ;     Child Loop BB6_465 Depth 2
                                        ;       Child Loop BB6_468 Depth 3
                                        ;         Child Loop BB6_476 Depth 4
                                        ;         Child Loop BB6_504 Depth 4
	;; [unrolled: 1-line block ×9, first 2 shown]
                                        ;       Child Loop BB6_876 Depth 3
                                        ;         Child Loop BB6_882 Depth 4
                                        ;         Child Loop BB6_910 Depth 4
	;; [unrolled: 1-line block ×3, first 2 shown]
                                        ;     Child Loop BB6_952 Depth 2
                                        ;       Child Loop BB6_960 Depth 3
                                        ;       Child Loop BB6_988 Depth 3
	;; [unrolled: 1-line block ×9, first 2 shown]
                                        ;         Child Loop BB6_1234 Depth 4
                                        ;       Child Loop BB6_1242 Depth 3
                                        ;       Child Loop BB6_1310 Depth 3
                                        ;         Child Loop BB6_1319 Depth 4
                                        ;       Child Loop BB6_1619 Depth 3
                                        ;       Child Loop BB6_1638 Depth 3
                                        ;     Child Loop BB6_1656 Depth 2
                                        ;       Child Loop BB6_1662 Depth 3
                                        ;       Child Loop BB6_1690 Depth 3
	;; [unrolled: 1-line block ×3, first 2 shown]
                                        ;     Child Loop BB6_1732 Depth 2
                                        ;       Child Loop BB6_1735 Depth 3
                                        ;         Child Loop BB6_1743 Depth 4
                                        ;         Child Loop BB6_1771 Depth 4
	;; [unrolled: 1-line block ×9, first 2 shown]
                                        ;           Child Loop BB6_1825 Depth 5
                                        ;         Child Loop BB6_1832 Depth 4
                                        ;         Child Loop BB6_1837 Depth 4
                                        ;           Child Loop BB6_1838 Depth 5
                                        ;         Child Loop BB6_1875 Depth 4
                                        ;         Child Loop BB6_1894 Depth 4
                                        ;       Child Loop BB6_1912 Depth 3
                                        ;         Child Loop BB6_1918 Depth 4
                                        ;         Child Loop BB6_1946 Depth 4
	;; [unrolled: 1-line block ×3, first 2 shown]
                                        ;     Child Loop BB6_1991 Depth 2
                                        ;       Child Loop BB6_1999 Depth 3
                                        ;       Child Loop BB6_2023 Depth 3
	;; [unrolled: 1-line block ×9, first 2 shown]
                                        ;     Child Loop BB6_2129 Depth 2
                                        ;       Child Loop BB6_2135 Depth 3
                                        ;       Child Loop BB6_2159 Depth 3
	;; [unrolled: 1-line block ×3, first 2 shown]
	v_sub_co_u32_e32 v3, vcc, v3, v42
	v_subb_co_u32_e32 v4, vcc, v4, v43, vcc
	buffer_store_dword v3, off, s[0:3], s33 offset:152 ; 4-byte Folded Spill
	s_nop 0
	buffer_store_dword v4, off, s[0:3], s33 offset:156 ; 4-byte Folded Spill
	v_cmp_lt_i64_e32 vcc, v[3:4], v[9:10]
	s_and_saveexec_b64 s[28:29], vcc
	s_cbranch_execz .LBB6_53
; %bb.48:                               ;   in Loop: Header=BB6_47 Depth=1
	buffer_load_dword v4, off, s[0:3], s33 offset:152 ; 4-byte Folded Reload
	buffer_load_dword v5, off, s[0:3], s33 offset:156 ; 4-byte Folded Reload
	v_mov_b32_e32 v3, s68
                                        ; implicit-def: $vgpr8_vgpr9
	s_waitcnt vmcnt(0)
	v_add_co_u32_e32 v0, vcc, s67, v4
	s_waitcnt vmcnt(0)
	v_addc_co_u32_e32 v4, vcc, v3, v5, vcc
	v_or_b32_e32 v3, s53, v4
	v_cmp_ne_u64_e32 vcc, 0, v[2:3]
	s_and_saveexec_b64 s[26:27], vcc
	s_xor_b64 s[40:41], exec, s[26:27]
	s_cbranch_execz .LBB6_50
; %bb.49:                               ;   in Loop: Header=BB6_47 Depth=1
	s_add_u32 s26, s52, s74
	s_mov_b32 s75, s74
	s_addc_u32 s27, s53, s74
	s_xor_b64 s[42:43], s[26:27], s[74:75]
	v_cvt_f32_u32_e32 v3, s42
	v_cvt_f32_u32_e32 v5, s43
	s_sub_u32 s75, 0, s42
	s_subb_u32 s76, 0, s43
	v_ashrrev_i32_e32 v7, 31, v4
	v_mac_f32_e32 v3, 0x4f800000, v5
	v_rcp_f32_e32 v3, v3
	v_add_co_u32_e32 v0, vcc, v0, v7
	v_xor_b32_e32 v0, v0, v7
	v_mul_f32_e32 v3, 0x5f7ffffc, v3
	v_mul_f32_e32 v5, 0x2f800000, v3
	v_trunc_f32_e32 v5, v5
	v_mac_f32_e32 v3, 0xcf800000, v5
	v_cvt_u32_f32_e32 v5, v5
	v_cvt_u32_f32_e32 v3, v3
	v_readfirstlane_b32 s77, v5
	v_readfirstlane_b32 s26, v3
	s_mul_i32 s27, s75, s77
	s_mul_hi_u32 s79, s75, s26
	s_mul_i32 s78, s76, s26
	s_add_i32 s27, s79, s27
	s_add_i32 s27, s27, s78
	s_mul_i32 s88, s75, s26
	s_mul_i32 s79, s26, s27
	s_mul_hi_u32 s89, s26, s88
	s_mul_hi_u32 s78, s26, s27
	s_add_u32 s79, s89, s79
	s_addc_u32 s78, 0, s78
	s_mul_hi_u32 s90, s77, s88
	s_mul_i32 s88, s77, s88
	s_add_u32 s79, s79, s88
	s_mul_hi_u32 s89, s77, s27
	s_addc_u32 s78, s78, s90
	s_addc_u32 s79, s89, 0
	s_mul_i32 s27, s77, s27
	s_add_u32 s27, s78, s27
	s_addc_u32 s78, 0, s79
	s_add_u32 s79, s26, s27
	s_cselect_b64 s[26:27], -1, 0
	s_cmp_lg_u64 s[26:27], 0
	s_addc_u32 s77, s77, s78
	s_mul_i32 s26, s75, s77
	s_mul_hi_u32 s27, s75, s79
	s_add_i32 s26, s27, s26
	s_mul_i32 s76, s76, s79
	s_add_i32 s26, s26, s76
	s_mul_i32 s75, s75, s79
	s_mul_hi_u32 s76, s77, s75
	s_mul_i32 s78, s77, s75
	s_mul_i32 s89, s79, s26
	s_mul_hi_u32 s75, s79, s75
	s_mul_hi_u32 s88, s79, s26
	s_add_u32 s75, s75, s89
	s_addc_u32 s88, 0, s88
	s_add_u32 s75, s75, s78
	s_mul_hi_u32 s27, s77, s26
	s_addc_u32 s75, s88, s76
	s_addc_u32 s27, s27, 0
	s_mul_i32 s26, s77, s26
	s_add_u32 s26, s75, s26
	s_addc_u32 s75, 0, s27
	s_add_u32 s76, s79, s26
	s_cselect_b64 s[26:27], -1, 0
	s_cmp_lg_u64 s[26:27], 0
	s_addc_u32 s75, s77, s75
	v_addc_co_u32_e32 v5, vcc, v4, v7, vcc
	v_mad_u64_u32 v[3:4], s[26:27], v0, s75, 0
	v_mul_hi_u32 v6, v0, s76
	v_xor_b32_e32 v8, v5, v7
	v_add_co_u32_e32 v9, vcc, v6, v3
	v_addc_co_u32_e32 v10, vcc, 0, v4, vcc
	v_mad_u64_u32 v[3:4], s[26:27], v8, s76, 0
	v_mad_u64_u32 v[5:6], s[26:27], v8, s75, 0
	v_add_co_u32_e32 v3, vcc, v9, v3
	v_addc_co_u32_e32 v3, vcc, v10, v4, vcc
	v_addc_co_u32_e32 v4, vcc, 0, v6, vcc
	v_add_co_u32_e32 v5, vcc, v3, v5
	v_addc_co_u32_e32 v6, vcc, 0, v4, vcc
	v_mul_lo_u32 v9, s43, v5
	v_mul_lo_u32 v10, s42, v6
	v_mad_u64_u32 v[3:4], s[26:27], s42, v5, 0
	v_add3_u32 v4, v4, v10, v9
	v_sub_u32_e32 v9, v8, v4
	v_mov_b32_e32 v10, s43
	v_sub_co_u32_e32 v0, vcc, v0, v3
	v_subb_co_u32_e64 v3, s[26:27], v9, v10, vcc
	v_subrev_co_u32_e64 v9, s[26:27], s42, v0
	v_subbrev_co_u32_e64 v3, s[26:27], 0, v3, s[26:27]
	v_cmp_le_u32_e64 s[26:27], s43, v3
	v_cndmask_b32_e64 v10, 0, -1, s[26:27]
	v_cmp_le_u32_e64 s[26:27], s42, v9
	v_cndmask_b32_e64 v9, 0, -1, s[26:27]
	v_cmp_eq_u32_e64 s[26:27], s43, v3
	v_cndmask_b32_e64 v3, v10, v9, s[26:27]
	v_add_co_u32_e64 v9, s[26:27], 2, v5
	v_subb_co_u32_e32 v4, vcc, v8, v4, vcc
	v_addc_co_u32_e64 v10, s[26:27], 0, v6, s[26:27]
	v_cmp_le_u32_e32 vcc, s43, v4
	v_add_co_u32_e64 v11, s[26:27], 1, v5
	v_cndmask_b32_e64 v8, 0, -1, vcc
	v_cmp_le_u32_e32 vcc, s42, v0
	v_addc_co_u32_e64 v12, s[26:27], 0, v6, s[26:27]
	v_cndmask_b32_e64 v0, 0, -1, vcc
	v_cmp_eq_u32_e32 vcc, s43, v4
	v_cmp_ne_u32_e64 s[26:27], 0, v3
	v_cndmask_b32_e32 v0, v8, v0, vcc
	v_cndmask_b32_e64 v3, v12, v10, s[26:27]
	v_cmp_ne_u32_e32 vcc, 0, v0
	v_cndmask_b32_e32 v0, v6, v3, vcc
	v_cndmask_b32_e64 v3, v11, v9, s[26:27]
	v_cndmask_b32_e32 v3, v5, v3, vcc
	v_xor_b32_e32 v4, s74, v7
	v_xor_b32_e32 v3, v3, v4
	;; [unrolled: 1-line block ×3, first 2 shown]
	v_sub_co_u32_e32 v8, vcc, v3, v4
	v_subb_co_u32_e32 v9, vcc, v0, v4, vcc
                                        ; implicit-def: $vgpr0
.LBB6_50:                               ;   in Loop: Header=BB6_47 Depth=1
	s_andn2_saveexec_b64 s[26:27], s[40:41]
	s_cbranch_execz .LBB6_52
; %bb.51:                               ;   in Loop: Header=BB6_47 Depth=1
	v_cvt_f32_u32_e32 v3, s52
	s_sub_i32 s40, 0, s52
	v_mov_b32_e32 v9, v2
	v_rcp_iflag_f32_e32 v3, v3
	v_mul_f32_e32 v3, 0x4f7ffffe, v3
	v_cvt_u32_f32_e32 v3, v3
	v_mul_lo_u32 v4, s40, v3
	v_mul_hi_u32 v4, v3, v4
	v_add_u32_e32 v3, v3, v4
	v_mul_hi_u32 v3, v0, v3
	v_mul_lo_u32 v4, v3, s52
	v_add_u32_e32 v5, 1, v3
	v_sub_u32_e32 v0, v0, v4
	v_subrev_u32_e32 v4, s52, v0
	v_cmp_le_u32_e32 vcc, s52, v0
	v_cndmask_b32_e32 v0, v0, v4, vcc
	v_cndmask_b32_e32 v3, v3, v5, vcc
	v_add_u32_e32 v4, 1, v3
	v_cmp_le_u32_e32 vcc, s52, v0
	v_cndmask_b32_e32 v8, v3, v4, vcc
.LBB6_52:                               ;   in Loop: Header=BB6_47 Depth=1
	s_or_b64 exec, exec, s[26:27]
	v_add_co_u32_e32 v0, vcc, 7, v8
	v_addc_co_u32_e32 v4, vcc, 0, v9, vcc
	v_and_b32_e32 v3, -8, v0
	buffer_store_dword v3, off, s[0:3], s33 offset:160 ; 4-byte Folded Spill
	s_nop 0
	buffer_store_dword v4, off, s[0:3], s33 offset:164 ; 4-byte Folded Spill
.LBB6_53:                               ;   in Loop: Header=BB6_47 Depth=1
	s_or_b64 exec, exec, s[28:29]
	buffer_load_dword v5, off, s[0:3], s33 offset:160 ; 4-byte Folded Reload
	buffer_load_dword v6, off, s[0:3], s33 offset:164 ; 4-byte Folded Reload
	v_mov_b32_e32 v14, 0
	s_waitcnt vmcnt(0)
	v_mul_lo_u32 v3, v5, s71
	s_waitcnt vmcnt(0)
	v_mul_lo_u32 v0, v6, s70
	v_mad_u64_u32 v[8:9], s[26:27], v5, s70, 0
	v_add3_u32 v9, v9, v3, v0
	buffer_load_dword v3, off, s[0:3], s33 offset:224 ; 4-byte Folded Reload
	buffer_load_dword v4, off, s[0:3], s33 offset:228 ; 4-byte Folded Reload
	v_mov_b32_e32 v0, 0
	s_waitcnt vmcnt(0)
	v_add_co_u32_e32 v3, vcc, v42, v3
	s_waitcnt vmcnt(0)
	v_addc_co_u32_e32 v4, vcc, v43, v4, vcc
	buffer_store_dword v3, off, s[0:3], s33 offset:144 ; 4-byte Folded Spill
	s_nop 0
	buffer_store_dword v4, off, s[0:3], s33 offset:148 ; 4-byte Folded Spill
	buffer_load_dword v3, off, s[0:3], s33 offset:152 ; 4-byte Folded Reload
	s_nop 0
	buffer_load_dword v4, off, s[0:3], s33 offset:156 ; 4-byte Folded Reload
	s_waitcnt vmcnt(0)
	v_sub_co_u32_e32 v3, vcc, v3, v8
	s_waitcnt vmcnt(0)
	v_subb_co_u32_e32 v4, vcc, v4, v9, vcc
	v_cmp_lt_i64_e32 vcc, v[5:6], v[3:4]
	v_cndmask_b32_e32 v3, v3, v5, vcc
	v_max_i32_e32 v52, 0, v3
	v_add_u32_e32 v4, 31, v52
	v_lshrrev_b32_e32 v4, 1, v4
	v_and_b32_e32 v4, 0x3ffffff0, v4
	v_max_i32_e32 v12, s80, v4
	v_cmp_lt_i32_e32 vcc, 0, v3
	s_and_b64 s[26:27], s[72:73], vcc
	s_mov_b64 s[28:29], exec
	s_and_b64 s[26:27], s[28:29], s[26:27]
	buffer_store_dword v42, off, s[0:3], s33 offset:124 ; 4-byte Folded Spill
	s_nop 0
	buffer_store_dword v43, off, s[0:3], s33 offset:128 ; 4-byte Folded Spill
	s_mov_b64 exec, s[26:27]
	s_cbranch_execz .LBB6_389
; %bb.54:                               ;   in Loop: Header=BB6_47 Depth=1
	s_mov_b32 s75, 1
	s_mov_b64 s[42:43], -1
	v_mov_b32_e32 v14, 0
	v_lshlrev_b64 v[53:54], 1, v[8:9]
	s_mov_b64 s[40:41], 0
	buffer_store_dword v52, off, s[0:3], s33 offset:196 ; 4-byte Folded Spill
	buffer_store_dword v53, off, s[0:3], s33 offset:200 ; 4-byte Folded Spill
	s_nop 0
	buffer_store_dword v54, off, s[0:3], s33 offset:204 ; 4-byte Folded Spill
	s_branch .LBB6_57
.LBB6_55:                               ;   in Loop: Header=BB6_57 Depth=2
	s_or_b64 exec, exec, s[76:77]
	v_add_co_u32_e32 v48, vcc, 2, v48
	v_addc_co_u32_e32 v49, vcc, 0, v49, vcc
	flat_store_dwordx2 v[22:23], v[48:49]
.LBB6_56:                               ;   in Loop: Header=BB6_57 Depth=2
	s_or_b64 exec, exec, s[26:27]
	v_add_u32_e32 v14, v12, v14
	v_cmp_ge_i32_e32 vcc, v14, v52
	s_xor_b64 s[26:27], s[42:43], -1
	s_or_b64 s[26:27], s[26:27], vcc
	s_and_b64 s[26:27], exec, s[26:27]
	s_or_b64 s[40:41], s[26:27], s[40:41]
	s_mov_b64 s[42:43], 0
	v_mov_b32_e32 v0, s75
	s_mov_b32 s75, 2
	s_andn2_b64 exec, exec, s[40:41]
	s_cbranch_execz .LBB6_388
.LBB6_57:                               ;   Parent Loop BB6_47 Depth=1
                                        ; =>  This Loop Header: Depth=2
                                        ;       Child Loop BB6_65 Depth 3
                                        ;       Child Loop BB6_89 Depth 3
	;; [unrolled: 1-line block ×9, first 2 shown]
	s_and_saveexec_b64 s[26:27], s[4:5]
	s_cbranch_execz .LBB6_59
; %bb.58:                               ;   in Loop: Header=BB6_57 Depth=2
	s_trap 2
	ds_read_b64 v[3:4], v0
	buffer_load_dword v5, off, s[0:3], s33 offset:144 ; 4-byte Folded Reload
	buffer_load_dword v6, off, s[0:3], s33 offset:148 ; 4-byte Folded Reload
	v_ashrrev_i32_e32 v15, 31, v14
	s_waitcnt vmcnt(0)
	v_lshlrev_b64 v[5:6], 1, v[5:6]
	s_waitcnt lgkmcnt(0)
	v_add_co_u32_e32 v0, vcc, v3, v5
	v_addc_co_u32_e32 v3, vcc, v4, v6, vcc
	v_add_co_u32_e32 v0, vcc, v0, v53
	v_addc_co_u32_e32 v5, vcc, v3, v54, vcc
	v_lshlrev_b64 v[3:4], 1, v[14:15]
	v_add_co_u32_e32 v3, vcc, v0, v3
	v_addc_co_u32_e32 v4, vcc, v5, v4, vcc
	ds_write_b64 v0, v[3:4]
	v_mov_b32_e32 v3, v2
	ds_write_b64 v0, v[2:3]
.LBB6_59:                               ;   in Loop: Header=BB6_57 Depth=2
	s_or_b64 exec, exec, s[26:27]
	v_sub_u32_e32 v0, v52, v14
	v_min_i32_e32 v12, v12, v0
	v_and_b32_e32 v0, 8, v30
	v_cmp_ne_u32_e32 vcc, 0, v0
	s_and_saveexec_b64 s[76:77], vcc
	s_cbranch_execz .LBB6_81
; %bb.60:                               ;   in Loop: Header=BB6_57 Depth=2
	s_waitcnt lgkmcnt(0)
	v_add_co_u32_e32 v3, vcc, 8, v28
	v_addc_co_u32_e32 v4, vcc, 0, v29, vcc
	v_add_co_u32_e32 v8, vcc, 2, v48
	v_addc_co_u32_e32 v9, vcc, 0, v49, vcc
	v_cmp_lt_u64_e32 vcc, v[3:4], v[8:9]
	s_and_saveexec_b64 s[78:79], vcc
	s_cbranch_execz .LBB6_72
; %bb.61:                               ;   in Loop: Header=BB6_57 Depth=2
	v_and_b32_e32 v0, 64, v30
	s_mov_b32 s50, 0
	v_cmp_eq_u32_e32 vcc, 0, v0
	s_mov_b64 s[88:89], 0
                                        ; implicit-def: $sgpr90_sgpr91
                                        ; implicit-def: $sgpr92_sgpr93
                                        ; implicit-def: $sgpr94_sgpr95
	s_branch .LBB6_65
.LBB6_62:                               ;   in Loop: Header=BB6_65 Depth=3
	s_waitcnt vmcnt(0) lgkmcnt(0)
	v_add_co_u32_e64 v3, s[26:27], 8, v28
	v_addc_co_u32_e64 v4, s[26:27], 0, v29, s[26:27]
	v_cmp_ge_u64_e64 s[26:27], v[3:4], v[8:9]
	s_or_b64 s[36:37], s[36:37], exec
	s_orn2_b64 s[34:35], s[26:27], exec
.LBB6_63:                               ;   in Loop: Header=BB6_65 Depth=3
	s_or_b64 exec, exec, s[48:49]
	s_andn2_b64 s[26:27], s[94:95], exec
	s_and_b64 s[94:95], s[36:37], exec
	s_or_b64 s[94:95], s[26:27], s[94:95]
	s_andn2_b64 s[26:27], s[92:93], exec
	s_and_b64 s[92:93], s[34:35], exec
	s_or_b64 s[92:93], s[26:27], s[92:93]
.LBB6_64:                               ;   in Loop: Header=BB6_65 Depth=3
	s_or_b64 exec, exec, s[30:31]
	s_and_b64 s[26:27], exec, s[92:93]
	s_or_b64 s[88:89], s[26:27], s[88:89]
	s_andn2_b64 s[26:27], s[90:91], exec
	s_and_b64 s[90:91], s[94:95], exec
	s_or_b64 s[90:91], s[26:27], s[90:91]
	s_andn2_b64 exec, exec, s[88:89]
	s_cbranch_execz .LBB6_69
.LBB6_65:                               ;   Parent Loop BB6_47 Depth=1
                                        ;     Parent Loop BB6_57 Depth=2
                                        ; =>    This Inner Loop Header: Depth=3
	s_sleep 1
	s_waitcnt vmcnt(0) lgkmcnt(0)
	flat_load_dwordx2 v[28:29], v[22:23] glc
	s_or_b64 s[94:95], s[94:95], exec
	s_or_b64 s[92:93], s[92:93], exec
                                        ; implicit-def: $vgpr0
	s_and_saveexec_b64 s[30:31], vcc
	s_cbranch_execz .LBB6_64
; %bb.66:                               ;   in Loop: Header=BB6_65 Depth=3
	s_cmpk_lt_i32 s50, 0x270f
	s_cselect_b64 s[38:39], -1, 0
	s_cmpk_gt_i32 s50, 0x270e
	s_mov_b64 s[34:35], -1
	s_cbranch_scc0 .LBB6_68
; %bb.67:                               ;   in Loop: Header=BB6_65 Depth=3
	s_trap 2
	ds_read_b64 v[3:4], v0
	s_andn2_b64 s[38:39], s[38:39], exec
	s_mov_b32 s50, 0
	s_mov_b64 s[36:37], 0
	s_waitcnt vmcnt(0) lgkmcnt(0)
	flat_load_dword v0, v[3:4] glc
	s_waitcnt vmcnt(0) lgkmcnt(0)
	buffer_wbinvl1_vol
	v_cmp_eq_u32_e64 s[26:27], 0, v0
	s_and_b64 s[26:27], s[26:27], exec
	s_or_b64 s[38:39], s[38:39], s[26:27]
	s_and_saveexec_b64 s[48:49], s[38:39]
	s_cbranch_execz .LBB6_63
	s_branch .LBB6_62
.LBB6_68:                               ;   in Loop: Header=BB6_65 Depth=3
	s_add_i32 s50, s50, 1
	s_mov_b64 s[36:37], -1
                                        ; implicit-def: $vgpr0
	s_and_saveexec_b64 s[48:49], s[38:39]
	s_cbranch_execz .LBB6_63
	s_branch .LBB6_62
.LBB6_69:                               ;   in Loop: Header=BB6_57 Depth=2
	s_or_b64 exec, exec, s[88:89]
	s_xor_b64 s[26:27], s[90:91], -1
	s_and_saveexec_b64 s[88:89], s[26:27]
	s_xor_b64 s[26:27], exec, s[88:89]
	s_cbranch_execz .LBB6_71
; %bb.70:                               ;   in Loop: Header=BB6_57 Depth=2
	v_or_b32_e32 v30, 64, v30
	s_waitcnt lgkmcnt(0)
	ds_write_b32 v0, v0
	s_trap 2
.LBB6_71:                               ;   in Loop: Header=BB6_57 Depth=2
	s_or_b64 exec, exec, s[26:27]
.LBB6_72:                               ;   in Loop: Header=BB6_57 Depth=2
	s_or_b64 exec, exec, s[78:79]
	v_and_b32_e32 v0, 0x100, v30
	v_cmp_ne_u32_e32 vcc, 0, v0
	v_and_b32_e32 v0, 7, v48
	s_mov_b64 s[26:27], -1
	;;#ASMSTART
	s_wakeup
	;;#ASMEND
                                        ; implicit-def: $vgpr10_vgpr11
	s_and_saveexec_b64 s[78:79], vcc
	s_cbranch_execz .LBB6_76
; %bb.73:                               ;   in Loop: Header=BB6_57 Depth=2
	v_mad_u64_u32 v[18:19], s[26:27], v0, 24, v[58:59]
	v_ashrrev_i32_e32 v13, 31, v12
	v_lshlrev_b64 v[3:4], 1, v[12:13]
                                        ; implicit-def: $vgpr10_vgpr11
	flat_store_dwordx2 v[18:19], v[3:4] offset:8
	flat_load_dword v3, v[18:19]
	s_waitcnt vmcnt(0) lgkmcnt(0)
	v_cmp_ne_u32_e32 vcc, 1, v3
	v_cmp_eq_u32_e64 s[26:27], 1, v3
	s_and_saveexec_b64 s[88:89], s[26:27]
	s_cbranch_execz .LBB6_75
; %bb.74:                               ;   in Loop: Header=BB6_57 Depth=2
	flat_load_dword v3, v[18:19] offset:4 glc
	s_waitcnt vmcnt(0) lgkmcnt(0)
	v_ashrrev_i32_e32 v4, 31, v3
	v_lshrrev_b64 v[10:11], 1, v[3:4]
.LBB6_75:                               ;   in Loop: Header=BB6_57 Depth=2
	s_or_b64 exec, exec, s[88:89]
	s_orn2_b64 s[26:27], vcc, exec
.LBB6_76:                               ;   in Loop: Header=BB6_57 Depth=2
	s_or_b64 exec, exec, s[78:79]
	s_and_saveexec_b64 s[78:79], s[26:27]
	s_cbranch_execz .LBB6_78
; %bb.77:                               ;   in Loop: Header=BB6_57 Depth=2
	buffer_load_dword v3, off, s[0:3], s33 offset:76 ; 4-byte Folded Reload
	s_waitcnt vmcnt(0)
	v_mad_i64_i32 v[10:11], s[26:27], v0, v3, 0
.LBB6_78:                               ;   in Loop: Header=BB6_57 Depth=2
	s_or_b64 exec, exec, s[78:79]
	buffer_load_dword v5, off, s[0:3], s33 offset:60 ; 4-byte Folded Reload
	buffer_load_dword v6, off, s[0:3], s33 offset:64 ; 4-byte Folded Reload
	v_lshlrev_b64 v[3:4], 1, v[10:11]
	s_waitcnt vmcnt(0)
	v_add_co_u32_e32 v3, vcc, v5, v3
	v_addc_co_u32_e32 v4, vcc, v6, v4, vcc
	ds_write_b64 v0, v[3:4] offset:784
	v_and_b32_e32 v0, 0x2000, v30
	v_cmp_ne_u32_e32 vcc, 0, v0
	s_and_saveexec_b64 s[26:27], vcc
	s_cbranch_execz .LBB6_80
; %bb.79:                               ;   in Loop: Header=BB6_57 Depth=2
	ds_read_b64 v[3:4], v0 offset:872
	s_waitcnt lgkmcnt(0)
	v_add_co_u32_e32 v3, vcc, 1, v3
	v_addc_co_u32_e32 v4, vcc, 0, v4, vcc
	ds_write_b64 v0, v[3:4] offset:872
.LBB6_80:                               ;   in Loop: Header=BB6_57 Depth=2
	s_or_b64 exec, exec, s[26:27]
	v_mov_b32_e32 v49, v9
	v_mov_b32_e32 v48, v8
.LBB6_81:                               ;   in Loop: Header=BB6_57 Depth=2
	s_or_b64 exec, exec, s[76:77]
	s_and_saveexec_b64 s[26:27], s[10:11]
	s_cbranch_execz .LBB6_100
; %bb.82:                               ;   in Loop: Header=BB6_57 Depth=2
	s_and_saveexec_b64 s[76:77], s[56:57]
	s_xor_b64 s[76:77], exec, s[76:77]
	s_cbranch_execz .LBB6_97
; %bb.83:                               ;   in Loop: Header=BB6_57 Depth=2
	s_and_saveexec_b64 s[78:79], s[16:17]
	s_cbranch_execz .LBB6_96
; %bb.84:                               ;   in Loop: Header=BB6_57 Depth=2
	s_mov_b64 s[90:91], exec
	v_mbcnt_lo_u32_b32 v0, s90, 0
	v_mbcnt_hi_u32_b32 v0, s91, v0
	v_cmp_eq_u32_e32 vcc, 0, v0
	s_waitcnt vmcnt(0) lgkmcnt(0)
	buffer_wbinvl1_vol
	s_and_saveexec_b64 s[88:89], vcc
	s_cbranch_execz .LBB6_86
; %bb.85:                               ;   in Loop: Header=BB6_57 Depth=2
	s_bcnt1_i32_b64 s90, s[90:91]
	v_mov_b32_e32 v3, s90
	v_mov_b32_e32 v4, v2
	ds_add_u64 v0, v[3:4]
	s_trap 2
.LBB6_86:                               ;   in Loop: Header=BB6_57 Depth=2
	s_or_b64 exec, exec, s[88:89]
	s_trap 2
	ds_read_b64 v[3:4], v0
	s_waitcnt lgkmcnt(0)
	v_add_co_u32_e32 v32, vcc, v32, v16
	v_addc_co_u32_e32 v33, vcc, 0, v33, vcc
	v_cmp_lt_u64_e32 vcc, v[3:4], v[32:33]
	s_and_saveexec_b64 s[88:89], vcc
	s_cbranch_execz .LBB6_95
; %bb.87:                               ;   in Loop: Header=BB6_57 Depth=2
	s_mov_b32 s36, 0
	s_mov_b64 s[90:91], 0
                                        ; implicit-def: $sgpr92_sgpr93
                                        ; implicit-def: $sgpr94_sgpr95
	s_branch .LBB6_89
.LBB6_88:                               ;   in Loop: Header=BB6_89 Depth=3
	s_or_b64 exec, exec, s[34:35]
	s_and_b64 vcc, exec, vcc
	s_or_b64 s[90:91], vcc, s[90:91]
	s_andn2_b64 s[92:93], s[92:93], exec
	s_and_b64 vcc, s[94:95], exec
	s_or_b64 s[92:93], s[92:93], vcc
	s_andn2_b64 exec, exec, s[90:91]
	s_cbranch_execz .LBB6_93
.LBB6_89:                               ;   Parent Loop BB6_47 Depth=1
                                        ;     Parent Loop BB6_57 Depth=2
                                        ; =>    This Inner Loop Header: Depth=3
	s_add_i32 s36, s36, 1
	s_cmpk_lg_i32 s36, 0x2710
	s_cselect_b64 s[30:31], -1, 0
	s_and_b64 vcc, exec, s[30:31]
	s_cbranch_vccz .LBB6_91
; %bb.90:                               ;   in Loop: Header=BB6_89 Depth=3
	s_mov_b64 vcc, -1
	s_or_b64 s[94:95], s[94:95], exec
	s_and_saveexec_b64 s[34:35], s[30:31]
	s_cbranch_execz .LBB6_88
	s_branch .LBB6_92
.LBB6_91:                               ;   in Loop: Header=BB6_89 Depth=3
	s_trap 2
	ds_read_b64 v[3:4], v0
	s_andn2_b64 s[30:31], s[30:31], exec
	s_mov_b32 s36, 0
	s_waitcnt lgkmcnt(0)
	flat_load_dword v0, v[3:4] glc
	s_waitcnt vmcnt(0) lgkmcnt(0)
	buffer_wbinvl1_vol
	v_cmp_eq_u32_e32 vcc, 0, v0
	s_and_b64 vcc, vcc, exec
	s_or_b64 s[30:31], s[30:31], vcc
	s_mov_b64 vcc, -1
	s_or_b64 s[94:95], s[94:95], exec
	s_and_saveexec_b64 s[34:35], s[30:31]
	s_cbranch_execz .LBB6_88
.LBB6_92:                               ;   in Loop: Header=BB6_89 Depth=3
	s_sleep 1
	s_trap 2
	ds_read_b64 v[3:4], v0
	s_waitcnt lgkmcnt(0)
	s_andn2_b64 s[94:95], s[94:95], exec
	v_cmp_ge_u64_e32 vcc, v[3:4], v[32:33]
	s_orn2_b64 vcc, vcc, exec
	s_branch .LBB6_88
.LBB6_93:                               ;   in Loop: Header=BB6_57 Depth=2
	s_or_b64 exec, exec, s[90:91]
	s_and_saveexec_b64 s[90:91], s[92:93]
	s_xor_b64 s[90:91], exec, s[90:91]
	s_cbranch_execz .LBB6_95
; %bb.94:                               ;   in Loop: Header=BB6_57 Depth=2
	v_mov_b32_e32 v0, 1
	ds_write_b32 v0, v0
	s_trap 2
.LBB6_95:                               ;   in Loop: Header=BB6_57 Depth=2
	s_or_b64 exec, exec, s[88:89]
	;;#ASMSTART
	s_wakeup
	;;#ASMEND
.LBB6_96:                               ;   in Loop: Header=BB6_57 Depth=2
	s_or_b64 exec, exec, s[78:79]
.LBB6_97:                               ;   in Loop: Header=BB6_57 Depth=2
	s_andn2_saveexec_b64 s[76:77], s[76:77]
	s_cbranch_execz .LBB6_99
; %bb.98:                               ;   in Loop: Header=BB6_57 Depth=2
	s_waitcnt vmcnt(0) lgkmcnt(0)
	buffer_wbinvl1_vol
	s_barrier
.LBB6_99:                               ;   in Loop: Header=BB6_57 Depth=2
	s_or_b64 exec, exec, s[76:77]
.LBB6_100:                              ;   in Loop: Header=BB6_57 Depth=2
	s_or_b64 exec, exec, s[26:27]
	s_trap 2
	ds_read_b32 v0, v0
	v_and_b32_e32 v3, 0x4000, v30
	v_cmp_ne_u32_e32 vcc, 0, v3
	s_xor_b64 s[26:27], s[6:7], -1
	s_and_b64 s[76:77], s[26:27], vcc
	s_and_saveexec_b64 s[26:27], s[76:77]
	s_cbranch_execz .LBB6_119
; %bb.101:                              ;   in Loop: Header=BB6_57 Depth=2
	s_and_saveexec_b64 s[76:77], s[56:57]
	s_xor_b64 s[76:77], exec, s[76:77]
	s_cbranch_execz .LBB6_116
; %bb.102:                              ;   in Loop: Header=BB6_57 Depth=2
	s_and_saveexec_b64 s[78:79], s[16:17]
	s_cbranch_execz .LBB6_115
; %bb.103:                              ;   in Loop: Header=BB6_57 Depth=2
	s_mov_b64 s[90:91], exec
	v_mbcnt_lo_u32_b32 v3, s90, 0
	v_mbcnt_hi_u32_b32 v3, s91, v3
	v_cmp_eq_u32_e32 vcc, 0, v3
	s_waitcnt vmcnt(0) lgkmcnt(0)
	buffer_wbinvl1_vol
	s_and_saveexec_b64 s[88:89], vcc
	s_cbranch_execz .LBB6_105
; %bb.104:                              ;   in Loop: Header=BB6_57 Depth=2
	s_bcnt1_i32_b64 s90, s[90:91]
	v_mov_b32_e32 v3, s90
	v_mov_b32_e32 v4, v2
	ds_add_u64 v0, v[3:4]
	s_trap 2
.LBB6_105:                              ;   in Loop: Header=BB6_57 Depth=2
	s_or_b64 exec, exec, s[88:89]
	s_trap 2
	ds_read_b64 v[3:4], v0
	s_waitcnt lgkmcnt(0)
	v_add_co_u32_e32 v32, vcc, v32, v16
	v_addc_co_u32_e32 v33, vcc, 0, v33, vcc
	v_cmp_lt_u64_e32 vcc, v[3:4], v[32:33]
	s_and_saveexec_b64 s[88:89], vcc
	s_cbranch_execz .LBB6_114
; %bb.106:                              ;   in Loop: Header=BB6_57 Depth=2
	s_mov_b32 s36, 0
	s_mov_b64 s[90:91], 0
                                        ; implicit-def: $sgpr92_sgpr93
                                        ; implicit-def: $sgpr94_sgpr95
	s_branch .LBB6_108
.LBB6_107:                              ;   in Loop: Header=BB6_108 Depth=3
	s_or_b64 exec, exec, s[34:35]
	s_and_b64 vcc, exec, vcc
	s_or_b64 s[90:91], vcc, s[90:91]
	s_andn2_b64 s[92:93], s[92:93], exec
	s_and_b64 vcc, s[94:95], exec
	s_or_b64 s[92:93], s[92:93], vcc
	s_andn2_b64 exec, exec, s[90:91]
	s_cbranch_execz .LBB6_112
.LBB6_108:                              ;   Parent Loop BB6_47 Depth=1
                                        ;     Parent Loop BB6_57 Depth=2
                                        ; =>    This Inner Loop Header: Depth=3
	s_add_i32 s36, s36, 1
	s_cmpk_lg_i32 s36, 0x2710
	s_cselect_b64 s[30:31], -1, 0
	s_and_b64 vcc, exec, s[30:31]
	s_cbranch_vccz .LBB6_110
; %bb.109:                              ;   in Loop: Header=BB6_108 Depth=3
	s_mov_b64 vcc, -1
	s_or_b64 s[94:95], s[94:95], exec
	s_and_saveexec_b64 s[34:35], s[30:31]
	s_cbranch_execz .LBB6_107
	s_branch .LBB6_111
.LBB6_110:                              ;   in Loop: Header=BB6_108 Depth=3
	s_trap 2
	ds_read_b64 v[3:4], v0
	s_andn2_b64 s[30:31], s[30:31], exec
	s_mov_b32 s36, 0
	s_waitcnt lgkmcnt(0)
	flat_load_dword v3, v[3:4] glc
	s_waitcnt vmcnt(0) lgkmcnt(0)
	buffer_wbinvl1_vol
	v_cmp_eq_u32_e32 vcc, 0, v3
	s_and_b64 vcc, vcc, exec
	s_or_b64 s[30:31], s[30:31], vcc
	s_mov_b64 vcc, -1
	s_or_b64 s[94:95], s[94:95], exec
	s_and_saveexec_b64 s[34:35], s[30:31]
	s_cbranch_execz .LBB6_107
.LBB6_111:                              ;   in Loop: Header=BB6_108 Depth=3
	s_sleep 1
	s_trap 2
	ds_read_b64 v[3:4], v0
	s_waitcnt lgkmcnt(0)
	s_andn2_b64 s[94:95], s[94:95], exec
	v_cmp_ge_u64_e32 vcc, v[3:4], v[32:33]
	s_orn2_b64 vcc, vcc, exec
	s_branch .LBB6_107
.LBB6_112:                              ;   in Loop: Header=BB6_57 Depth=2
	s_or_b64 exec, exec, s[90:91]
	s_and_saveexec_b64 s[90:91], s[92:93]
	s_xor_b64 s[90:91], exec, s[90:91]
	s_cbranch_execz .LBB6_114
; %bb.113:                              ;   in Loop: Header=BB6_57 Depth=2
	v_mov_b32_e32 v3, 1
	ds_write_b32 v0, v3
	s_trap 2
.LBB6_114:                              ;   in Loop: Header=BB6_57 Depth=2
	s_or_b64 exec, exec, s[88:89]
	;;#ASMSTART
	s_wakeup
	;;#ASMEND
.LBB6_115:                              ;   in Loop: Header=BB6_57 Depth=2
	s_or_b64 exec, exec, s[78:79]
.LBB6_116:                              ;   in Loop: Header=BB6_57 Depth=2
	s_andn2_saveexec_b64 s[76:77], s[76:77]
	s_cbranch_execz .LBB6_118
; %bb.117:                              ;   in Loop: Header=BB6_57 Depth=2
	s_waitcnt vmcnt(0) lgkmcnt(0)
	buffer_wbinvl1_vol
	s_barrier
.LBB6_118:                              ;   in Loop: Header=BB6_57 Depth=2
	s_or_b64 exec, exec, s[76:77]
.LBB6_119:                              ;   in Loop: Header=BB6_57 Depth=2
	s_or_b64 exec, exec, s[26:27]
	s_trap 2
	s_waitcnt lgkmcnt(0)
	ds_read_b64 v[20:21], v0
	s_waitcnt lgkmcnt(0)
	v_cmp_eq_u64_e32 vcc, 0, v[20:21]
	s_cbranch_vccnz .LBB6_127
; %bb.120:                              ;   in Loop: Header=BB6_57 Depth=2
	s_trap 2
	ds_read_b64 v[24:25], v0
	s_waitcnt lgkmcnt(0)
	v_cmp_eq_u64_e32 vcc, 0, v[24:25]
	s_cbranch_vccnz .LBB6_127
; %bb.121:                              ;   in Loop: Header=BB6_57 Depth=2
	s_mov_b64 s[26:27], -1
	s_and_saveexec_b64 s[76:77], s[18:19]
	s_cbranch_execz .LBB6_123
; %bb.122:                              ;   in Loop: Header=BB6_57 Depth=2
	ds_read_b32 v3, v0 offset:720
	s_waitcnt lgkmcnt(0)
	v_and_b32_e32 v3, 15, v3
	v_cmp_eq_u32_e32 vcc, 0, v3
	s_orn2_b64 s[26:27], vcc, exec
.LBB6_123:                              ;   in Loop: Header=BB6_57 Depth=2
	s_or_b64 exec, exec, s[76:77]
	s_and_saveexec_b64 s[76:77], s[20:21]
	s_cbranch_execz .LBB6_125
; %bb.124:                              ;   in Loop: Header=BB6_57 Depth=2
	ds_read_b32 v3, v0 offset:784
	s_waitcnt lgkmcnt(0)
	v_and_b32_e32 v3, 15, v3
	v_cmp_eq_u32_e32 vcc, 0, v3
	s_and_b64 s[78:79], s[26:27], vcc
	s_andn2_b64 s[26:27], s[26:27], exec
	s_and_b64 s[78:79], s[78:79], exec
	s_or_b64 s[26:27], s[26:27], s[78:79]
.LBB6_125:                              ;   in Loop: Header=BB6_57 Depth=2
	s_or_b64 exec, exec, s[76:77]
	v_cmp_eq_u32_e32 vcc, 0, v0
	s_xor_b64 s[26:27], s[26:27], -1
	v_cndmask_b32_e32 v55, 0, v12, vcc
	v_cndmask_b32_e64 v0, 0, 1, s[26:27]
	v_lshlrev_b32_e32 v40, 1, v55
	s_mov_b64 s[78:79], -1
	v_cmp_ne_u32_e32 vcc, 0, v0
	v_mov_b32_e32 v0, 0
	s_cbranch_vccz .LBB6_133
; %bb.126:                              ;   in Loop: Header=BB6_57 Depth=2
	v_mov_b32_e32 v3, v56
	s_and_saveexec_b64 s[26:27], s[78:79]
	s_cbranch_execnz .LBB6_304
	s_branch .LBB6_348
.LBB6_127:                              ;   in Loop: Header=BB6_57 Depth=2
	s_mov_b64 s[26:27], 0
	s_and_saveexec_b64 s[76:77], s[10:11]
	s_cbranch_execnz .LBB6_349
.LBB6_128:                              ;   in Loop: Header=BB6_57 Depth=2
	s_or_b64 exec, exec, s[76:77]
                                        ; implicit-def: $vgpr0
	s_and_saveexec_b64 s[76:77], s[24:25]
	s_xor_b64 s[76:77], exec, s[76:77]
	s_cbranch_execz .LBB6_367
.LBB6_129:                              ;   in Loop: Header=BB6_57 Depth=2
	v_and_b32_e32 v3, 16, v30
	v_cmp_ne_u32_e32 vcc, 0, v3
	v_and_b32_e32 v0, 16, v30
	s_and_b64 s[78:79], vcc, s[26:27]
	s_and_saveexec_b64 s[26:27], s[78:79]
	s_cbranch_execz .LBB6_131
; %bb.130:                              ;   in Loop: Header=BB6_57 Depth=2
	v_mov_b32_e32 v0, 1
	s_waitcnt vmcnt(0) lgkmcnt(0)
	buffer_wbinvl1_vol
.LBB6_131:                              ;   in Loop: Header=BB6_57 Depth=2
	s_or_b64 exec, exec, s[26:27]
	s_andn2_saveexec_b64 s[26:27], s[76:77]
	s_cbranch_execnz .LBB6_368
.LBB6_132:                              ;   in Loop: Header=BB6_57 Depth=2
	s_or_b64 exec, exec, s[26:27]
	v_cmp_ne_u32_e32 vcc, 0, v0
	s_and_saveexec_b64 s[26:27], vcc
	s_cbranch_execz .LBB6_56
	s_branch .LBB6_386
.LBB6_133:                              ;   in Loop: Header=BB6_57 Depth=2
	v_ashrrev_i32_e32 v0, 31, v40
	v_lshrrev_b32_e32 v0, 20, v0
	v_add_u32_e32 v0, v40, v0
	v_ashrrev_i32_e32 v3, 12, v0
	buffer_load_dword v0, off, s[0:3], s33 offset:132 ; 4-byte Folded Reload
	s_waitcnt vmcnt(0)
	v_sub_u32_e32 v15, v3, v0
	v_cmp_lt_i32_e32 vcc, 0, v15
	s_and_saveexec_b64 s[26:27], vcc
	s_cbranch_execz .LBB6_265
; %bb.134:                              ;   in Loop: Header=BB6_57 Depth=2
	buffer_store_dword v3, off, s[0:3], s33 offset:192 ; 4-byte Folded Spill
	buffer_store_dword v40, off, s[0:3], s33 offset:184 ; 4-byte Folded Spill
	;; [unrolled: 1-line block ×3, first 2 shown]
	s_trap 2
	buffer_load_dword v3, off, s[0:3], s33 offset:136 ; 4-byte Folded Reload
	ds_read_b32 v0, v0
	v_mov_b32_e32 v18, v24
	v_mov_b32_e32 v45, v21
	s_mov_b64 s[76:77], 0
	v_mov_b32_e32 v19, v25
	s_waitcnt lgkmcnt(0)
	v_lshlrev_b32_e32 v58, 16, v0
	v_mov_b32_e32 v44, v20
	s_branch .LBB6_136
.LBB6_135:                              ;   in Loop: Header=BB6_136 Depth=3
	s_or_b64 exec, exec, s[78:79]
	v_lshrrev_b32_e32 v0, 16, v0
	v_and_or_b32 v5, v5, s65, v0
	v_lshrrev_b32_e32 v0, 16, v51
	v_and_or_b32 v4, v4, s65, v0
	v_lshrrev_b32_e32 v0, 16, v3
	buffer_load_dword v3, off, s[0:3], s33 offset:136 ; 4-byte Folded Reload
	v_lshrrev_b32_e32 v6, 16, v6
	v_and_or_b32 v40, v7, s65, v6
	v_lshrrev_b32_e32 v6, 16, v27
	v_and_or_b32 v42, v34, s65, v6
	;; [unrolled: 2-line block ×3, first 2 shown]
	v_and_or_b32 v6, v52, s65, v0
	v_lshrrev_b32_e32 v0, 16, v53
	v_and_or_b32 v7, v35, s65, v0
	v_lshrrev_b32_e32 v0, 16, v61
	;; [unrolled: 2-line block ×7, first 2 shown]
	v_lshrrev_b32_e32 v13, 16, v17
	v_and_or_b32 v8, v8, s65, v0
	v_lshrrev_b32_e32 v0, 16, v47
	v_and_or_b32 v41, v26, s65, v13
	v_and_or_b32 v10, v10, s65, v0
	v_lshrrev_b32_e32 v0, 16, v56
	v_and_or_b32 v11, v11, s65, v0
	v_lshlrev_b32_e32 v0, 12, v16
	v_sub_u32_e32 v15, v15, v16
	s_waitcnt vmcnt(0)
	v_add_co_u32_e32 v26, vcc, v3, v18
	v_addc_co_u32_e32 v27, vcc, 0, v19, vcc
	v_add_co_u32_e32 v44, vcc, v44, v0
	v_addc_co_u32_e32 v45, vcc, 0, v45, vcc
	v_cmp_gt_i32_e32 vcc, 1, v15
	s_or_b64 s[76:77], vcc, s[76:77]
	v_add_co_u32_e32 v18, vcc, v18, v0
	v_addc_co_u32_e32 v19, vcc, 0, v19, vcc
	global_store_dwordx4 v[26:27], v[51:54], off glc slc
	global_store_dwordx4 v[26:27], v[4:7], off offset:1024 glc slc
	global_store_dwordx4 v[26:27], v[40:43], off offset:2048 glc slc
	;; [unrolled: 1-line block ×3, first 2 shown]
	s_andn2_b64 exec, exec, s[76:77]
	s_cbranch_execz .LBB6_264
.LBB6_136:                              ;   Parent Loop BB6_47 Depth=1
                                        ;     Parent Loop BB6_57 Depth=2
                                        ; =>    This Inner Loop Header: Depth=3
	s_waitcnt vmcnt(0)
	v_add_co_u32_e32 v46, vcc, v3, v44
	v_addc_co_u32_e32 v47, vcc, 0, v45, vcc
	global_load_dwordx4 v[8:11], v[46:47], off glc slc
                                        ; implicit-def: $vgpr59
	s_waitcnt vmcnt(0)
	v_lshlrev_b32_e32 v0, 16, v8
	v_mul_f32_e32 v0, v58, v0
	v_and_b32_e32 v3, 0x7f800000, v0
	v_cmp_ne_u32_e32 vcc, s55, v3
	s_and_saveexec_b64 s[78:79], vcc
	s_xor_b64 s[78:79], exec, s[78:79]
; %bb.137:                              ;   in Loop: Header=BB6_136 Depth=3
	v_bfe_u32 v3, v0, 16, 1
	v_add3_u32 v59, v0, v3, s64
                                        ; implicit-def: $vgpr0
; %bb.138:                              ;   in Loop: Header=BB6_136 Depth=3
	s_andn2_saveexec_b64 s[78:79], s[78:79]
; %bb.139:                              ;   in Loop: Header=BB6_136 Depth=3
	v_or_b32_e32 v3, 0x10000, v0
	v_cmp_eq_u32_sdwa vcc, v0, v2 src0_sel:WORD_0 src1_sel:DWORD
	v_cndmask_b32_e32 v59, v3, v0, vcc
; %bb.140:                              ;   in Loop: Header=BB6_136 Depth=3
	s_or_b64 exec, exec, s[78:79]
	v_and_b32_e32 v0, 0xffff0000, v8
	v_mul_f32_e32 v0, v58, v0
	v_and_b32_e32 v3, 0x7f800000, v0
	v_cmp_ne_u32_e32 vcc, s55, v3
                                        ; implicit-def: $vgpr60
	s_and_saveexec_b64 s[78:79], vcc
	s_xor_b64 s[78:79], exec, s[78:79]
; %bb.141:                              ;   in Loop: Header=BB6_136 Depth=3
	v_bfe_u32 v3, v0, 16, 1
	v_add3_u32 v60, v0, v3, s64
                                        ; implicit-def: $vgpr0
; %bb.142:                              ;   in Loop: Header=BB6_136 Depth=3
	s_andn2_saveexec_b64 s[78:79], s[78:79]
; %bb.143:                              ;   in Loop: Header=BB6_136 Depth=3
	v_or_b32_e32 v3, 0x10000, v0
	v_cmp_eq_u32_sdwa vcc, v0, v2 src0_sel:WORD_0 src1_sel:DWORD
	v_cndmask_b32_e32 v60, v3, v0, vcc
; %bb.144:                              ;   in Loop: Header=BB6_136 Depth=3
	s_or_b64 exec, exec, s[78:79]
	v_lshlrev_b32_e32 v0, 16, v9
	v_mul_f32_e32 v0, v58, v0
	v_and_b32_e32 v3, 0x7f800000, v0
	v_cmp_ne_u32_e32 vcc, s55, v3
                                        ; implicit-def: $vgpr61
	s_and_saveexec_b64 s[78:79], vcc
	s_xor_b64 s[78:79], exec, s[78:79]
; %bb.145:                              ;   in Loop: Header=BB6_136 Depth=3
	v_bfe_u32 v3, v0, 16, 1
	v_add3_u32 v61, v0, v3, s64
                                        ; implicit-def: $vgpr0
; %bb.146:                              ;   in Loop: Header=BB6_136 Depth=3
	s_andn2_saveexec_b64 s[78:79], s[78:79]
; %bb.147:                              ;   in Loop: Header=BB6_136 Depth=3
	v_or_b32_e32 v3, 0x10000, v0
	v_cmp_eq_u32_sdwa vcc, v0, v2 src0_sel:WORD_0 src1_sel:DWORD
	v_cndmask_b32_e32 v61, v3, v0, vcc
; %bb.148:                              ;   in Loop: Header=BB6_136 Depth=3
	s_or_b64 exec, exec, s[78:79]
	v_and_b32_e32 v0, 0xffff0000, v9
	v_mul_f32_e32 v0, v58, v0
	v_and_b32_e32 v3, 0x7f800000, v0
	v_cmp_ne_u32_e32 vcc, s55, v3
                                        ; implicit-def: $vgpr62
	s_and_saveexec_b64 s[78:79], vcc
	s_xor_b64 s[78:79], exec, s[78:79]
; %bb.149:                              ;   in Loop: Header=BB6_136 Depth=3
	v_bfe_u32 v3, v0, 16, 1
	v_add3_u32 v62, v0, v3, s64
                                        ; implicit-def: $vgpr0
; %bb.150:                              ;   in Loop: Header=BB6_136 Depth=3
	s_andn2_saveexec_b64 s[78:79], s[78:79]
; %bb.151:                              ;   in Loop: Header=BB6_136 Depth=3
	v_or_b32_e32 v3, 0x10000, v0
	v_cmp_eq_u32_sdwa vcc, v0, v2 src0_sel:WORD_0 src1_sel:DWORD
	v_cndmask_b32_e32 v62, v3, v0, vcc
; %bb.152:                              ;   in Loop: Header=BB6_136 Depth=3
	s_or_b64 exec, exec, s[78:79]
	v_lshlrev_b32_e32 v0, 16, v10
	v_mul_f32_e32 v0, v58, v0
	v_and_b32_e32 v3, 0x7f800000, v0
	v_cmp_ne_u32_e32 vcc, s55, v3
                                        ; implicit-def: $vgpr54
	s_and_saveexec_b64 s[78:79], vcc
	s_xor_b64 s[78:79], exec, s[78:79]
; %bb.153:                              ;   in Loop: Header=BB6_136 Depth=3
	v_bfe_u32 v3, v0, 16, 1
	v_add3_u32 v54, v0, v3, s64
                                        ; implicit-def: $vgpr0
; %bb.154:                              ;   in Loop: Header=BB6_136 Depth=3
	s_andn2_saveexec_b64 s[78:79], s[78:79]
; %bb.155:                              ;   in Loop: Header=BB6_136 Depth=3
	v_or_b32_e32 v3, 0x10000, v0
	v_cmp_eq_u32_sdwa vcc, v0, v2 src0_sel:WORD_0 src1_sel:DWORD
	v_cndmask_b32_e32 v54, v3, v0, vcc
; %bb.156:                              ;   in Loop: Header=BB6_136 Depth=3
	s_or_b64 exec, exec, s[78:79]
	v_and_b32_e32 v0, 0xffff0000, v10
	v_mul_f32_e32 v0, v58, v0
	v_and_b32_e32 v3, 0x7f800000, v0
	v_cmp_ne_u32_e32 vcc, s55, v3
                                        ; implicit-def: $vgpr55
	s_and_saveexec_b64 s[78:79], vcc
	s_xor_b64 s[78:79], exec, s[78:79]
; %bb.157:                              ;   in Loop: Header=BB6_136 Depth=3
	v_bfe_u32 v3, v0, 16, 1
	v_add3_u32 v55, v0, v3, s64
                                        ; implicit-def: $vgpr0
; %bb.158:                              ;   in Loop: Header=BB6_136 Depth=3
	s_andn2_saveexec_b64 s[78:79], s[78:79]
; %bb.159:                              ;   in Loop: Header=BB6_136 Depth=3
	v_or_b32_e32 v3, 0x10000, v0
	v_cmp_eq_u32_sdwa vcc, v0, v2 src0_sel:WORD_0 src1_sel:DWORD
	v_cndmask_b32_e32 v55, v3, v0, vcc
; %bb.160:                              ;   in Loop: Header=BB6_136 Depth=3
	s_or_b64 exec, exec, s[78:79]
	v_lshlrev_b32_e32 v0, 16, v11
	v_mul_f32_e32 v0, v58, v0
	v_and_b32_e32 v3, 0x7f800000, v0
	v_cmp_ne_u32_e32 vcc, s55, v3
                                        ; implicit-def: $vgpr57
	s_and_saveexec_b64 s[78:79], vcc
	s_xor_b64 s[78:79], exec, s[78:79]
; %bb.161:                              ;   in Loop: Header=BB6_136 Depth=3
	v_bfe_u32 v3, v0, 16, 1
	v_add3_u32 v57, v0, v3, s64
                                        ; implicit-def: $vgpr0
; %bb.162:                              ;   in Loop: Header=BB6_136 Depth=3
	s_andn2_saveexec_b64 s[78:79], s[78:79]
; %bb.163:                              ;   in Loop: Header=BB6_136 Depth=3
	v_or_b32_e32 v3, 0x10000, v0
	v_cmp_eq_u32_sdwa vcc, v0, v2 src0_sel:WORD_0 src1_sel:DWORD
	v_cndmask_b32_e32 v57, v3, v0, vcc
; %bb.164:                              ;   in Loop: Header=BB6_136 Depth=3
	s_or_b64 exec, exec, s[78:79]
	v_and_b32_e32 v0, 0xffff0000, v11
	v_mul_f32_e32 v0, v58, v0
	v_and_b32_e32 v3, 0x7f800000, v0
	v_cmp_ne_u32_e32 vcc, s55, v3
                                        ; implicit-def: $vgpr50
	s_and_saveexec_b64 s[78:79], vcc
	s_xor_b64 s[78:79], exec, s[78:79]
; %bb.165:                              ;   in Loop: Header=BB6_136 Depth=3
	v_bfe_u32 v3, v0, 16, 1
	v_add3_u32 v50, v0, v3, s64
                                        ; implicit-def: $vgpr0
; %bb.166:                              ;   in Loop: Header=BB6_136 Depth=3
	s_andn2_saveexec_b64 s[78:79], s[78:79]
; %bb.167:                              ;   in Loop: Header=BB6_136 Depth=3
	v_or_b32_e32 v3, 0x10000, v0
	v_cmp_eq_u32_sdwa vcc, v0, v2 src0_sel:WORD_0 src1_sel:DWORD
	v_cndmask_b32_e32 v50, v3, v0, vcc
; %bb.168:                              ;   in Loop: Header=BB6_136 Depth=3
	s_or_b64 exec, exec, s[78:79]
	global_load_dwordx4 v[8:11], v[46:47], off offset:1024 glc slc
                                        ; implicit-def: $vgpr51
	s_waitcnt vmcnt(0)
	v_lshlrev_b32_e32 v0, 16, v8
	v_mul_f32_e32 v0, v58, v0
	v_and_b32_e32 v3, 0x7f800000, v0
	v_cmp_ne_u32_e32 vcc, s55, v3
	s_and_saveexec_b64 s[78:79], vcc
	s_xor_b64 s[78:79], exec, s[78:79]
; %bb.169:                              ;   in Loop: Header=BB6_136 Depth=3
	v_bfe_u32 v3, v0, 16, 1
	v_add3_u32 v51, v0, v3, s64
                                        ; implicit-def: $vgpr0
; %bb.170:                              ;   in Loop: Header=BB6_136 Depth=3
	s_andn2_saveexec_b64 s[78:79], s[78:79]
; %bb.171:                              ;   in Loop: Header=BB6_136 Depth=3
	v_or_b32_e32 v3, 0x10000, v0
	v_cmp_eq_u32_sdwa vcc, v0, v2 src0_sel:WORD_0 src1_sel:DWORD
	v_cndmask_b32_e32 v51, v3, v0, vcc
; %bb.172:                              ;   in Loop: Header=BB6_136 Depth=3
	s_or_b64 exec, exec, s[78:79]
	v_and_b32_e32 v0, 0xffff0000, v8
	v_mul_f32_e32 v0, v58, v0
	v_and_b32_e32 v3, 0x7f800000, v0
	v_cmp_ne_u32_e32 vcc, s55, v3
                                        ; implicit-def: $vgpr4
	s_and_saveexec_b64 s[78:79], vcc
	s_xor_b64 s[78:79], exec, s[78:79]
; %bb.173:                              ;   in Loop: Header=BB6_136 Depth=3
	v_bfe_u32 v3, v0, 16, 1
	v_add3_u32 v4, v0, v3, s64
                                        ; implicit-def: $vgpr0
; %bb.174:                              ;   in Loop: Header=BB6_136 Depth=3
	s_andn2_saveexec_b64 s[78:79], s[78:79]
; %bb.175:                              ;   in Loop: Header=BB6_136 Depth=3
	v_or_b32_e32 v3, 0x10000, v0
	v_cmp_eq_u32_sdwa vcc, v0, v2 src0_sel:WORD_0 src1_sel:DWORD
	v_cndmask_b32_e32 v4, v3, v0, vcc
; %bb.176:                              ;   in Loop: Header=BB6_136 Depth=3
	s_or_b64 exec, exec, s[78:79]
	v_lshlrev_b32_e32 v0, 16, v9
	v_mul_f32_e32 v3, v58, v0
	v_and_b32_e32 v0, 0x7f800000, v3
	v_cmp_ne_u32_e32 vcc, s55, v0
                                        ; implicit-def: $vgpr0
	s_and_saveexec_b64 s[78:79], vcc
	s_xor_b64 s[78:79], exec, s[78:79]
; %bb.177:                              ;   in Loop: Header=BB6_136 Depth=3
	v_bfe_u32 v0, v3, 16, 1
	v_add3_u32 v0, v3, v0, s64
                                        ; implicit-def: $vgpr3
; %bb.178:                              ;   in Loop: Header=BB6_136 Depth=3
	s_andn2_saveexec_b64 s[78:79], s[78:79]
; %bb.179:                              ;   in Loop: Header=BB6_136 Depth=3
	v_or_b32_e32 v0, 0x10000, v3
	v_cmp_eq_u32_sdwa vcc, v3, v2 src0_sel:WORD_0 src1_sel:DWORD
	v_cndmask_b32_e32 v0, v0, v3, vcc
; %bb.180:                              ;   in Loop: Header=BB6_136 Depth=3
	s_or_b64 exec, exec, s[78:79]
	v_and_b32_e32 v3, 0xffff0000, v9
	v_mul_f32_e32 v3, v58, v3
	v_and_b32_e32 v5, 0x7f800000, v3
	v_cmp_ne_u32_e32 vcc, s55, v5
                                        ; implicit-def: $vgpr5
	s_and_saveexec_b64 s[78:79], vcc
	s_xor_b64 s[78:79], exec, s[78:79]
; %bb.181:                              ;   in Loop: Header=BB6_136 Depth=3
	v_bfe_u32 v5, v3, 16, 1
	v_add3_u32 v5, v3, v5, s64
                                        ; implicit-def: $vgpr3
; %bb.182:                              ;   in Loop: Header=BB6_136 Depth=3
	s_andn2_saveexec_b64 s[78:79], s[78:79]
; %bb.183:                              ;   in Loop: Header=BB6_136 Depth=3
	v_or_b32_e32 v5, 0x10000, v3
	v_cmp_eq_u32_sdwa vcc, v3, v2 src0_sel:WORD_0 src1_sel:DWORD
	v_cndmask_b32_e32 v5, v5, v3, vcc
; %bb.184:                              ;   in Loop: Header=BB6_136 Depth=3
	s_or_b64 exec, exec, s[78:79]
	v_lshlrev_b32_e32 v3, 16, v10
	v_mul_f32_e32 v6, v58, v3
	v_and_b32_e32 v3, 0x7f800000, v6
	v_cmp_ne_u32_e32 vcc, s55, v3
                                        ; implicit-def: $vgpr3
	s_and_saveexec_b64 s[78:79], vcc
	s_xor_b64 s[78:79], exec, s[78:79]
; %bb.185:                              ;   in Loop: Header=BB6_136 Depth=3
	v_bfe_u32 v3, v6, 16, 1
	v_add3_u32 v3, v6, v3, s64
                                        ; implicit-def: $vgpr6
; %bb.186:                              ;   in Loop: Header=BB6_136 Depth=3
	s_andn2_saveexec_b64 s[78:79], s[78:79]
; %bb.187:                              ;   in Loop: Header=BB6_136 Depth=3
	v_or_b32_e32 v3, 0x10000, v6
	v_cmp_eq_u32_sdwa vcc, v6, v2 src0_sel:WORD_0 src1_sel:DWORD
	v_cndmask_b32_e32 v3, v3, v6, vcc
; %bb.188:                              ;   in Loop: Header=BB6_136 Depth=3
	s_or_b64 exec, exec, s[78:79]
	v_and_b32_e32 v6, 0xffff0000, v10
	v_mul_f32_e32 v6, v58, v6
	v_and_b32_e32 v7, 0x7f800000, v6
	v_cmp_ne_u32_e32 vcc, s55, v7
                                        ; implicit-def: $vgpr52
	s_and_saveexec_b64 s[78:79], vcc
	s_xor_b64 s[78:79], exec, s[78:79]
; %bb.189:                              ;   in Loop: Header=BB6_136 Depth=3
	v_bfe_u32 v7, v6, 16, 1
	v_add3_u32 v52, v6, v7, s64
                                        ; implicit-def: $vgpr6
; %bb.190:                              ;   in Loop: Header=BB6_136 Depth=3
	s_andn2_saveexec_b64 s[78:79], s[78:79]
; %bb.191:                              ;   in Loop: Header=BB6_136 Depth=3
	v_or_b32_e32 v7, 0x10000, v6
	v_cmp_eq_u32_sdwa vcc, v6, v2 src0_sel:WORD_0 src1_sel:DWORD
	v_cndmask_b32_e32 v52, v7, v6, vcc
; %bb.192:                              ;   in Loop: Header=BB6_136 Depth=3
	s_or_b64 exec, exec, s[78:79]
	v_lshlrev_b32_e32 v6, 16, v11
	v_mul_f32_e32 v6, v58, v6
	v_and_b32_e32 v7, 0x7f800000, v6
	v_cmp_ne_u32_e32 vcc, s55, v7
                                        ; implicit-def: $vgpr53
	s_and_saveexec_b64 s[78:79], vcc
	s_xor_b64 s[78:79], exec, s[78:79]
; %bb.193:                              ;   in Loop: Header=BB6_136 Depth=3
	v_bfe_u32 v7, v6, 16, 1
	v_add3_u32 v53, v6, v7, s64
                                        ; implicit-def: $vgpr6
; %bb.194:                              ;   in Loop: Header=BB6_136 Depth=3
	s_andn2_saveexec_b64 s[78:79], s[78:79]
; %bb.195:                              ;   in Loop: Header=BB6_136 Depth=3
	v_or_b32_e32 v7, 0x10000, v6
	v_cmp_eq_u32_sdwa vcc, v6, v2 src0_sel:WORD_0 src1_sel:DWORD
	v_cndmask_b32_e32 v53, v7, v6, vcc
; %bb.196:                              ;   in Loop: Header=BB6_136 Depth=3
	s_or_b64 exec, exec, s[78:79]
	v_and_b32_e32 v6, 0xffff0000, v11
	v_mul_f32_e32 v6, v58, v6
	v_and_b32_e32 v7, 0x7f800000, v6
	v_cmp_ne_u32_e32 vcc, s55, v7
                                        ; implicit-def: $vgpr35
	s_and_saveexec_b64 s[78:79], vcc
	s_xor_b64 s[78:79], exec, s[78:79]
; %bb.197:                              ;   in Loop: Header=BB6_136 Depth=3
	v_bfe_u32 v7, v6, 16, 1
	v_add3_u32 v35, v6, v7, s64
                                        ; implicit-def: $vgpr6
; %bb.198:                              ;   in Loop: Header=BB6_136 Depth=3
	s_andn2_saveexec_b64 s[78:79], s[78:79]
; %bb.199:                              ;   in Loop: Header=BB6_136 Depth=3
	v_or_b32_e32 v7, 0x10000, v6
	v_cmp_eq_u32_sdwa vcc, v6, v2 src0_sel:WORD_0 src1_sel:DWORD
	v_cndmask_b32_e32 v35, v7, v6, vcc
; %bb.200:                              ;   in Loop: Header=BB6_136 Depth=3
	s_or_b64 exec, exec, s[78:79]
	global_load_dwordx4 v[8:11], v[46:47], off offset:2048 glc slc
	s_waitcnt vmcnt(0)
	v_lshlrev_b32_e32 v6, 16, v8
	v_mul_f32_e32 v7, v58, v6
	v_and_b32_e32 v6, 0x7f800000, v7
	v_cmp_ne_u32_e32 vcc, s55, v6
                                        ; implicit-def: $vgpr6
	s_and_saveexec_b64 s[78:79], vcc
	s_xor_b64 s[78:79], exec, s[78:79]
; %bb.201:                              ;   in Loop: Header=BB6_136 Depth=3
	v_bfe_u32 v6, v7, 16, 1
	v_add3_u32 v6, v7, v6, s64
                                        ; implicit-def: $vgpr7
; %bb.202:                              ;   in Loop: Header=BB6_136 Depth=3
	s_andn2_saveexec_b64 s[78:79], s[78:79]
; %bb.203:                              ;   in Loop: Header=BB6_136 Depth=3
	v_or_b32_e32 v6, 0x10000, v7
	v_cmp_eq_u32_sdwa vcc, v7, v2 src0_sel:WORD_0 src1_sel:DWORD
	v_cndmask_b32_e32 v6, v6, v7, vcc
; %bb.204:                              ;   in Loop: Header=BB6_136 Depth=3
	s_or_b64 exec, exec, s[78:79]
	v_and_b32_e32 v7, 0xffff0000, v8
	v_mul_f32_e32 v8, v58, v7
	v_and_b32_e32 v7, 0x7f800000, v8
	v_cmp_ne_u32_e32 vcc, s55, v7
                                        ; implicit-def: $vgpr7
	s_and_saveexec_b64 s[78:79], vcc
	s_xor_b64 s[78:79], exec, s[78:79]
; %bb.205:                              ;   in Loop: Header=BB6_136 Depth=3
	v_bfe_u32 v7, v8, 16, 1
	v_add3_u32 v7, v8, v7, s64
                                        ; implicit-def: $vgpr8
; %bb.206:                              ;   in Loop: Header=BB6_136 Depth=3
	s_andn2_saveexec_b64 s[78:79], s[78:79]
; %bb.207:                              ;   in Loop: Header=BB6_136 Depth=3
	v_or_b32_e32 v7, 0x10000, v8
	v_cmp_eq_u32_sdwa vcc, v8, v2 src0_sel:WORD_0 src1_sel:DWORD
	v_cndmask_b32_e32 v7, v7, v8, vcc
; %bb.208:                              ;   in Loop: Header=BB6_136 Depth=3
	s_or_b64 exec, exec, s[78:79]
	v_lshlrev_b32_e32 v8, 16, v9
	v_mul_f32_e32 v8, v58, v8
	v_and_b32_e32 v13, 0x7f800000, v8
	v_cmp_ne_u32_e32 vcc, s55, v13
                                        ; implicit-def: $vgpr17
	s_and_saveexec_b64 s[78:79], vcc
	s_xor_b64 s[78:79], exec, s[78:79]
; %bb.209:                              ;   in Loop: Header=BB6_136 Depth=3
	v_bfe_u32 v13, v8, 16, 1
	v_add3_u32 v17, v8, v13, s64
                                        ; implicit-def: $vgpr8
; %bb.210:                              ;   in Loop: Header=BB6_136 Depth=3
	s_andn2_saveexec_b64 s[78:79], s[78:79]
; %bb.211:                              ;   in Loop: Header=BB6_136 Depth=3
	v_or_b32_e32 v13, 0x10000, v8
	v_cmp_eq_u32_sdwa vcc, v8, v2 src0_sel:WORD_0 src1_sel:DWORD
	v_cndmask_b32_e32 v17, v13, v8, vcc
; %bb.212:                              ;   in Loop: Header=BB6_136 Depth=3
	s_or_b64 exec, exec, s[78:79]
	v_and_b32_e32 v8, 0xffff0000, v9
	v_mul_f32_e32 v8, v58, v8
	v_and_b32_e32 v9, 0x7f800000, v8
	v_cmp_ne_u32_e32 vcc, s55, v9
                                        ; implicit-def: $vgpr26
	s_and_saveexec_b64 s[78:79], vcc
	s_xor_b64 s[78:79], exec, s[78:79]
; %bb.213:                              ;   in Loop: Header=BB6_136 Depth=3
	v_bfe_u32 v9, v8, 16, 1
	v_add3_u32 v26, v8, v9, s64
                                        ; implicit-def: $vgpr8
; %bb.214:                              ;   in Loop: Header=BB6_136 Depth=3
	s_andn2_saveexec_b64 s[78:79], s[78:79]
; %bb.215:                              ;   in Loop: Header=BB6_136 Depth=3
	v_or_b32_e32 v9, 0x10000, v8
	v_cmp_eq_u32_sdwa vcc, v8, v2 src0_sel:WORD_0 src1_sel:DWORD
	v_cndmask_b32_e32 v26, v9, v8, vcc
; %bb.216:                              ;   in Loop: Header=BB6_136 Depth=3
	s_or_b64 exec, exec, s[78:79]
	v_lshlrev_b32_e32 v8, 16, v10
	v_mul_f32_e32 v8, v58, v8
	v_and_b32_e32 v9, 0x7f800000, v8
	v_cmp_ne_u32_e32 vcc, s55, v9
                                        ; implicit-def: $vgpr27
	s_and_saveexec_b64 s[78:79], vcc
	s_xor_b64 s[78:79], exec, s[78:79]
; %bb.217:                              ;   in Loop: Header=BB6_136 Depth=3
	v_bfe_u32 v9, v8, 16, 1
	v_add3_u32 v27, v8, v9, s64
                                        ; implicit-def: $vgpr8
; %bb.218:                              ;   in Loop: Header=BB6_136 Depth=3
	s_andn2_saveexec_b64 s[78:79], s[78:79]
; %bb.219:                              ;   in Loop: Header=BB6_136 Depth=3
	v_or_b32_e32 v9, 0x10000, v8
	v_cmp_eq_u32_sdwa vcc, v8, v2 src0_sel:WORD_0 src1_sel:DWORD
	v_cndmask_b32_e32 v27, v9, v8, vcc
; %bb.220:                              ;   in Loop: Header=BB6_136 Depth=3
	s_or_b64 exec, exec, s[78:79]
	v_and_b32_e32 v8, 0xffff0000, v10
	v_mul_f32_e32 v8, v58, v8
	v_and_b32_e32 v9, 0x7f800000, v8
	v_cmp_ne_u32_e32 vcc, s55, v9
                                        ; implicit-def: $vgpr34
	s_and_saveexec_b64 s[78:79], vcc
	s_xor_b64 s[78:79], exec, s[78:79]
; %bb.221:                              ;   in Loop: Header=BB6_136 Depth=3
	v_bfe_u32 v9, v8, 16, 1
	v_add3_u32 v34, v8, v9, s64
                                        ; implicit-def: $vgpr8
; %bb.222:                              ;   in Loop: Header=BB6_136 Depth=3
	s_andn2_saveexec_b64 s[78:79], s[78:79]
; %bb.223:                              ;   in Loop: Header=BB6_136 Depth=3
	v_or_b32_e32 v9, 0x10000, v8
	v_cmp_eq_u32_sdwa vcc, v8, v2 src0_sel:WORD_0 src1_sel:DWORD
	v_cndmask_b32_e32 v34, v9, v8, vcc
; %bb.224:                              ;   in Loop: Header=BB6_136 Depth=3
	s_or_b64 exec, exec, s[78:79]
	v_lshlrev_b32_e32 v8, 16, v11
	v_mul_f32_e32 v8, v58, v8
	v_and_b32_e32 v9, 0x7f800000, v8
	v_cmp_ne_u32_e32 vcc, s55, v9
                                        ; implicit-def: $vgpr37
	s_and_saveexec_b64 s[78:79], vcc
	s_xor_b64 s[78:79], exec, s[78:79]
; %bb.225:                              ;   in Loop: Header=BB6_136 Depth=3
	v_bfe_u32 v9, v8, 16, 1
	v_add3_u32 v37, v8, v9, s64
                                        ; implicit-def: $vgpr8
; %bb.226:                              ;   in Loop: Header=BB6_136 Depth=3
	s_andn2_saveexec_b64 s[78:79], s[78:79]
; %bb.227:                              ;   in Loop: Header=BB6_136 Depth=3
	v_or_b32_e32 v9, 0x10000, v8
	v_cmp_eq_u32_sdwa vcc, v8, v2 src0_sel:WORD_0 src1_sel:DWORD
	v_cndmask_b32_e32 v37, v9, v8, vcc
; %bb.228:                              ;   in Loop: Header=BB6_136 Depth=3
	s_or_b64 exec, exec, s[78:79]
	v_and_b32_e32 v8, 0xffff0000, v11
	v_mul_f32_e32 v8, v58, v8
	v_and_b32_e32 v9, 0x7f800000, v8
	v_cmp_ne_u32_e32 vcc, s55, v9
                                        ; implicit-def: $vgpr38
	s_and_saveexec_b64 s[78:79], vcc
	s_xor_b64 s[78:79], exec, s[78:79]
; %bb.229:                              ;   in Loop: Header=BB6_136 Depth=3
	v_bfe_u32 v9, v8, 16, 1
	v_add3_u32 v38, v8, v9, s64
                                        ; implicit-def: $vgpr8
; %bb.230:                              ;   in Loop: Header=BB6_136 Depth=3
	s_andn2_saveexec_b64 s[78:79], s[78:79]
; %bb.231:                              ;   in Loop: Header=BB6_136 Depth=3
	v_or_b32_e32 v9, 0x10000, v8
	v_cmp_eq_u32_sdwa vcc, v8, v2 src0_sel:WORD_0 src1_sel:DWORD
	v_cndmask_b32_e32 v38, v9, v8, vcc
; %bb.232:                              ;   in Loop: Header=BB6_136 Depth=3
	s_or_b64 exec, exec, s[78:79]
	global_load_dwordx4 v[8:11], v[46:47], off offset:3072 glc slc
                                        ; implicit-def: $vgpr39
	s_waitcnt vmcnt(0)
	v_lshlrev_b32_e32 v13, 16, v8
	v_mul_f32_e32 v46, v58, v13
	v_and_b32_e32 v13, 0x7f800000, v46
	v_cmp_ne_u32_e32 vcc, s55, v13
	s_and_saveexec_b64 s[78:79], vcc
	s_xor_b64 s[78:79], exec, s[78:79]
; %bb.233:                              ;   in Loop: Header=BB6_136 Depth=3
	v_bfe_u32 v13, v46, 16, 1
	v_add3_u32 v39, v46, v13, s64
                                        ; implicit-def: $vgpr46
; %bb.234:                              ;   in Loop: Header=BB6_136 Depth=3
	s_andn2_saveexec_b64 s[78:79], s[78:79]
; %bb.235:                              ;   in Loop: Header=BB6_136 Depth=3
	v_or_b32_e32 v13, 0x10000, v46
	v_cmp_eq_u32_sdwa vcc, v46, v2 src0_sel:WORD_0 src1_sel:DWORD
	v_cndmask_b32_e32 v39, v13, v46, vcc
; %bb.236:                              ;   in Loop: Header=BB6_136 Depth=3
	s_or_b64 exec, exec, s[78:79]
	v_and_b32_e32 v8, 0xffff0000, v8
	v_mul_f32_e32 v46, v58, v8
	v_and_b32_e32 v8, 0x7f800000, v46
	v_cmp_ne_u32_e32 vcc, s55, v8
                                        ; implicit-def: $vgpr8
	s_and_saveexec_b64 s[78:79], vcc
	s_xor_b64 s[78:79], exec, s[78:79]
; %bb.237:                              ;   in Loop: Header=BB6_136 Depth=3
	v_bfe_u32 v8, v46, 16, 1
	v_add3_u32 v8, v46, v8, s64
                                        ; implicit-def: $vgpr46
; %bb.238:                              ;   in Loop: Header=BB6_136 Depth=3
	s_andn2_saveexec_b64 s[78:79], s[78:79]
; %bb.239:                              ;   in Loop: Header=BB6_136 Depth=3
	v_or_b32_e32 v8, 0x10000, v46
	v_cmp_eq_u32_sdwa vcc, v46, v2 src0_sel:WORD_0 src1_sel:DWORD
	v_cndmask_b32_e32 v8, v8, v46, vcc
; %bb.240:                              ;   in Loop: Header=BB6_136 Depth=3
	s_or_b64 exec, exec, s[78:79]
	v_lshlrev_b32_e32 v13, 16, v9
	v_mul_f32_e32 v47, v58, v13
	v_and_b32_e32 v13, 0x7f800000, v47
	v_cmp_ne_u32_e32 vcc, s55, v13
                                        ; implicit-def: $vgpr46
	s_and_saveexec_b64 s[78:79], vcc
	s_xor_b64 s[78:79], exec, s[78:79]
; %bb.241:                              ;   in Loop: Header=BB6_136 Depth=3
	v_bfe_u32 v13, v47, 16, 1
	v_add3_u32 v46, v47, v13, s64
                                        ; implicit-def: $vgpr47
; %bb.242:                              ;   in Loop: Header=BB6_136 Depth=3
	s_andn2_saveexec_b64 s[78:79], s[78:79]
; %bb.243:                              ;   in Loop: Header=BB6_136 Depth=3
	v_or_b32_e32 v13, 0x10000, v47
	v_cmp_eq_u32_sdwa vcc, v47, v2 src0_sel:WORD_0 src1_sel:DWORD
	v_cndmask_b32_e32 v46, v13, v47, vcc
; %bb.244:                              ;   in Loop: Header=BB6_136 Depth=3
	s_or_b64 exec, exec, s[78:79]
	v_and_b32_e32 v9, 0xffff0000, v9
	v_mul_f32_e32 v47, v58, v9
	v_and_b32_e32 v9, 0x7f800000, v47
	v_cmp_ne_u32_e32 vcc, s55, v9
                                        ; implicit-def: $vgpr9
	s_and_saveexec_b64 s[78:79], vcc
	s_xor_b64 s[78:79], exec, s[78:79]
; %bb.245:                              ;   in Loop: Header=BB6_136 Depth=3
	v_bfe_u32 v9, v47, 16, 1
	v_add3_u32 v9, v47, v9, s64
                                        ; implicit-def: $vgpr47
; %bb.246:                              ;   in Loop: Header=BB6_136 Depth=3
	s_andn2_saveexec_b64 s[78:79], s[78:79]
; %bb.247:                              ;   in Loop: Header=BB6_136 Depth=3
	v_or_b32_e32 v9, 0x10000, v47
	v_cmp_eq_u32_sdwa vcc, v47, v2 src0_sel:WORD_0 src1_sel:DWORD
	v_cndmask_b32_e32 v9, v9, v47, vcc
; %bb.248:                              ;   in Loop: Header=BB6_136 Depth=3
	s_or_b64 exec, exec, s[78:79]
	v_lshlrev_b32_e32 v13, 16, v10
	v_mul_f32_e32 v56, v58, v13
	v_and_b32_e32 v13, 0x7f800000, v56
	v_cmp_ne_u32_e32 vcc, s55, v13
                                        ; implicit-def: $vgpr47
	s_and_saveexec_b64 s[78:79], vcc
	s_xor_b64 s[78:79], exec, s[78:79]
; %bb.249:                              ;   in Loop: Header=BB6_136 Depth=3
	v_bfe_u32 v13, v56, 16, 1
	v_add3_u32 v47, v56, v13, s64
                                        ; implicit-def: $vgpr56
; %bb.250:                              ;   in Loop: Header=BB6_136 Depth=3
	s_andn2_saveexec_b64 s[78:79], s[78:79]
; %bb.251:                              ;   in Loop: Header=BB6_136 Depth=3
	v_or_b32_e32 v13, 0x10000, v56
	v_cmp_eq_u32_sdwa vcc, v56, v2 src0_sel:WORD_0 src1_sel:DWORD
	v_cndmask_b32_e32 v47, v13, v56, vcc
; %bb.252:                              ;   in Loop: Header=BB6_136 Depth=3
	s_or_b64 exec, exec, s[78:79]
	v_and_b32_e32 v10, 0xffff0000, v10
	v_mul_f32_e32 v56, v58, v10
	v_and_b32_e32 v10, 0x7f800000, v56
	v_cmp_ne_u32_e32 vcc, s55, v10
                                        ; implicit-def: $vgpr10
	s_and_saveexec_b64 s[78:79], vcc
	s_xor_b64 s[78:79], exec, s[78:79]
; %bb.253:                              ;   in Loop: Header=BB6_136 Depth=3
	v_bfe_u32 v10, v56, 16, 1
	v_add3_u32 v10, v56, v10, s64
                                        ; implicit-def: $vgpr56
; %bb.254:                              ;   in Loop: Header=BB6_136 Depth=3
	s_andn2_saveexec_b64 s[78:79], s[78:79]
; %bb.255:                              ;   in Loop: Header=BB6_136 Depth=3
	v_or_b32_e32 v10, 0x10000, v56
	v_cmp_eq_u32_sdwa vcc, v56, v2 src0_sel:WORD_0 src1_sel:DWORD
	v_cndmask_b32_e32 v10, v10, v56, vcc
; %bb.256:                              ;   in Loop: Header=BB6_136 Depth=3
	s_or_b64 exec, exec, s[78:79]
	v_lshlrev_b32_e32 v13, 16, v11
	v_mul_f32_e32 v13, v58, v13
	v_and_b32_e32 v40, 0x7f800000, v13
	v_cmp_ne_u32_e32 vcc, s55, v40
                                        ; implicit-def: $vgpr56
	s_and_saveexec_b64 s[78:79], vcc
	s_xor_b64 s[78:79], exec, s[78:79]
; %bb.257:                              ;   in Loop: Header=BB6_136 Depth=3
	v_bfe_u32 v40, v13, 16, 1
	v_add3_u32 v56, v13, v40, s64
                                        ; implicit-def: $vgpr13
; %bb.258:                              ;   in Loop: Header=BB6_136 Depth=3
	s_andn2_saveexec_b64 s[78:79], s[78:79]
; %bb.259:                              ;   in Loop: Header=BB6_136 Depth=3
	v_or_b32_e32 v40, 0x10000, v13
	v_cmp_eq_u32_sdwa vcc, v13, v2 src0_sel:WORD_0 src1_sel:DWORD
	v_cndmask_b32_e32 v56, v40, v13, vcc
; %bb.260:                              ;   in Loop: Header=BB6_136 Depth=3
	s_or_b64 exec, exec, s[78:79]
	v_and_b32_e32 v11, 0xffff0000, v11
	v_mul_f32_e32 v13, v58, v11
	v_and_b32_e32 v11, 0x7f800000, v13
	v_cmp_ne_u32_e32 vcc, s55, v11
                                        ; implicit-def: $vgpr11
	s_and_saveexec_b64 s[78:79], vcc
	s_xor_b64 s[78:79], exec, s[78:79]
; %bb.261:                              ;   in Loop: Header=BB6_136 Depth=3
	v_bfe_u32 v11, v13, 16, 1
	v_add3_u32 v11, v13, v11, s64
                                        ; implicit-def: $vgpr13
; %bb.262:                              ;   in Loop: Header=BB6_136 Depth=3
	s_andn2_saveexec_b64 s[78:79], s[78:79]
	s_cbranch_execz .LBB6_135
; %bb.263:                              ;   in Loop: Header=BB6_136 Depth=3
	v_or_b32_e32 v11, 0x10000, v13
	v_cmp_eq_u32_sdwa vcc, v13, v2 src0_sel:WORD_0 src1_sel:DWORD
	v_cndmask_b32_e32 v11, v11, v13, vcc
	s_branch .LBB6_135
.LBB6_264:                              ;   in Loop: Header=BB6_57 Depth=2
	s_or_b64 exec, exec, s[76:77]
	buffer_load_dword v56, off, s[0:3], s33 offset:172 ; 4-byte Folded Reload
	buffer_load_dword v58, off, s[0:3], s33 offset:96 ; 4-byte Folded Reload
	;; [unrolled: 1-line block ×13, first 2 shown]
.LBB6_265:                              ;   in Loop: Header=BB6_57 Depth=2
	s_or_b64 exec, exec, s[26:27]
	s_waitcnt vmcnt(0)
	v_lshlrev_b32_e32 v4, 12, v3
	v_cmp_ne_u32_e32 vcc, v40, v4
	s_mov_b64 s[78:79], 0
	v_mov_b32_e32 v0, 0
                                        ; implicit-def: $vgpr3
	s_and_saveexec_b64 s[76:77], vcc
	s_cbranch_execz .LBB6_303
; %bb.266:                              ;   in Loop: Header=BB6_57 Depth=2
	buffer_load_dword v3, off, s[0:3], s33 offset:140 ; 4-byte Folded Reload
	v_lshlrev_b32_e32 v0, 6, v15
	v_sub_u32_e32 v5, v40, v4
	s_waitcnt vmcnt(0)
	v_sub_u32_e32 v0, v3, v0
	v_ashrrev_i32_e32 v3, 31, v0
	v_lshrrev_b32_e32 v3, 26, v3
	v_add_u32_e32 v3, v0, v3
	v_ashrrev_i32_e32 v6, 6, v3
	v_and_b32_e32 v3, 0xffffffc0, v3
	v_sub_u32_e32 v3, v0, v3
	v_lshlrev_b32_e32 v0, 4, v3
	v_lshl_add_u32 v8, v6, 10, v0
	v_ashrrev_i32_e32 v0, 31, v5
	v_lshrrev_b32_e32 v0, 22, v0
	v_add_u32_e32 v0, v5, v0
	v_ashrrev_i32_e32 v9, 10, v0
	v_and_b32_e32 v0, 0xfffffc00, v0
	v_sub_u32_e32 v7, v5, v8
	v_sub_u32_e32 v5, v5, v0
	v_cmp_lt_i32_e32 vcc, 15, v5
	v_addc_co_u32_e64 v9, s[26:27], 0, v9, vcc
	v_sub_u32_e32 v6, v9, v6
	v_cmp_lt_i32_e64 s[26:27], 15, v7
	s_and_saveexec_b64 s[78:79], s[26:27]
	s_cbranch_execz .LBB6_302
; %bb.267:                              ;   in Loop: Header=BB6_57 Depth=2
	s_trap 2
	ds_read_b32 v9, v0
	v_add_u32_e32 v15, v8, v4
	v_ashrrev_i32_e32 v17, 31, v15
	s_mov_b64 s[88:89], 0
	s_waitcnt lgkmcnt(0)
	v_lshlrev_b32_e32 v18, 16, v9
	s_branch .LBB6_269
.LBB6_268:                              ;   in Loop: Header=BB6_269 Depth=3
	s_or_b64 exec, exec, s[90:91]
	v_add_co_u32_e64 v37, s[26:27], v24, v15
	v_lshrrev_b32_e32 v13, 16, v26
	v_addc_co_u32_e64 v38, s[26:27], v25, v17, s[26:27]
	v_and_or_b32 v9, v9, s65, v13
	v_lshrrev_b32_e32 v13, 16, v19
	v_sub_u32_e32 v7, v7, v31
	v_and_or_b32 v8, v8, s65, v13
	v_lshrrev_b32_e32 v13, 16, v27
	v_cmp_gt_i32_e64 s[26:27], 16, v7
	v_and_or_b32 v10, v10, s65, v13
	v_lshrrev_b32_e32 v13, 16, v34
	s_or_b64 s[88:89], s[26:27], s[88:89]
	v_add_co_u32_e64 v15, s[26:27], v15, v31
	v_and_or_b32 v11, v11, s65, v13
	v_sub_u32_e32 v6, v6, v16
	v_addc_co_u32_e64 v17, s[26:27], 0, v17, s[26:27]
	global_store_dwordx4 v[37:38], v[8:11], off glc slc
	s_andn2_b64 exec, exec, s[88:89]
	s_cbranch_execz .LBB6_301
.LBB6_269:                              ;   Parent Loop BB6_47 Depth=1
                                        ;     Parent Loop BB6_57 Depth=2
                                        ; =>    This Inner Loop Header: Depth=3
	v_add_co_u32_e64 v8, s[26:27], v20, v15
	v_addc_co_u32_e64 v9, s[26:27], v21, v17, s[26:27]
	global_load_dwordx4 v[8:11], v[8:9], off glc slc
	s_waitcnt vmcnt(0)
	v_lshlrev_b32_e32 v13, 16, v8
	v_mul_f32_e32 v13, v18, v13
	v_and_b32_e32 v19, 0x7f800000, v13
	v_cmp_ne_u32_e64 s[26:27], s55, v19
                                        ; implicit-def: $vgpr19
	s_and_saveexec_b64 s[90:91], s[26:27]
	s_xor_b64 s[26:27], exec, s[90:91]
; %bb.270:                              ;   in Loop: Header=BB6_269 Depth=3
	v_bfe_u32 v19, v13, 16, 1
	v_add3_u32 v19, v13, v19, s64
                                        ; implicit-def: $vgpr13
; %bb.271:                              ;   in Loop: Header=BB6_269 Depth=3
	s_andn2_saveexec_b64 s[90:91], s[26:27]
; %bb.272:                              ;   in Loop: Header=BB6_269 Depth=3
	v_or_b32_e32 v19, 0x10000, v13
	v_cmp_eq_u32_sdwa s[26:27], v13, v2 src0_sel:WORD_0 src1_sel:DWORD
	v_cndmask_b32_e64 v19, v19, v13, s[26:27]
; %bb.273:                              ;   in Loop: Header=BB6_269 Depth=3
	s_or_b64 exec, exec, s[90:91]
	v_and_b32_e32 v8, 0xffff0000, v8
	v_mul_f32_e32 v13, v18, v8
	v_and_b32_e32 v8, 0x7f800000, v13
	v_cmp_ne_u32_e64 s[26:27], s55, v8
                                        ; implicit-def: $vgpr8
	s_and_saveexec_b64 s[90:91], s[26:27]
	s_xor_b64 s[26:27], exec, s[90:91]
; %bb.274:                              ;   in Loop: Header=BB6_269 Depth=3
	v_bfe_u32 v8, v13, 16, 1
	v_add3_u32 v8, v13, v8, s64
                                        ; implicit-def: $vgpr13
; %bb.275:                              ;   in Loop: Header=BB6_269 Depth=3
	s_andn2_saveexec_b64 s[90:91], s[26:27]
; %bb.276:                              ;   in Loop: Header=BB6_269 Depth=3
	v_or_b32_e32 v8, 0x10000, v13
	v_cmp_eq_u32_sdwa s[26:27], v13, v2 src0_sel:WORD_0 src1_sel:DWORD
	v_cndmask_b32_e64 v8, v8, v13, s[26:27]
; %bb.277:                              ;   in Loop: Header=BB6_269 Depth=3
	s_or_b64 exec, exec, s[90:91]
	v_lshlrev_b32_e32 v13, 16, v9
	v_mul_f32_e32 v13, v18, v13
	v_and_b32_e32 v26, 0x7f800000, v13
	v_cmp_ne_u32_e64 s[26:27], s55, v26
                                        ; implicit-def: $vgpr26
	s_and_saveexec_b64 s[90:91], s[26:27]
	s_xor_b64 s[26:27], exec, s[90:91]
; %bb.278:                              ;   in Loop: Header=BB6_269 Depth=3
	v_bfe_u32 v26, v13, 16, 1
	v_add3_u32 v26, v13, v26, s64
                                        ; implicit-def: $vgpr13
; %bb.279:                              ;   in Loop: Header=BB6_269 Depth=3
	s_andn2_saveexec_b64 s[90:91], s[26:27]
; %bb.280:                              ;   in Loop: Header=BB6_269 Depth=3
	v_or_b32_e32 v26, 0x10000, v13
	v_cmp_eq_u32_sdwa s[26:27], v13, v2 src0_sel:WORD_0 src1_sel:DWORD
	v_cndmask_b32_e64 v26, v26, v13, s[26:27]
; %bb.281:                              ;   in Loop: Header=BB6_269 Depth=3
	s_or_b64 exec, exec, s[90:91]
	v_and_b32_e32 v9, 0xffff0000, v9
	v_mul_f32_e32 v13, v18, v9
	v_and_b32_e32 v9, 0x7f800000, v13
	v_cmp_ne_u32_e64 s[26:27], s55, v9
                                        ; implicit-def: $vgpr9
	s_and_saveexec_b64 s[90:91], s[26:27]
	s_xor_b64 s[26:27], exec, s[90:91]
; %bb.282:                              ;   in Loop: Header=BB6_269 Depth=3
	v_bfe_u32 v9, v13, 16, 1
	v_add3_u32 v9, v13, v9, s64
                                        ; implicit-def: $vgpr13
; %bb.283:                              ;   in Loop: Header=BB6_269 Depth=3
	s_andn2_saveexec_b64 s[90:91], s[26:27]
; %bb.284:                              ;   in Loop: Header=BB6_269 Depth=3
	v_or_b32_e32 v9, 0x10000, v13
	v_cmp_eq_u32_sdwa s[26:27], v13, v2 src0_sel:WORD_0 src1_sel:DWORD
	v_cndmask_b32_e64 v9, v9, v13, s[26:27]
; %bb.285:                              ;   in Loop: Header=BB6_269 Depth=3
	s_or_b64 exec, exec, s[90:91]
	v_lshlrev_b32_e32 v13, 16, v10
	v_mul_f32_e32 v13, v18, v13
	v_and_b32_e32 v27, 0x7f800000, v13
	v_cmp_ne_u32_e64 s[26:27], s55, v27
                                        ; implicit-def: $vgpr27
	s_and_saveexec_b64 s[90:91], s[26:27]
	s_xor_b64 s[26:27], exec, s[90:91]
; %bb.286:                              ;   in Loop: Header=BB6_269 Depth=3
	v_bfe_u32 v27, v13, 16, 1
	v_add3_u32 v27, v13, v27, s64
                                        ; implicit-def: $vgpr13
; %bb.287:                              ;   in Loop: Header=BB6_269 Depth=3
	s_andn2_saveexec_b64 s[90:91], s[26:27]
; %bb.288:                              ;   in Loop: Header=BB6_269 Depth=3
	v_or_b32_e32 v27, 0x10000, v13
	v_cmp_eq_u32_sdwa s[26:27], v13, v2 src0_sel:WORD_0 src1_sel:DWORD
	v_cndmask_b32_e64 v27, v27, v13, s[26:27]
; %bb.289:                              ;   in Loop: Header=BB6_269 Depth=3
	s_or_b64 exec, exec, s[90:91]
	v_and_b32_e32 v10, 0xffff0000, v10
	v_mul_f32_e32 v13, v18, v10
	v_and_b32_e32 v10, 0x7f800000, v13
	v_cmp_ne_u32_e64 s[26:27], s55, v10
                                        ; implicit-def: $vgpr10
	s_and_saveexec_b64 s[90:91], s[26:27]
	s_xor_b64 s[26:27], exec, s[90:91]
; %bb.290:                              ;   in Loop: Header=BB6_269 Depth=3
	v_bfe_u32 v10, v13, 16, 1
	v_add3_u32 v10, v13, v10, s64
                                        ; implicit-def: $vgpr13
; %bb.291:                              ;   in Loop: Header=BB6_269 Depth=3
	s_andn2_saveexec_b64 s[90:91], s[26:27]
; %bb.292:                              ;   in Loop: Header=BB6_269 Depth=3
	v_or_b32_e32 v10, 0x10000, v13
	v_cmp_eq_u32_sdwa s[26:27], v13, v2 src0_sel:WORD_0 src1_sel:DWORD
	v_cndmask_b32_e64 v10, v10, v13, s[26:27]
; %bb.293:                              ;   in Loop: Header=BB6_269 Depth=3
	s_or_b64 exec, exec, s[90:91]
	v_lshlrev_b32_e32 v13, 16, v11
	v_mul_f32_e32 v13, v18, v13
	v_and_b32_e32 v34, 0x7f800000, v13
	v_cmp_ne_u32_e64 s[26:27], s55, v34
                                        ; implicit-def: $vgpr34
	s_and_saveexec_b64 s[90:91], s[26:27]
	s_xor_b64 s[26:27], exec, s[90:91]
; %bb.294:                              ;   in Loop: Header=BB6_269 Depth=3
	v_bfe_u32 v34, v13, 16, 1
	v_add3_u32 v34, v13, v34, s64
                                        ; implicit-def: $vgpr13
; %bb.295:                              ;   in Loop: Header=BB6_269 Depth=3
	s_andn2_saveexec_b64 s[90:91], s[26:27]
; %bb.296:                              ;   in Loop: Header=BB6_269 Depth=3
	v_or_b32_e32 v34, 0x10000, v13
	v_cmp_eq_u32_sdwa s[26:27], v13, v2 src0_sel:WORD_0 src1_sel:DWORD
	v_cndmask_b32_e64 v34, v34, v13, s[26:27]
; %bb.297:                              ;   in Loop: Header=BB6_269 Depth=3
	s_or_b64 exec, exec, s[90:91]
	v_and_b32_e32 v11, 0xffff0000, v11
	v_mul_f32_e32 v13, v18, v11
	v_and_b32_e32 v11, 0x7f800000, v13
	v_cmp_ne_u32_e64 s[26:27], s55, v11
                                        ; implicit-def: $vgpr11
	s_and_saveexec_b64 s[90:91], s[26:27]
	s_xor_b64 s[26:27], exec, s[90:91]
; %bb.298:                              ;   in Loop: Header=BB6_269 Depth=3
	v_bfe_u32 v11, v13, 16, 1
	v_add3_u32 v11, v13, v11, s64
                                        ; implicit-def: $vgpr13
; %bb.299:                              ;   in Loop: Header=BB6_269 Depth=3
	s_andn2_saveexec_b64 s[90:91], s[26:27]
	s_cbranch_execz .LBB6_268
; %bb.300:                              ;   in Loop: Header=BB6_269 Depth=3
	v_or_b32_e32 v11, 0x10000, v13
	v_cmp_eq_u32_sdwa s[26:27], v13, v2 src0_sel:WORD_0 src1_sel:DWORD
	v_cndmask_b32_e64 v11, v11, v13, s[26:27]
	s_branch .LBB6_268
.LBB6_301:                              ;   in Loop: Header=BB6_57 Depth=2
	s_or_b64 exec, exec, s[88:89]
.LBB6_302:                              ;   in Loop: Header=BB6_57 Depth=2
	s_or_b64 exec, exec, s[78:79]
	v_and_b32_e32 v7, 14, v40
	v_sub_u32_e32 v8, v5, v7
	v_cndmask_b32_e32 v8, 0, v8, vcc
	v_cndmask_b32_e32 v40, v5, v7, vcc
	v_cmp_lt_i32_e32 vcc, 0, v6
	v_add3_u32 v0, v0, v4, v8
	v_cndmask_b32_e32 v4, 0, v16, vcc
	v_sub_u32_e32 v4, v4, v6
	v_cmp_ne_u32_e32 vcc, 0, v40
	v_lshl_add_u32 v3, v4, 6, v3
	s_and_b64 s[78:79], vcc, exec
.LBB6_303:                              ;   in Loop: Header=BB6_57 Depth=2
	s_or_b64 exec, exec, s[76:77]
	s_and_saveexec_b64 s[26:27], s[78:79]
	s_cbranch_execz .LBB6_348
.LBB6_304:                              ;   in Loop: Header=BB6_57 Depth=2
	v_ashrrev_i32_e32 v4, 31, v3
	v_ashrrev_i32_e32 v5, 31, v40
	v_lshrrev_b32_e32 v4, 26, v4
	v_lshrrev_b32_e32 v5, 22, v5
	v_add_u32_e32 v7, v3, v4
	v_add_u32_e32 v5, v40, v5
	v_ashrrev_i32_e32 v4, 6, v7
	v_ashrrev_i32_e32 v6, 10, v5
	v_sub_u32_e32 v5, v6, v4
	v_cmp_lt_i32_e32 vcc, 0, v5
	s_and_saveexec_b64 s[76:77], vcc
	s_cbranch_execz .LBB6_340
; %bb.305:                              ;   in Loop: Header=BB6_57 Depth=2
	s_trap 2
	ds_read_b32 v8, v0
	v_and_b32_e32 v7, 0x7fffffc0, v7
	v_sub_u32_e32 v7, v3, v7
	v_lshlrev_b32_e32 v7, 1, v7
	v_lshlrev_b32_e32 v9, 10, v4
	v_add3_u32 v7, v7, v0, v9
	s_waitcnt lgkmcnt(0)
	v_lshlrev_b32_e32 v17, 16, v8
	v_mov_b32_e32 v8, v24
	v_mov_b32_e32 v10, v20
	v_ashrrev_i32_e32 v15, 31, v7
	s_mov_b64 s[78:79], 0
	v_mov_b32_e32 v9, v25
	v_mov_b32_e32 v11, v21
	s_branch .LBB6_307
.LBB6_306:                              ;   in Loop: Header=BB6_307 Depth=3
	s_or_b64 exec, exec, s[88:89]
	v_add_co_u32_e32 v50, vcc, v7, v8
	v_addc_co_u32_e32 v51, vcc, v15, v9, vcc
	v_add_co_u32_e32 v10, vcc, v10, v31
	v_sub_u32_e32 v5, v5, v16
	v_addc_co_u32_e32 v11, vcc, 0, v11, vcc
	v_cmp_gt_i32_e32 vcc, 1, v5
	s_or_b64 s[78:79], vcc, s[78:79]
	v_add_co_u32_e32 v8, vcc, v8, v31
	v_addc_co_u32_e32 v9, vcc, 0, v9, vcc
	flat_store_short_d16_hi v[50:51], v26 glc slc
	flat_store_short_d16_hi v[50:51], v27 offset:128 glc slc
	flat_store_short_d16_hi v[50:51], v34 offset:256 glc slc
	;; [unrolled: 1-line block ×7, first 2 shown]
	s_andn2_b64 exec, exec, s[78:79]
	s_cbranch_execz .LBB6_339
.LBB6_307:                              ;   Parent Loop BB6_47 Depth=1
                                        ;     Parent Loop BB6_57 Depth=2
                                        ; =>    This Inner Loop Header: Depth=3
	v_add_co_u32_e32 v18, vcc, v7, v10
	v_addc_co_u32_e32 v19, vcc, v15, v11, vcc
	flat_load_ushort v13, v[18:19] glc slc
	s_waitcnt vmcnt(0) lgkmcnt(0)
	v_lshlrev_b32_e32 v13, 16, v13
	v_mul_f32_e32 v13, v17, v13
	v_and_b32_e32 v26, 0x7f800000, v13
	v_cmp_ne_u32_e32 vcc, s55, v26
                                        ; implicit-def: $vgpr26
	s_and_saveexec_b64 s[88:89], vcc
	s_xor_b64 s[88:89], exec, s[88:89]
; %bb.308:                              ;   in Loop: Header=BB6_307 Depth=3
	v_bfe_u32 v26, v13, 16, 1
	v_add3_u32 v26, v13, v26, s64
                                        ; implicit-def: $vgpr13
; %bb.309:                              ;   in Loop: Header=BB6_307 Depth=3
	s_andn2_saveexec_b64 s[88:89], s[88:89]
; %bb.310:                              ;   in Loop: Header=BB6_307 Depth=3
	v_or_b32_e32 v26, 0x10000, v13
	v_cmp_eq_u32_sdwa vcc, v13, v2 src0_sel:WORD_0 src1_sel:DWORD
	v_cndmask_b32_e32 v26, v26, v13, vcc
; %bb.311:                              ;   in Loop: Header=BB6_307 Depth=3
	s_or_b64 exec, exec, s[88:89]
	flat_load_ushort v13, v[18:19] offset:128 glc slc
	s_waitcnt vmcnt(0) lgkmcnt(0)
	v_lshlrev_b32_e32 v13, 16, v13
	v_mul_f32_e32 v13, v17, v13
	v_and_b32_e32 v27, 0x7f800000, v13
	v_cmp_ne_u32_e32 vcc, s55, v27
                                        ; implicit-def: $vgpr27
	s_and_saveexec_b64 s[88:89], vcc
	s_xor_b64 s[88:89], exec, s[88:89]
; %bb.312:                              ;   in Loop: Header=BB6_307 Depth=3
	v_bfe_u32 v27, v13, 16, 1
	v_add3_u32 v27, v13, v27, s64
                                        ; implicit-def: $vgpr13
; %bb.313:                              ;   in Loop: Header=BB6_307 Depth=3
	s_andn2_saveexec_b64 s[88:89], s[88:89]
; %bb.314:                              ;   in Loop: Header=BB6_307 Depth=3
	v_or_b32_e32 v27, 0x10000, v13
	v_cmp_eq_u32_sdwa vcc, v13, v2 src0_sel:WORD_0 src1_sel:DWORD
	v_cndmask_b32_e32 v27, v27, v13, vcc
; %bb.315:                              ;   in Loop: Header=BB6_307 Depth=3
	s_or_b64 exec, exec, s[88:89]
	flat_load_ushort v13, v[18:19] offset:256 glc slc
	s_waitcnt vmcnt(0) lgkmcnt(0)
	v_lshlrev_b32_e32 v13, 16, v13
	v_mul_f32_e32 v13, v17, v13
	v_and_b32_e32 v34, 0x7f800000, v13
	v_cmp_ne_u32_e32 vcc, s55, v34
                                        ; implicit-def: $vgpr34
	s_and_saveexec_b64 s[88:89], vcc
	s_xor_b64 s[88:89], exec, s[88:89]
; %bb.316:                              ;   in Loop: Header=BB6_307 Depth=3
	v_bfe_u32 v34, v13, 16, 1
	v_add3_u32 v34, v13, v34, s64
                                        ; implicit-def: $vgpr13
; %bb.317:                              ;   in Loop: Header=BB6_307 Depth=3
	s_andn2_saveexec_b64 s[88:89], s[88:89]
; %bb.318:                              ;   in Loop: Header=BB6_307 Depth=3
	v_or_b32_e32 v34, 0x10000, v13
	v_cmp_eq_u32_sdwa vcc, v13, v2 src0_sel:WORD_0 src1_sel:DWORD
	v_cndmask_b32_e32 v34, v34, v13, vcc
; %bb.319:                              ;   in Loop: Header=BB6_307 Depth=3
	s_or_b64 exec, exec, s[88:89]
	flat_load_ushort v13, v[18:19] offset:384 glc slc
	s_waitcnt vmcnt(0) lgkmcnt(0)
	v_lshlrev_b32_e32 v13, 16, v13
	v_mul_f32_e32 v13, v17, v13
	v_and_b32_e32 v35, 0x7f800000, v13
	v_cmp_ne_u32_e32 vcc, s55, v35
                                        ; implicit-def: $vgpr35
	s_and_saveexec_b64 s[88:89], vcc
	s_xor_b64 s[88:89], exec, s[88:89]
; %bb.320:                              ;   in Loop: Header=BB6_307 Depth=3
	v_bfe_u32 v35, v13, 16, 1
	v_add3_u32 v35, v13, v35, s64
                                        ; implicit-def: $vgpr13
; %bb.321:                              ;   in Loop: Header=BB6_307 Depth=3
	s_andn2_saveexec_b64 s[88:89], s[88:89]
; %bb.322:                              ;   in Loop: Header=BB6_307 Depth=3
	v_or_b32_e32 v35, 0x10000, v13
	v_cmp_eq_u32_sdwa vcc, v13, v2 src0_sel:WORD_0 src1_sel:DWORD
	v_cndmask_b32_e32 v35, v35, v13, vcc
; %bb.323:                              ;   in Loop: Header=BB6_307 Depth=3
	s_or_b64 exec, exec, s[88:89]
	flat_load_ushort v13, v[18:19] offset:512 glc slc
	s_waitcnt vmcnt(0) lgkmcnt(0)
	v_lshlrev_b32_e32 v13, 16, v13
	v_mul_f32_e32 v13, v17, v13
	v_and_b32_e32 v37, 0x7f800000, v13
	v_cmp_ne_u32_e32 vcc, s55, v37
                                        ; implicit-def: $vgpr37
	s_and_saveexec_b64 s[88:89], vcc
	s_xor_b64 s[88:89], exec, s[88:89]
; %bb.324:                              ;   in Loop: Header=BB6_307 Depth=3
	v_bfe_u32 v37, v13, 16, 1
	v_add3_u32 v37, v13, v37, s64
                                        ; implicit-def: $vgpr13
; %bb.325:                              ;   in Loop: Header=BB6_307 Depth=3
	s_andn2_saveexec_b64 s[88:89], s[88:89]
; %bb.326:                              ;   in Loop: Header=BB6_307 Depth=3
	v_or_b32_e32 v37, 0x10000, v13
	v_cmp_eq_u32_sdwa vcc, v13, v2 src0_sel:WORD_0 src1_sel:DWORD
	v_cndmask_b32_e32 v37, v37, v13, vcc
; %bb.327:                              ;   in Loop: Header=BB6_307 Depth=3
	s_or_b64 exec, exec, s[88:89]
	flat_load_ushort v13, v[18:19] offset:640 glc slc
	s_waitcnt vmcnt(0) lgkmcnt(0)
	v_lshlrev_b32_e32 v13, 16, v13
	v_mul_f32_e32 v13, v17, v13
	v_and_b32_e32 v38, 0x7f800000, v13
	v_cmp_ne_u32_e32 vcc, s55, v38
                                        ; implicit-def: $vgpr38
	s_and_saveexec_b64 s[88:89], vcc
	s_xor_b64 s[88:89], exec, s[88:89]
; %bb.328:                              ;   in Loop: Header=BB6_307 Depth=3
	v_bfe_u32 v38, v13, 16, 1
	v_add3_u32 v38, v13, v38, s64
                                        ; implicit-def: $vgpr13
; %bb.329:                              ;   in Loop: Header=BB6_307 Depth=3
	s_andn2_saveexec_b64 s[88:89], s[88:89]
; %bb.330:                              ;   in Loop: Header=BB6_307 Depth=3
	v_or_b32_e32 v38, 0x10000, v13
	v_cmp_eq_u32_sdwa vcc, v13, v2 src0_sel:WORD_0 src1_sel:DWORD
	v_cndmask_b32_e32 v38, v38, v13, vcc
; %bb.331:                              ;   in Loop: Header=BB6_307 Depth=3
	s_or_b64 exec, exec, s[88:89]
	flat_load_ushort v13, v[18:19] offset:768 glc slc
	s_waitcnt vmcnt(0) lgkmcnt(0)
	v_lshlrev_b32_e32 v13, 16, v13
	v_mul_f32_e32 v13, v17, v13
	v_and_b32_e32 v39, 0x7f800000, v13
	v_cmp_ne_u32_e32 vcc, s55, v39
                                        ; implicit-def: $vgpr39
	s_and_saveexec_b64 s[88:89], vcc
	s_xor_b64 s[88:89], exec, s[88:89]
; %bb.332:                              ;   in Loop: Header=BB6_307 Depth=3
	v_bfe_u32 v39, v13, 16, 1
	v_add3_u32 v39, v13, v39, s64
                                        ; implicit-def: $vgpr13
; %bb.333:                              ;   in Loop: Header=BB6_307 Depth=3
	s_andn2_saveexec_b64 s[88:89], s[88:89]
; %bb.334:                              ;   in Loop: Header=BB6_307 Depth=3
	v_or_b32_e32 v39, 0x10000, v13
	v_cmp_eq_u32_sdwa vcc, v13, v2 src0_sel:WORD_0 src1_sel:DWORD
	v_cndmask_b32_e32 v39, v39, v13, vcc
; %bb.335:                              ;   in Loop: Header=BB6_307 Depth=3
	s_or_b64 exec, exec, s[88:89]
	flat_load_ushort v13, v[18:19] offset:896 glc slc
	s_waitcnt vmcnt(0) lgkmcnt(0)
	v_lshlrev_b32_e32 v13, 16, v13
	v_mul_f32_e32 v13, v17, v13
	v_and_b32_e32 v18, 0x7f800000, v13
	v_cmp_ne_u32_e32 vcc, s55, v18
                                        ; implicit-def: $vgpr18
	s_and_saveexec_b64 s[88:89], vcc
	s_xor_b64 s[88:89], exec, s[88:89]
; %bb.336:                              ;   in Loop: Header=BB6_307 Depth=3
	v_bfe_u32 v18, v13, 16, 1
	v_add3_u32 v18, v13, v18, s64
                                        ; implicit-def: $vgpr13
; %bb.337:                              ;   in Loop: Header=BB6_307 Depth=3
	s_andn2_saveexec_b64 s[88:89], s[88:89]
	s_cbranch_execz .LBB6_306
; %bb.338:                              ;   in Loop: Header=BB6_307 Depth=3
	v_or_b32_e32 v18, 0x10000, v13
	v_cmp_eq_u32_sdwa vcc, v13, v2 src0_sel:WORD_0 src1_sel:DWORD
	v_cndmask_b32_e32 v18, v18, v13, vcc
	s_branch .LBB6_306
.LBB6_339:                              ;   in Loop: Header=BB6_57 Depth=2
	s_or_b64 exec, exec, s[78:79]
.LBB6_340:                              ;   in Loop: Header=BB6_57 Depth=2
	s_or_b64 exec, exec, s[76:77]
	v_lshlrev_b32_e32 v6, 10, v6
	v_cmp_ne_u32_e32 vcc, v40, v6
	s_and_b64 exec, exec, vcc
	s_cbranch_execz .LBB6_348
; %bb.341:                              ;   in Loop: Header=BB6_57 Depth=2
	v_lshlrev_b32_e32 v4, 6, v4
	v_sub_u32_e32 v3, v3, v4
	v_lshlrev_b32_e32 v4, 6, v5
	v_sub_u32_e32 v3, v3, v4
	v_ashrrev_i32_e32 v4, 31, v3
	v_lshrrev_b32_e32 v4, 26, v4
	v_add_u32_e32 v4, v3, v4
	v_and_b32_e32 v5, 0x7fffffc0, v4
	v_sub_u32_e32 v3, v3, v5
	v_lshlrev_b32_e32 v4, 1, v4
	v_and_b32_e32 v4, 0xffffff80, v4
	v_lshlrev_b32_e32 v3, 1, v3
	v_add3_u32 v4, v4, v3, v6
	v_sub_u32_e32 v3, v40, v4
	v_cmp_lt_i32_e32 vcc, 1, v3
	s_and_b64 exec, exec, vcc
	s_cbranch_execz .LBB6_348
; %bb.342:                              ;   in Loop: Header=BB6_57 Depth=2
	s_trap 2
	ds_read_b32 v5, v0
	v_add_u32_e32 v0, v4, v0
	v_ashrrev_i32_e32 v4, 31, v0
	s_mov_b64 s[76:77], 0
	s_waitcnt lgkmcnt(0)
	v_lshlrev_b32_e32 v5, 16, v5
	s_branch .LBB6_344
.LBB6_343:                              ;   in Loop: Header=BB6_344 Depth=3
	s_or_b64 exec, exec, s[78:79]
	v_add_co_u32_e32 v7, vcc, v24, v0
	v_addc_co_u32_e32 v8, vcc, v25, v4, vcc
	v_sub_u32_e32 v3, v3, v1
	v_cmp_gt_i32_e32 vcc, 2, v3
	s_or_b64 s[76:77], vcc, s[76:77]
	v_add_co_u32_e32 v0, vcc, v0, v1
	v_addc_co_u32_e32 v4, vcc, 0, v4, vcc
	flat_store_short_d16_hi v[7:8], v6 glc slc
	s_andn2_b64 exec, exec, s[76:77]
	s_cbranch_execz .LBB6_348
.LBB6_344:                              ;   Parent Loop BB6_47 Depth=1
                                        ;     Parent Loop BB6_57 Depth=2
                                        ; =>    This Inner Loop Header: Depth=3
	v_add_co_u32_e32 v6, vcc, v20, v0
	v_addc_co_u32_e32 v7, vcc, v21, v4, vcc
	flat_load_ushort v6, v[6:7] glc slc
	s_waitcnt vmcnt(0) lgkmcnt(0)
	v_lshlrev_b32_e32 v6, 16, v6
	v_mul_f32_e32 v7, v5, v6
	v_and_b32_e32 v6, 0x7f800000, v7
	v_cmp_ne_u32_e32 vcc, s55, v6
                                        ; implicit-def: $vgpr6
	s_and_saveexec_b64 s[78:79], vcc
	s_xor_b64 s[78:79], exec, s[78:79]
; %bb.345:                              ;   in Loop: Header=BB6_344 Depth=3
	v_bfe_u32 v6, v7, 16, 1
	v_add3_u32 v6, v7, v6, s64
                                        ; implicit-def: $vgpr7
; %bb.346:                              ;   in Loop: Header=BB6_344 Depth=3
	s_andn2_saveexec_b64 s[78:79], s[78:79]
	s_cbranch_execz .LBB6_343
; %bb.347:                              ;   in Loop: Header=BB6_344 Depth=3
	v_or_b32_e32 v6, 0x10000, v7
	v_cmp_eq_u32_sdwa vcc, v7, v2 src0_sel:WORD_0 src1_sel:DWORD
	v_cndmask_b32_e32 v6, v6, v7, vcc
	s_branch .LBB6_343
.LBB6_348:                              ;   in Loop: Header=BB6_57 Depth=2
	s_or_b64 exec, exec, s[26:27]
	v_cmp_lt_i32_e64 s[26:27], 0, v55
	s_and_saveexec_b64 s[76:77], s[10:11]
	s_cbranch_execz .LBB6_128
.LBB6_349:                              ;   in Loop: Header=BB6_57 Depth=2
	s_and_saveexec_b64 s[78:79], s[56:57]
	s_xor_b64 s[78:79], exec, s[78:79]
	s_cbranch_execz .LBB6_364
; %bb.350:                              ;   in Loop: Header=BB6_57 Depth=2
	s_and_saveexec_b64 s[88:89], s[16:17]
	s_cbranch_execz .LBB6_363
; %bb.351:                              ;   in Loop: Header=BB6_57 Depth=2
	s_mov_b64 s[92:93], exec
	v_mbcnt_lo_u32_b32 v0, s92, 0
	v_mbcnt_hi_u32_b32 v0, s93, v0
	v_cmp_eq_u32_e32 vcc, 0, v0
	s_waitcnt vmcnt(0) lgkmcnt(0)
	buffer_wbinvl1_vol
	s_and_saveexec_b64 s[90:91], vcc
	s_cbranch_execz .LBB6_353
; %bb.352:                              ;   in Loop: Header=BB6_57 Depth=2
	s_bcnt1_i32_b64 s92, s[92:93]
	v_mov_b32_e32 v3, s92
	v_mov_b32_e32 v4, v2
	ds_add_u64 v0, v[3:4]
	s_trap 2
.LBB6_353:                              ;   in Loop: Header=BB6_57 Depth=2
	s_or_b64 exec, exec, s[90:91]
	s_trap 2
	ds_read_b64 v[3:4], v0
	s_waitcnt lgkmcnt(0)
	v_add_co_u32_e32 v32, vcc, v32, v16
	v_addc_co_u32_e32 v33, vcc, 0, v33, vcc
	v_cmp_lt_u64_e32 vcc, v[3:4], v[32:33]
	s_and_saveexec_b64 s[90:91], vcc
	s_cbranch_execz .LBB6_362
; %bb.354:                              ;   in Loop: Header=BB6_57 Depth=2
	s_mov_b32 s38, 0
	s_mov_b64 s[92:93], 0
                                        ; implicit-def: $sgpr94_sgpr95
                                        ; implicit-def: $sgpr30_sgpr31
	s_branch .LBB6_356
.LBB6_355:                              ;   in Loop: Header=BB6_356 Depth=3
	s_or_b64 exec, exec, s[36:37]
	s_and_b64 vcc, exec, vcc
	s_or_b64 s[92:93], vcc, s[92:93]
	s_andn2_b64 s[94:95], s[94:95], exec
	s_and_b64 vcc, s[30:31], exec
	s_or_b64 s[94:95], s[94:95], vcc
	s_andn2_b64 exec, exec, s[92:93]
	s_cbranch_execz .LBB6_360
.LBB6_356:                              ;   Parent Loop BB6_47 Depth=1
                                        ;     Parent Loop BB6_57 Depth=2
                                        ; =>    This Inner Loop Header: Depth=3
	s_add_i32 s38, s38, 1
	s_cmpk_lg_i32 s38, 0x2710
	s_cselect_b64 s[34:35], -1, 0
	s_and_b64 vcc, exec, s[34:35]
	s_cbranch_vccz .LBB6_358
; %bb.357:                              ;   in Loop: Header=BB6_356 Depth=3
	s_mov_b64 vcc, -1
	s_or_b64 s[30:31], s[30:31], exec
	s_and_saveexec_b64 s[36:37], s[34:35]
	s_cbranch_execz .LBB6_355
	s_branch .LBB6_359
.LBB6_358:                              ;   in Loop: Header=BB6_356 Depth=3
	s_trap 2
	ds_read_b64 v[3:4], v0
	s_andn2_b64 s[34:35], s[34:35], exec
	s_mov_b32 s38, 0
	s_waitcnt lgkmcnt(0)
	flat_load_dword v0, v[3:4] glc
	s_waitcnt vmcnt(0) lgkmcnt(0)
	buffer_wbinvl1_vol
	v_cmp_eq_u32_e32 vcc, 0, v0
	s_and_b64 vcc, vcc, exec
	s_or_b64 s[34:35], s[34:35], vcc
	s_mov_b64 vcc, -1
	s_or_b64 s[30:31], s[30:31], exec
	s_and_saveexec_b64 s[36:37], s[34:35]
	s_cbranch_execz .LBB6_355
.LBB6_359:                              ;   in Loop: Header=BB6_356 Depth=3
	s_sleep 1
	s_trap 2
	ds_read_b64 v[3:4], v0
	s_waitcnt lgkmcnt(0)
	s_andn2_b64 s[30:31], s[30:31], exec
	v_cmp_ge_u64_e32 vcc, v[3:4], v[32:33]
	s_orn2_b64 vcc, vcc, exec
	s_branch .LBB6_355
.LBB6_360:                              ;   in Loop: Header=BB6_57 Depth=2
	s_or_b64 exec, exec, s[92:93]
	s_and_saveexec_b64 s[92:93], s[94:95]
	s_xor_b64 s[92:93], exec, s[92:93]
	s_cbranch_execz .LBB6_362
; %bb.361:                              ;   in Loop: Header=BB6_57 Depth=2
	v_mov_b32_e32 v0, 1
	ds_write_b32 v0, v0
	s_trap 2
.LBB6_362:                              ;   in Loop: Header=BB6_57 Depth=2
	s_or_b64 exec, exec, s[90:91]
	;;#ASMSTART
	s_wakeup
	;;#ASMEND
.LBB6_363:                              ;   in Loop: Header=BB6_57 Depth=2
	s_or_b64 exec, exec, s[88:89]
.LBB6_364:                              ;   in Loop: Header=BB6_57 Depth=2
	s_andn2_saveexec_b64 s[78:79], s[78:79]
	s_cbranch_execz .LBB6_366
; %bb.365:                              ;   in Loop: Header=BB6_57 Depth=2
	s_waitcnt vmcnt(0) lgkmcnt(0)
	buffer_wbinvl1_vol
	s_barrier
.LBB6_366:                              ;   in Loop: Header=BB6_57 Depth=2
	s_or_b64 exec, exec, s[78:79]
	s_or_b64 exec, exec, s[76:77]
                                        ; implicit-def: $vgpr0
	s_and_saveexec_b64 s[76:77], s[24:25]
	s_xor_b64 s[76:77], exec, s[76:77]
	s_cbranch_execnz .LBB6_129
.LBB6_367:                              ;   in Loop: Header=BB6_57 Depth=2
	s_andn2_saveexec_b64 s[26:27], s[76:77]
	s_cbranch_execz .LBB6_132
.LBB6_368:                              ;   in Loop: Header=BB6_57 Depth=2
	s_and_saveexec_b64 s[76:77], s[56:57]
	s_xor_b64 s[76:77], exec, s[76:77]
	s_cbranch_execz .LBB6_383
; %bb.369:                              ;   in Loop: Header=BB6_57 Depth=2
	s_and_saveexec_b64 s[78:79], s[16:17]
	s_cbranch_execz .LBB6_382
; %bb.370:                              ;   in Loop: Header=BB6_57 Depth=2
	s_mov_b64 s[90:91], exec
	v_mbcnt_lo_u32_b32 v0, s90, 0
	v_mbcnt_hi_u32_b32 v0, s91, v0
	v_cmp_eq_u32_e32 vcc, 0, v0
	;;#ASMSTART
	s_waitcnt lgkmcnt(0) vmcnt(0)
	;;#ASMEND
	s_and_saveexec_b64 s[88:89], vcc
	s_cbranch_execz .LBB6_372
; %bb.371:                              ;   in Loop: Header=BB6_57 Depth=2
	s_bcnt1_i32_b64 s90, s[90:91]
	v_mov_b32_e32 v3, s90
	v_mov_b32_e32 v4, v2
	s_waitcnt lgkmcnt(0)
	ds_add_u64 v0, v[3:4]
	s_trap 2
.LBB6_372:                              ;   in Loop: Header=BB6_57 Depth=2
	s_or_b64 exec, exec, s[88:89]
	s_trap 2
	ds_read_b64 v[3:4], v0
	s_waitcnt lgkmcnt(0)
	v_add_co_u32_e32 v32, vcc, v32, v16
	v_addc_co_u32_e32 v33, vcc, 0, v33, vcc
	v_cmp_lt_u64_e32 vcc, v[3:4], v[32:33]
	s_and_saveexec_b64 s[88:89], vcc
	s_cbranch_execz .LBB6_381
; %bb.373:                              ;   in Loop: Header=BB6_57 Depth=2
	s_mov_b32 s36, 0
	s_mov_b64 s[90:91], 0
                                        ; implicit-def: $sgpr92_sgpr93
                                        ; implicit-def: $sgpr94_sgpr95
	s_branch .LBB6_375
.LBB6_374:                              ;   in Loop: Header=BB6_375 Depth=3
	s_or_b64 exec, exec, s[34:35]
	s_and_b64 vcc, exec, vcc
	s_or_b64 s[90:91], vcc, s[90:91]
	s_andn2_b64 s[92:93], s[92:93], exec
	s_and_b64 vcc, s[94:95], exec
	s_or_b64 s[92:93], s[92:93], vcc
	s_andn2_b64 exec, exec, s[90:91]
	s_cbranch_execz .LBB6_379
.LBB6_375:                              ;   Parent Loop BB6_47 Depth=1
                                        ;     Parent Loop BB6_57 Depth=2
                                        ; =>    This Inner Loop Header: Depth=3
	s_add_i32 s36, s36, 1
	s_cmpk_lg_i32 s36, 0x2710
	s_cselect_b64 s[30:31], -1, 0
	s_and_b64 vcc, exec, s[30:31]
	s_cbranch_vccz .LBB6_377
; %bb.376:                              ;   in Loop: Header=BB6_375 Depth=3
	s_mov_b64 vcc, -1
	s_or_b64 s[94:95], s[94:95], exec
	s_and_saveexec_b64 s[34:35], s[30:31]
	s_cbranch_execz .LBB6_374
	s_branch .LBB6_378
.LBB6_377:                              ;   in Loop: Header=BB6_375 Depth=3
	s_trap 2
	ds_read_b64 v[3:4], v0
	s_andn2_b64 s[30:31], s[30:31], exec
	s_mov_b32 s36, 0
	s_waitcnt vmcnt(0) lgkmcnt(0)
	flat_load_dword v0, v[3:4] glc
	s_waitcnt vmcnt(0) lgkmcnt(0)
	buffer_wbinvl1_vol
	v_cmp_eq_u32_e32 vcc, 0, v0
	s_and_b64 vcc, vcc, exec
	s_or_b64 s[30:31], s[30:31], vcc
	s_mov_b64 vcc, -1
	s_or_b64 s[94:95], s[94:95], exec
	s_and_saveexec_b64 s[34:35], s[30:31]
	s_cbranch_execz .LBB6_374
.LBB6_378:                              ;   in Loop: Header=BB6_375 Depth=3
	s_sleep 1
	s_trap 2
	ds_read_b64 v[3:4], v0
	s_waitcnt lgkmcnt(0)
	s_andn2_b64 s[94:95], s[94:95], exec
	v_cmp_ge_u64_e32 vcc, v[3:4], v[32:33]
	s_orn2_b64 vcc, vcc, exec
	s_branch .LBB6_374
.LBB6_379:                              ;   in Loop: Header=BB6_57 Depth=2
	s_or_b64 exec, exec, s[90:91]
	s_and_saveexec_b64 s[90:91], s[92:93]
	s_xor_b64 s[90:91], exec, s[90:91]
	s_cbranch_execz .LBB6_381
; %bb.380:                              ;   in Loop: Header=BB6_57 Depth=2
	v_mov_b32_e32 v0, 1
	ds_write_b32 v0, v0
	s_trap 2
.LBB6_381:                              ;   in Loop: Header=BB6_57 Depth=2
	s_or_b64 exec, exec, s[88:89]
	;;#ASMSTART
	s_wakeup
	;;#ASMEND
.LBB6_382:                              ;   in Loop: Header=BB6_57 Depth=2
	s_or_b64 exec, exec, s[78:79]
.LBB6_383:                              ;   in Loop: Header=BB6_57 Depth=2
	s_andn2_saveexec_b64 s[76:77], s[76:77]
	s_cbranch_execz .LBB6_385
; %bb.384:                              ;   in Loop: Header=BB6_57 Depth=2
	;;#ASMSTART
	s_waitcnt lgkmcnt(0) vmcnt(0)
	;;#ASMEND
	s_waitcnt vmcnt(0) lgkmcnt(0)
	s_barrier
.LBB6_385:                              ;   in Loop: Header=BB6_57 Depth=2
	s_or_b64 exec, exec, s[76:77]
	v_and_b32_e32 v0, 16, v30
	s_or_b64 exec, exec, s[26:27]
	v_cmp_ne_u32_e32 vcc, 0, v0
	s_and_saveexec_b64 s[26:27], vcc
	s_cbranch_execz .LBB6_56
.LBB6_386:                              ;   in Loop: Header=BB6_57 Depth=2
	s_and_saveexec_b64 s[76:77], s[14:15]
	s_cbranch_execz .LBB6_55
; %bb.387:                              ;   in Loop: Header=BB6_57 Depth=2
	buffer_load_dword v3, off, s[0:3], s33 offset:68 ; 4-byte Folded Reload
	buffer_load_dword v4, off, s[0:3], s33 offset:72 ; 4-byte Folded Reload
	v_mov_b32_e32 v0, 1
	s_waitcnt vmcnt(0)
	flat_store_dword v[3:4], v0
	s_branch .LBB6_55
.LBB6_388:                              ;   in Loop: Header=BB6_47 Depth=1
	s_or_b64 exec, exec, s[40:41]
.LBB6_389:                              ;   in Loop: Header=BB6_47 Depth=1
	s_or_b64 exec, exec, s[28:29]
	v_cmp_gt_i32_e32 vcc, 2, v0
	s_and_saveexec_b64 s[28:29], vcc
	s_cbranch_execz .LBB6_461
; %bb.390:                              ;   in Loop: Header=BB6_47 Depth=1
	v_cmp_eq_u32_e64 s[42:43], 0, v0
	s_mov_b64 s[40:41], 0
	s_branch .LBB6_393
.LBB6_391:                              ;   in Loop: Header=BB6_393 Depth=2
	s_or_b64 exec, exec, s[42:43]
	v_add_co_u32_e32 v48, vcc, 2, v48
	v_addc_co_u32_e32 v49, vcc, 0, v49, vcc
	flat_store_dwordx2 v[22:23], v[48:49]
.LBB6_392:                              ;   in Loop: Header=BB6_393 Depth=2
	s_or_b64 exec, exec, s[26:27]
	v_add_u32_e32 v14, v12, v14
	s_mov_b64 s[42:43], 0
	s_andn2_b64 exec, exec, s[40:41]
	s_cbranch_execz .LBB6_460
.LBB6_393:                              ;   Parent Loop BB6_47 Depth=1
                                        ; =>  This Loop Header: Depth=2
                                        ;       Child Loop BB6_399 Depth 3
                                        ;       Child Loop BB6_423 Depth 3
                                        ;       Child Loop BB6_447 Depth 3
	v_sub_u32_e32 v0, v52, v14
	v_min_i32_e32 v12, v12, v0
	v_and_b32_e32 v0, 8, v30
	v_cmp_ne_u32_e32 vcc, 0, v0
	s_and_saveexec_b64 s[76:77], vcc
	s_cbranch_execz .LBB6_415
; %bb.394:                              ;   in Loop: Header=BB6_393 Depth=2
	s_waitcnt lgkmcnt(0)
	v_add_co_u32_e32 v3, vcc, 8, v28
	v_addc_co_u32_e32 v4, vcc, 0, v29, vcc
	v_add_co_u32_e32 v8, vcc, 2, v48
	v_addc_co_u32_e32 v9, vcc, 0, v49, vcc
	v_cmp_lt_u64_e32 vcc, v[3:4], v[8:9]
	s_and_saveexec_b64 s[78:79], vcc
	s_cbranch_execz .LBB6_406
; %bb.395:                              ;   in Loop: Header=BB6_393 Depth=2
	v_and_b32_e32 v0, 64, v30
	s_mov_b32 s75, 0
	v_cmp_eq_u32_e32 vcc, 0, v0
	s_mov_b64 s[88:89], 0
                                        ; implicit-def: $sgpr90_sgpr91
                                        ; implicit-def: $sgpr92_sgpr93
                                        ; implicit-def: $sgpr94_sgpr95
	s_branch .LBB6_399
.LBB6_396:                              ;   in Loop: Header=BB6_399 Depth=3
	s_waitcnt vmcnt(0) lgkmcnt(0)
	v_add_co_u32_e64 v3, s[26:27], 8, v28
	v_addc_co_u32_e64 v4, s[26:27], 0, v29, s[26:27]
	v_cmp_ge_u64_e64 s[26:27], v[3:4], v[8:9]
	s_or_b64 s[36:37], s[36:37], exec
	s_orn2_b64 s[34:35], s[26:27], exec
.LBB6_397:                              ;   in Loop: Header=BB6_399 Depth=3
	s_or_b64 exec, exec, s[48:49]
	s_andn2_b64 s[26:27], s[94:95], exec
	s_and_b64 s[94:95], s[36:37], exec
	s_or_b64 s[94:95], s[26:27], s[94:95]
	s_andn2_b64 s[26:27], s[92:93], exec
	s_and_b64 s[92:93], s[34:35], exec
	s_or_b64 s[92:93], s[26:27], s[92:93]
.LBB6_398:                              ;   in Loop: Header=BB6_399 Depth=3
	s_or_b64 exec, exec, s[30:31]
	s_and_b64 s[26:27], exec, s[92:93]
	s_or_b64 s[88:89], s[26:27], s[88:89]
	s_andn2_b64 s[26:27], s[90:91], exec
	s_and_b64 s[90:91], s[94:95], exec
	s_or_b64 s[90:91], s[26:27], s[90:91]
	s_andn2_b64 exec, exec, s[88:89]
	s_cbranch_execz .LBB6_403
.LBB6_399:                              ;   Parent Loop BB6_47 Depth=1
                                        ;     Parent Loop BB6_393 Depth=2
                                        ; =>    This Inner Loop Header: Depth=3
	s_sleep 1
	s_waitcnt vmcnt(0) lgkmcnt(0)
	flat_load_dwordx2 v[28:29], v[22:23] glc
	s_or_b64 s[94:95], s[94:95], exec
	s_or_b64 s[92:93], s[92:93], exec
                                        ; implicit-def: $vgpr0
	s_and_saveexec_b64 s[30:31], vcc
	s_cbranch_execz .LBB6_398
; %bb.400:                              ;   in Loop: Header=BB6_399 Depth=3
	s_cmpk_lt_i32 s75, 0x270f
	s_cselect_b64 s[38:39], -1, 0
	s_cmpk_gt_i32 s75, 0x270e
	s_mov_b64 s[34:35], -1
	s_cbranch_scc0 .LBB6_402
; %bb.401:                              ;   in Loop: Header=BB6_399 Depth=3
	s_trap 2
	ds_read_b64 v[3:4], v0
	s_andn2_b64 s[38:39], s[38:39], exec
	s_mov_b32 s75, 0
	s_mov_b64 s[36:37], 0
	s_waitcnt vmcnt(0) lgkmcnt(0)
	flat_load_dword v0, v[3:4] glc
	s_waitcnt vmcnt(0) lgkmcnt(0)
	buffer_wbinvl1_vol
	v_cmp_eq_u32_e64 s[26:27], 0, v0
	s_and_b64 s[26:27], s[26:27], exec
	s_or_b64 s[38:39], s[38:39], s[26:27]
	s_and_saveexec_b64 s[48:49], s[38:39]
	s_cbranch_execz .LBB6_397
	s_branch .LBB6_396
.LBB6_402:                              ;   in Loop: Header=BB6_399 Depth=3
	s_add_i32 s75, s75, 1
	s_mov_b64 s[36:37], -1
                                        ; implicit-def: $vgpr0
	s_and_saveexec_b64 s[48:49], s[38:39]
	s_cbranch_execz .LBB6_397
	s_branch .LBB6_396
.LBB6_403:                              ;   in Loop: Header=BB6_393 Depth=2
	s_or_b64 exec, exec, s[88:89]
	s_xor_b64 s[26:27], s[90:91], -1
	s_and_saveexec_b64 s[88:89], s[26:27]
	s_xor_b64 s[26:27], exec, s[88:89]
	s_cbranch_execz .LBB6_405
; %bb.404:                              ;   in Loop: Header=BB6_393 Depth=2
	v_or_b32_e32 v30, 64, v30
	s_waitcnt lgkmcnt(0)
	ds_write_b32 v0, v0
	s_trap 2
.LBB6_405:                              ;   in Loop: Header=BB6_393 Depth=2
	s_or_b64 exec, exec, s[26:27]
.LBB6_406:                              ;   in Loop: Header=BB6_393 Depth=2
	s_or_b64 exec, exec, s[78:79]
	v_and_b32_e32 v0, 0x100, v30
	v_cmp_ne_u32_e32 vcc, 0, v0
	v_and_b32_e32 v0, 7, v48
	s_mov_b64 s[26:27], -1
	;;#ASMSTART
	s_wakeup
	;;#ASMEND
                                        ; implicit-def: $vgpr10_vgpr11
	s_and_saveexec_b64 s[78:79], vcc
	s_cbranch_execz .LBB6_410
; %bb.407:                              ;   in Loop: Header=BB6_393 Depth=2
	v_mad_u64_u32 v[18:19], s[26:27], v0, 24, v[58:59]
	v_ashrrev_i32_e32 v13, 31, v12
	v_lshlrev_b64 v[3:4], 1, v[12:13]
                                        ; implicit-def: $vgpr10_vgpr11
	flat_store_dwordx2 v[18:19], v[3:4] offset:8
	flat_load_dword v3, v[18:19]
	s_waitcnt vmcnt(0) lgkmcnt(0)
	v_cmp_ne_u32_e32 vcc, 1, v3
	v_cmp_eq_u32_e64 s[26:27], 1, v3
	s_and_saveexec_b64 s[88:89], s[26:27]
	s_cbranch_execz .LBB6_409
; %bb.408:                              ;   in Loop: Header=BB6_393 Depth=2
	flat_load_dword v3, v[18:19] offset:4 glc
	s_waitcnt vmcnt(0) lgkmcnt(0)
	v_ashrrev_i32_e32 v4, 31, v3
	v_lshrrev_b64 v[10:11], 1, v[3:4]
.LBB6_409:                              ;   in Loop: Header=BB6_393 Depth=2
	s_or_b64 exec, exec, s[88:89]
	s_orn2_b64 s[26:27], vcc, exec
.LBB6_410:                              ;   in Loop: Header=BB6_393 Depth=2
	s_or_b64 exec, exec, s[78:79]
	s_and_saveexec_b64 s[78:79], s[26:27]
	s_cbranch_execz .LBB6_412
; %bb.411:                              ;   in Loop: Header=BB6_393 Depth=2
	buffer_load_dword v3, off, s[0:3], s33 offset:76 ; 4-byte Folded Reload
	s_waitcnt vmcnt(0)
	v_mad_i64_i32 v[10:11], s[26:27], v0, v3, 0
.LBB6_412:                              ;   in Loop: Header=BB6_393 Depth=2
	s_or_b64 exec, exec, s[78:79]
	buffer_load_dword v5, off, s[0:3], s33 offset:60 ; 4-byte Folded Reload
	buffer_load_dword v6, off, s[0:3], s33 offset:64 ; 4-byte Folded Reload
	v_lshlrev_b64 v[3:4], 1, v[10:11]
	s_waitcnt vmcnt(0)
	v_add_co_u32_e32 v3, vcc, v5, v3
	v_addc_co_u32_e32 v4, vcc, v6, v4, vcc
	ds_write_b64 v0, v[3:4] offset:784
	v_and_b32_e32 v0, 0x2000, v30
	v_cmp_ne_u32_e32 vcc, 0, v0
	s_and_saveexec_b64 s[26:27], vcc
	s_cbranch_execz .LBB6_414
; %bb.413:                              ;   in Loop: Header=BB6_393 Depth=2
	ds_read_b64 v[3:4], v0 offset:872
	s_waitcnt lgkmcnt(0)
	v_add_co_u32_e32 v3, vcc, 1, v3
	v_addc_co_u32_e32 v4, vcc, 0, v4, vcc
	ds_write_b64 v0, v[3:4] offset:872
.LBB6_414:                              ;   in Loop: Header=BB6_393 Depth=2
	s_or_b64 exec, exec, s[26:27]
	v_mov_b32_e32 v49, v9
	v_mov_b32_e32 v48, v8
.LBB6_415:                              ;   in Loop: Header=BB6_393 Depth=2
	s_or_b64 exec, exec, s[76:77]
	s_xor_b64 s[26:27], s[42:43], -1
	s_and_b64 s[26:27], exec, s[26:27]
	s_or_b64 s[40:41], s[26:27], s[40:41]
	s_and_saveexec_b64 s[26:27], s[10:11]
	s_cbranch_execz .LBB6_434
; %bb.416:                              ;   in Loop: Header=BB6_393 Depth=2
	s_and_saveexec_b64 s[42:43], s[56:57]
	s_xor_b64 s[42:43], exec, s[42:43]
	s_cbranch_execz .LBB6_431
; %bb.417:                              ;   in Loop: Header=BB6_393 Depth=2
	s_and_saveexec_b64 s[76:77], s[16:17]
	s_cbranch_execz .LBB6_430
; %bb.418:                              ;   in Loop: Header=BB6_393 Depth=2
	s_mov_b64 s[88:89], exec
	v_mbcnt_lo_u32_b32 v0, s88, 0
	v_mbcnt_hi_u32_b32 v0, s89, v0
	v_cmp_eq_u32_e32 vcc, 0, v0
	s_waitcnt vmcnt(0) lgkmcnt(0)
	buffer_wbinvl1_vol
	s_and_saveexec_b64 s[78:79], vcc
	s_cbranch_execz .LBB6_420
; %bb.419:                              ;   in Loop: Header=BB6_393 Depth=2
	s_bcnt1_i32_b64 s75, s[88:89]
	v_mov_b32_e32 v3, s75
	v_mov_b32_e32 v4, v2
	ds_add_u64 v0, v[3:4]
	s_trap 2
.LBB6_420:                              ;   in Loop: Header=BB6_393 Depth=2
	s_or_b64 exec, exec, s[78:79]
	s_trap 2
	ds_read_b64 v[3:4], v0
	s_waitcnt lgkmcnt(0)
	v_add_co_u32_e32 v32, vcc, v32, v16
	v_addc_co_u32_e32 v33, vcc, 0, v33, vcc
	v_cmp_lt_u64_e32 vcc, v[3:4], v[32:33]
	s_and_saveexec_b64 s[78:79], vcc
	s_cbranch_execz .LBB6_429
; %bb.421:                              ;   in Loop: Header=BB6_393 Depth=2
	s_mov_b32 s75, 0
	s_mov_b64 s[88:89], 0
                                        ; implicit-def: $sgpr90_sgpr91
                                        ; implicit-def: $sgpr92_sgpr93
	s_branch .LBB6_423
.LBB6_422:                              ;   in Loop: Header=BB6_423 Depth=3
	s_or_b64 exec, exec, s[30:31]
	s_and_b64 s[94:95], exec, vcc
	s_or_b64 s[88:89], s[94:95], s[88:89]
	s_andn2_b64 s[90:91], s[90:91], exec
	s_and_b64 s[94:95], s[92:93], exec
	s_or_b64 s[90:91], s[90:91], s[94:95]
	s_andn2_b64 exec, exec, s[88:89]
	s_cbranch_execz .LBB6_427
.LBB6_423:                              ;   Parent Loop BB6_47 Depth=1
                                        ;     Parent Loop BB6_393 Depth=2
                                        ; =>    This Inner Loop Header: Depth=3
	s_add_i32 s75, s75, 1
	s_cmpk_lg_i32 s75, 0x2710
	s_cselect_b64 s[94:95], -1, 0
	s_and_b64 vcc, exec, s[94:95]
	s_cbranch_vccz .LBB6_425
; %bb.424:                              ;   in Loop: Header=BB6_423 Depth=3
	s_mov_b64 vcc, -1
	s_or_b64 s[92:93], s[92:93], exec
	s_and_saveexec_b64 s[30:31], s[94:95]
	s_cbranch_execz .LBB6_422
	s_branch .LBB6_426
.LBB6_425:                              ;   in Loop: Header=BB6_423 Depth=3
	s_trap 2
	ds_read_b64 v[3:4], v0
	s_andn2_b64 s[94:95], s[94:95], exec
	s_mov_b32 s75, 0
	s_waitcnt lgkmcnt(0)
	flat_load_dword v0, v[3:4] glc
	s_waitcnt vmcnt(0) lgkmcnt(0)
	buffer_wbinvl1_vol
	v_cmp_eq_u32_e32 vcc, 0, v0
	s_and_b64 vcc, vcc, exec
	s_or_b64 s[94:95], s[94:95], vcc
	s_mov_b64 vcc, -1
	s_or_b64 s[92:93], s[92:93], exec
	s_and_saveexec_b64 s[30:31], s[94:95]
	s_cbranch_execz .LBB6_422
.LBB6_426:                              ;   in Loop: Header=BB6_423 Depth=3
	s_sleep 1
	s_trap 2
	ds_read_b64 v[3:4], v0
	s_waitcnt lgkmcnt(0)
	s_andn2_b64 s[92:93], s[92:93], exec
	v_cmp_ge_u64_e32 vcc, v[3:4], v[32:33]
	s_orn2_b64 vcc, vcc, exec
	s_branch .LBB6_422
.LBB6_427:                              ;   in Loop: Header=BB6_393 Depth=2
	s_or_b64 exec, exec, s[88:89]
	s_and_saveexec_b64 s[88:89], s[90:91]
	s_xor_b64 s[88:89], exec, s[88:89]
	s_cbranch_execz .LBB6_429
; %bb.428:                              ;   in Loop: Header=BB6_393 Depth=2
	v_mov_b32_e32 v0, 1
	ds_write_b32 v0, v0
	s_trap 2
.LBB6_429:                              ;   in Loop: Header=BB6_393 Depth=2
	s_or_b64 exec, exec, s[78:79]
	;;#ASMSTART
	s_wakeup
	;;#ASMEND
.LBB6_430:                              ;   in Loop: Header=BB6_393 Depth=2
	s_or_b64 exec, exec, s[76:77]
.LBB6_431:                              ;   in Loop: Header=BB6_393 Depth=2
	s_andn2_saveexec_b64 s[42:43], s[42:43]
	s_cbranch_execz .LBB6_433
; %bb.432:                              ;   in Loop: Header=BB6_393 Depth=2
	s_waitcnt vmcnt(0) lgkmcnt(0)
	buffer_wbinvl1_vol
	s_barrier
.LBB6_433:                              ;   in Loop: Header=BB6_393 Depth=2
	s_or_b64 exec, exec, s[42:43]
.LBB6_434:                              ;   in Loop: Header=BB6_393 Depth=2
	s_or_b64 exec, exec, s[26:27]
                                        ; implicit-def: $vgpr0
	s_and_saveexec_b64 s[26:27], s[24:25]
	s_xor_b64 s[26:27], exec, s[26:27]
	s_cbranch_execz .LBB6_439
; %bb.435:                              ;   in Loop: Header=BB6_393 Depth=2
	s_trap 2
	ds_read_b32 v0, v0
	v_cmp_lt_i32_e32 vcc, 0, v12
	v_and_b32_e32 v3, 16, v30
	s_waitcnt lgkmcnt(0)
	v_readfirstlane_b32 s42, v0
	s_cmp_eq_u32 s42, 0
	s_cselect_b64 s[42:43], -1, 0
	s_and_b64 s[42:43], vcc, s[42:43]
	v_cmp_ne_u32_e32 vcc, 0, v3
	v_and_b32_e32 v0, 16, v30
	s_and_b64 s[76:77], vcc, s[42:43]
	s_and_saveexec_b64 s[42:43], s[76:77]
	s_cbranch_execz .LBB6_437
; %bb.436:                              ;   in Loop: Header=BB6_393 Depth=2
	v_mov_b32_e32 v0, 1
	s_waitcnt vmcnt(0)
	buffer_wbinvl1_vol
.LBB6_437:                              ;   in Loop: Header=BB6_393 Depth=2
	s_or_b64 exec, exec, s[42:43]
	s_andn2_saveexec_b64 s[26:27], s[26:27]
	s_cbranch_execnz .LBB6_440
.LBB6_438:                              ;   in Loop: Header=BB6_393 Depth=2
	s_or_b64 exec, exec, s[26:27]
	v_cmp_ne_u32_e32 vcc, 0, v0
	s_and_saveexec_b64 s[26:27], vcc
	s_cbranch_execz .LBB6_392
	s_branch .LBB6_458
.LBB6_439:                              ;   in Loop: Header=BB6_393 Depth=2
	s_andn2_saveexec_b64 s[26:27], s[26:27]
	s_cbranch_execz .LBB6_438
.LBB6_440:                              ;   in Loop: Header=BB6_393 Depth=2
	s_and_saveexec_b64 s[42:43], s[56:57]
	s_xor_b64 s[42:43], exec, s[42:43]
	s_cbranch_execz .LBB6_455
; %bb.441:                              ;   in Loop: Header=BB6_393 Depth=2
	s_and_saveexec_b64 s[76:77], s[16:17]
	s_cbranch_execz .LBB6_454
; %bb.442:                              ;   in Loop: Header=BB6_393 Depth=2
	s_mov_b64 s[88:89], exec
	v_mbcnt_lo_u32_b32 v0, s88, 0
	v_mbcnt_hi_u32_b32 v0, s89, v0
	v_cmp_eq_u32_e32 vcc, 0, v0
	;;#ASMSTART
	s_waitcnt lgkmcnt(0) vmcnt(0)
	;;#ASMEND
	s_and_saveexec_b64 s[78:79], vcc
	s_cbranch_execz .LBB6_444
; %bb.443:                              ;   in Loop: Header=BB6_393 Depth=2
	s_bcnt1_i32_b64 s75, s[88:89]
	v_mov_b32_e32 v3, s75
	v_mov_b32_e32 v4, v2
	s_waitcnt lgkmcnt(0)
	ds_add_u64 v0, v[3:4]
	s_trap 2
.LBB6_444:                              ;   in Loop: Header=BB6_393 Depth=2
	s_or_b64 exec, exec, s[78:79]
	s_trap 2
	ds_read_b64 v[3:4], v0
	s_waitcnt lgkmcnt(0)
	v_add_co_u32_e32 v32, vcc, v32, v16
	v_addc_co_u32_e32 v33, vcc, 0, v33, vcc
	v_cmp_lt_u64_e32 vcc, v[3:4], v[32:33]
	s_and_saveexec_b64 s[78:79], vcc
	s_cbranch_execz .LBB6_453
; %bb.445:                              ;   in Loop: Header=BB6_393 Depth=2
	s_mov_b32 s75, 0
	s_mov_b64 s[88:89], 0
                                        ; implicit-def: $sgpr90_sgpr91
                                        ; implicit-def: $sgpr92_sgpr93
	s_branch .LBB6_447
.LBB6_446:                              ;   in Loop: Header=BB6_447 Depth=3
	s_or_b64 exec, exec, s[30:31]
	s_and_b64 s[94:95], exec, vcc
	s_or_b64 s[88:89], s[94:95], s[88:89]
	s_andn2_b64 s[90:91], s[90:91], exec
	s_and_b64 s[94:95], s[92:93], exec
	s_or_b64 s[90:91], s[90:91], s[94:95]
	s_andn2_b64 exec, exec, s[88:89]
	s_cbranch_execz .LBB6_451
.LBB6_447:                              ;   Parent Loop BB6_47 Depth=1
                                        ;     Parent Loop BB6_393 Depth=2
                                        ; =>    This Inner Loop Header: Depth=3
	s_add_i32 s75, s75, 1
	s_cmpk_lg_i32 s75, 0x2710
	s_cselect_b64 s[94:95], -1, 0
	s_and_b64 vcc, exec, s[94:95]
	s_cbranch_vccz .LBB6_449
; %bb.448:                              ;   in Loop: Header=BB6_447 Depth=3
	s_mov_b64 vcc, -1
	s_or_b64 s[92:93], s[92:93], exec
	s_and_saveexec_b64 s[30:31], s[94:95]
	s_cbranch_execz .LBB6_446
	s_branch .LBB6_450
.LBB6_449:                              ;   in Loop: Header=BB6_447 Depth=3
	s_trap 2
	ds_read_b64 v[3:4], v0
	s_andn2_b64 s[94:95], s[94:95], exec
	s_mov_b32 s75, 0
	s_waitcnt vmcnt(0) lgkmcnt(0)
	flat_load_dword v0, v[3:4] glc
	s_waitcnt vmcnt(0) lgkmcnt(0)
	buffer_wbinvl1_vol
	v_cmp_eq_u32_e32 vcc, 0, v0
	s_and_b64 vcc, vcc, exec
	s_or_b64 s[94:95], s[94:95], vcc
	s_mov_b64 vcc, -1
	s_or_b64 s[92:93], s[92:93], exec
	s_and_saveexec_b64 s[30:31], s[94:95]
	s_cbranch_execz .LBB6_446
.LBB6_450:                              ;   in Loop: Header=BB6_447 Depth=3
	s_sleep 1
	s_trap 2
	ds_read_b64 v[3:4], v0
	s_waitcnt lgkmcnt(0)
	s_andn2_b64 s[92:93], s[92:93], exec
	v_cmp_ge_u64_e32 vcc, v[3:4], v[32:33]
	s_orn2_b64 vcc, vcc, exec
	s_branch .LBB6_446
.LBB6_451:                              ;   in Loop: Header=BB6_393 Depth=2
	s_or_b64 exec, exec, s[88:89]
	s_and_saveexec_b64 s[88:89], s[90:91]
	s_xor_b64 s[88:89], exec, s[88:89]
	s_cbranch_execz .LBB6_453
; %bb.452:                              ;   in Loop: Header=BB6_393 Depth=2
	v_mov_b32_e32 v0, 1
	ds_write_b32 v0, v0
	s_trap 2
.LBB6_453:                              ;   in Loop: Header=BB6_393 Depth=2
	s_or_b64 exec, exec, s[78:79]
	;;#ASMSTART
	s_wakeup
	;;#ASMEND
.LBB6_454:                              ;   in Loop: Header=BB6_393 Depth=2
	s_or_b64 exec, exec, s[76:77]
.LBB6_455:                              ;   in Loop: Header=BB6_393 Depth=2
	s_andn2_saveexec_b64 s[42:43], s[42:43]
	s_cbranch_execz .LBB6_457
; %bb.456:                              ;   in Loop: Header=BB6_393 Depth=2
	;;#ASMSTART
	s_waitcnt lgkmcnt(0) vmcnt(0)
	;;#ASMEND
	s_waitcnt vmcnt(0) lgkmcnt(0)
	s_barrier
.LBB6_457:                              ;   in Loop: Header=BB6_393 Depth=2
	s_or_b64 exec, exec, s[42:43]
	v_and_b32_e32 v0, 16, v30
	s_or_b64 exec, exec, s[26:27]
	v_cmp_ne_u32_e32 vcc, 0, v0
	s_and_saveexec_b64 s[26:27], vcc
	s_cbranch_execz .LBB6_392
.LBB6_458:                              ;   in Loop: Header=BB6_393 Depth=2
	s_and_saveexec_b64 s[42:43], s[14:15]
	s_cbranch_execz .LBB6_391
; %bb.459:                              ;   in Loop: Header=BB6_393 Depth=2
	buffer_load_dword v3, off, s[0:3], s33 offset:68 ; 4-byte Folded Reload
	buffer_load_dword v4, off, s[0:3], s33 offset:72 ; 4-byte Folded Reload
	v_mov_b32_e32 v0, 1
	s_waitcnt vmcnt(0)
	flat_store_dword v[3:4], v0
	s_branch .LBB6_391
.LBB6_460:                              ;   in Loop: Header=BB6_47 Depth=1
	s_or_b64 exec, exec, s[40:41]
.LBB6_461:                              ;   in Loop: Header=BB6_47 Depth=1
	s_or_b64 exec, exec, s[28:29]
	v_cndmask_b32_e64 v0, 0, 1, s[60:61]
	v_cmp_ne_u32_e64 s[26:27], 1, v0
	s_andn2_b64 vcc, exec, s[60:61]
	s_cbranch_vccnz .LBB6_949
; %bb.462:                              ;   in Loop: Header=BB6_47 Depth=1
	buffer_load_dword v57, off, s[0:3], s33 offset:144 ; 4-byte Folded Reload
	buffer_load_dword v58, off, s[0:3], s33 offset:148 ; 4-byte Folded Reload
	s_mov_b32 s75, 2
	v_mov_b32_e32 v24, 0xc8
	v_mov_b32_e32 v25, 0x90
	s_branch .LBB6_465
.LBB6_463:                              ;   in Loop: Header=BB6_465 Depth=2
	s_or_b64 exec, exec, s[42:43]
.LBB6_464:                              ;   in Loop: Header=BB6_465 Depth=2
	s_or_b64 exec, exec, s[40:41]
	s_add_i32 s75, s75, 1
	s_cmp_eq_u32 s75, s52
	s_cbranch_scc1 .LBB6_948
.LBB6_465:                              ;   Parent Loop BB6_47 Depth=1
                                        ; =>  This Loop Header: Depth=2
                                        ;       Child Loop BB6_468 Depth 3
                                        ;         Child Loop BB6_476 Depth 4
                                        ;         Child Loop BB6_504 Depth 4
	;; [unrolled: 1-line block ×9, first 2 shown]
                                        ;       Child Loop BB6_876 Depth 3
                                        ;         Child Loop BB6_882 Depth 4
                                        ;         Child Loop BB6_910 Depth 4
	;; [unrolled: 1-line block ×3, first 2 shown]
	buffer_load_dword v5, off, s[0:3], s33 offset:160 ; 4-byte Folded Reload
	buffer_load_dword v6, off, s[0:3], s33 offset:164 ; 4-byte Folded Reload
	s_sub_i32 s28, s69, s75
	s_cmp_ge_i32 s28, s52
	s_cselect_b32 s29, s52, 0
	s_sub_i32 s28, s28, s29
	s_ashr_i32 s40, s28, 31
	v_mov_b32_e32 v40, 0
	s_waitcnt vmcnt(0)
	v_mul_lo_u32 v3, v5, s40
	v_mul_lo_u32 v0, v6, s28
	v_mad_u64_u32 v[8:9], s[28:29], v5, s28, 0
	v_add3_u32 v9, v9, v3, v0
	buffer_load_dword v3, off, s[0:3], s33 offset:152 ; 4-byte Folded Reload
	buffer_load_dword v4, off, s[0:3], s33 offset:156 ; 4-byte Folded Reload
	s_waitcnt vmcnt(0)
	v_sub_co_u32_e32 v3, vcc, v3, v8
	v_subb_co_u32_e32 v4, vcc, v4, v9, vcc
	v_cmp_lt_i64_e32 vcc, v[5:6], v[3:4]
	v_cndmask_b32_e32 v0, v3, v5, vcc
	v_max_i32_e32 v59, 0, v0
	v_add_u32_e32 v3, 31, v59
	v_lshrrev_b32_e32 v3, 1, v3
	v_and_b32_e32 v3, 0x3ffffff0, v3
	v_cmp_lt_i32_e32 vcc, 0, v0
	v_max_i32_e32 v54, s80, v3
	s_and_b64 s[28:29], s[72:73], vcc
	v_mov_b32_e32 v0, 0
	s_and_saveexec_b64 s[40:41], s[28:29]
	s_cbranch_execz .LBB6_872
; %bb.466:                              ;   in Loop: Header=BB6_465 Depth=2
	v_lshlrev_b64 v[42:43], 1, v[8:9]
	s_mov_b32 s84, 1
	s_mov_b64 s[76:77], -1
	v_mov_b32_e32 v40, 0
	s_mov_b64 s[42:43], 0
	s_branch .LBB6_468
.LBB6_467:                              ;   in Loop: Header=BB6_468 Depth=3
	s_or_b64 exec, exec, s[28:29]
	v_add_u32_e32 v40, v54, v40
	v_cmp_ge_i32_e32 vcc, v40, v59
	s_xor_b64 s[28:29], s[76:77], -1
	s_or_b64 s[28:29], s[28:29], vcc
	s_and_b64 s[28:29], exec, s[28:29]
	s_or_b64 s[42:43], s[28:29], s[42:43]
	s_mov_b64 s[76:77], 0
	v_mov_b32_e32 v0, s84
	s_mov_b32 s84, 2
	s_andn2_b64 exec, exec, s[42:43]
	s_cbranch_execz .LBB6_873
.LBB6_468:                              ;   Parent Loop BB6_47 Depth=1
                                        ;     Parent Loop BB6_465 Depth=2
                                        ; =>    This Loop Header: Depth=3
                                        ;         Child Loop BB6_476 Depth 4
                                        ;         Child Loop BB6_504 Depth 4
	;; [unrolled: 1-line block ×9, first 2 shown]
	s_and_saveexec_b64 s[28:29], s[4:5]
	s_cbranch_execz .LBB6_470
; %bb.469:                              ;   in Loop: Header=BB6_468 Depth=3
	s_trap 2
	ds_read_b64 v[3:4], v0
	s_waitcnt vmcnt(0)
	v_lshlrev_b64 v[5:6], 1, v[57:58]
	v_ashrrev_i32_e32 v41, 31, v40
	s_waitcnt lgkmcnt(0)
	v_add_co_u32_e32 v0, vcc, v3, v5
	v_addc_co_u32_e32 v3, vcc, v4, v6, vcc
	v_add_co_u32_e32 v0, vcc, v0, v42
	v_addc_co_u32_e32 v5, vcc, v3, v43, vcc
	v_lshlrev_b64 v[3:4], 1, v[40:41]
	v_add_co_u32_e32 v3, vcc, v0, v3
	v_addc_co_u32_e32 v4, vcc, v5, v4, vcc
	ds_write_b64 v0, v[3:4]
	v_mov_b32_e32 v3, v2
	ds_write_b64 v0, v[2:3]
.LBB6_470:                              ;   in Loop: Header=BB6_468 Depth=3
	s_or_b64 exec, exec, s[28:29]
	v_sub_u32_e32 v0, v59, v40
	v_min_i32_e32 v54, v54, v0
	v_and_b32_e32 v0, 12, v30
	v_cmp_ne_u32_e32 vcc, 0, v0
	s_and_saveexec_b64 s[78:79], vcc
	s_cbranch_execz .LBB6_496
; %bb.471:                              ;   in Loop: Header=BB6_468 Depth=3
	v_and_b32_e32 v0, 8, v30
	s_waitcnt lgkmcnt(0)
	v_add_co_u32_e32 v3, vcc, v28, v0
	v_addc_co_u32_e32 v4, vcc, 0, v29, vcc
	v_add_co_u32_e32 v8, vcc, 2, v48
	v_addc_co_u32_e32 v9, vcc, 0, v49, vcc
	v_cmp_lt_u64_e32 vcc, v[3:4], v[8:9]
	s_and_saveexec_b64 s[88:89], vcc
	s_cbranch_execz .LBB6_483
; %bb.472:                              ;   in Loop: Header=BB6_468 Depth=3
	v_and_b32_e32 v3, 64, v30
	s_mov_b32 s85, 0
	v_cmp_eq_u32_e32 vcc, 0, v3
	s_mov_b64 s[90:91], 0
                                        ; implicit-def: $sgpr92_sgpr93
                                        ; implicit-def: $sgpr94_sgpr95
                                        ; implicit-def: $sgpr30_sgpr31
	s_branch .LBB6_476
.LBB6_473:                              ;   in Loop: Header=BB6_476 Depth=4
	s_waitcnt vmcnt(0) lgkmcnt(0)
	v_add_co_u32_e64 v4, s[28:29], v28, v0
	v_addc_co_u32_e64 v5, s[28:29], 0, v29, s[28:29]
	v_cmp_ge_u64_e64 s[28:29], v[4:5], v[8:9]
	s_or_b64 s[38:39], s[38:39], exec
	s_orn2_b64 s[36:37], s[28:29], exec
.LBB6_474:                              ;   in Loop: Header=BB6_476 Depth=4
	s_or_b64 exec, exec, s[50:51]
	s_andn2_b64 s[28:29], s[30:31], exec
	s_and_b64 s[30:31], s[38:39], exec
	s_or_b64 s[30:31], s[28:29], s[30:31]
	s_andn2_b64 s[28:29], s[94:95], exec
	s_and_b64 s[94:95], s[36:37], exec
	s_or_b64 s[94:95], s[28:29], s[94:95]
.LBB6_475:                              ;   in Loop: Header=BB6_476 Depth=4
	s_or_b64 exec, exec, s[34:35]
	s_and_b64 s[28:29], exec, s[94:95]
	s_or_b64 s[90:91], s[28:29], s[90:91]
	s_andn2_b64 s[28:29], s[92:93], exec
	s_and_b64 s[92:93], s[30:31], exec
	s_or_b64 s[92:93], s[28:29], s[92:93]
	s_andn2_b64 exec, exec, s[90:91]
	s_cbranch_execz .LBB6_480
.LBB6_476:                              ;   Parent Loop BB6_47 Depth=1
                                        ;     Parent Loop BB6_465 Depth=2
                                        ;       Parent Loop BB6_468 Depth=3
                                        ; =>      This Inner Loop Header: Depth=4
	s_sleep 1
	s_waitcnt vmcnt(0) lgkmcnt(0)
	flat_load_dwordx2 v[28:29], v[22:23] glc
	s_or_b64 s[30:31], s[30:31], exec
	s_or_b64 s[94:95], s[94:95], exec
                                        ; implicit-def: $vgpr3
	s_and_saveexec_b64 s[34:35], vcc
	s_cbranch_execz .LBB6_475
; %bb.477:                              ;   in Loop: Header=BB6_476 Depth=4
	s_cmpk_lt_i32 s85, 0x270f
	s_cselect_b64 s[48:49], -1, 0
	s_cmpk_gt_i32 s85, 0x270e
	s_mov_b64 s[36:37], -1
	s_cbranch_scc0 .LBB6_479
; %bb.478:                              ;   in Loop: Header=BB6_476 Depth=4
	s_trap 2
	ds_read_b64 v[3:4], v0
	s_andn2_b64 s[48:49], s[48:49], exec
	s_mov_b32 s85, 0
	s_mov_b64 s[38:39], 0
	s_waitcnt vmcnt(0) lgkmcnt(0)
	flat_load_dword v3, v[3:4] glc
	s_waitcnt vmcnt(0) lgkmcnt(0)
	buffer_wbinvl1_vol
	v_cmp_eq_u32_e64 s[28:29], 0, v3
	s_and_b64 s[28:29], s[28:29], exec
	s_or_b64 s[48:49], s[48:49], s[28:29]
	s_and_saveexec_b64 s[50:51], s[48:49]
	s_cbranch_execz .LBB6_474
	s_branch .LBB6_473
.LBB6_479:                              ;   in Loop: Header=BB6_476 Depth=4
	s_add_i32 s85, s85, 1
	s_mov_b64 s[38:39], -1
                                        ; implicit-def: $vgpr3
	s_and_saveexec_b64 s[50:51], s[48:49]
	s_cbranch_execz .LBB6_474
	s_branch .LBB6_473
.LBB6_480:                              ;   in Loop: Header=BB6_468 Depth=3
	s_or_b64 exec, exec, s[90:91]
	s_xor_b64 s[28:29], s[92:93], -1
	s_and_saveexec_b64 s[90:91], s[28:29]
	s_xor_b64 s[28:29], exec, s[90:91]
	s_cbranch_execz .LBB6_482
; %bb.481:                              ;   in Loop: Header=BB6_468 Depth=3
	v_or_b32_e32 v30, 64, v30
	s_waitcnt lgkmcnt(0)
	ds_write_b32 v0, v3
	s_trap 2
.LBB6_482:                              ;   in Loop: Header=BB6_468 Depth=3
	s_or_b64 exec, exec, s[28:29]
.LBB6_483:                              ;   in Loop: Header=BB6_468 Depth=3
	s_or_b64 exec, exec, s[88:89]
	v_and_b32_e32 v3, 0x108, v30
	v_cmp_ne_u32_e32 vcc, s66, v3
	;;#ASMSTART
	s_wakeup
	;;#ASMEND
                                        ; implicit-def: $vgpr10_vgpr11
	s_and_saveexec_b64 s[28:29], vcc
	s_xor_b64 s[28:29], exec, s[28:29]
; %bb.484:                              ;   in Loop: Header=BB6_468 Depth=3
	v_and_b32_e32 v10, 7, v48
	v_mov_b32_e32 v11, v2
                                        ; implicit-def: $vgpr48_vgpr49
; %bb.485:                              ;   in Loop: Header=BB6_468 Depth=3
	s_andn2_saveexec_b64 s[28:29], s[28:29]
	s_cbranch_execz .LBB6_487
; %bb.486:                              ;   in Loop: Header=BB6_468 Depth=3
	buffer_load_dword v3, off, s[0:3], s33 offset:96 ; 4-byte Folded Reload
	buffer_load_dword v4, off, s[0:3], s33 offset:100 ; 4-byte Folded Reload
	;; [unrolled: 1-line block ×4, first 2 shown]
	v_and_b32_e32 v10, 7, v48
	v_ashrrev_i32_e32 v55, 31, v54
	s_waitcnt vmcnt(0)
	v_lshlrev_b64 v[5:6], 1, v[54:55]
	v_mov_b32_e32 v11, v2
	v_mad_u64_u32 v[3:4], s[88:89], v10, 24, v[3:4]
	flat_store_dwordx2 v[3:4], v[5:6] offset:8
.LBB6_487:                              ;   in Loop: Header=BB6_468 Depth=3
	s_or_b64 exec, exec, s[28:29]
	v_and_b32_e32 v3, 0x100, v30
	v_cmp_ne_u32_e32 vcc, 0, v3
	s_mov_b64 s[28:29], -1
                                        ; implicit-def: $vgpr12_vgpr13
	s_and_saveexec_b64 s[88:89], vcc
	s_cbranch_execz .LBB6_491
; %bb.488:                              ;   in Loop: Header=BB6_468 Depth=3
	buffer_load_dword v3, off, s[0:3], s33 offset:96 ; 4-byte Folded Reload
	buffer_load_dword v4, off, s[0:3], s33 offset:100 ; 4-byte Folded Reload
	;; [unrolled: 1-line block ×4, first 2 shown]
                                        ; implicit-def: $vgpr12_vgpr13
	s_waitcnt vmcnt(0)
	v_mad_u64_u32 v[14:15], s[28:29], v10, 24, v[3:4]
	v_mov_b32_e32 v3, v15
	v_mad_u64_u32 v[3:4], s[28:29], v11, 24, v[3:4]
	v_mov_b32_e32 v15, v3
	flat_load_dword v3, v[14:15]
	s_waitcnt vmcnt(0) lgkmcnt(0)
	v_cmp_ne_u32_e32 vcc, 1, v3
	v_cmp_eq_u32_e64 s[28:29], 1, v3
	s_and_saveexec_b64 s[90:91], s[28:29]
	s_cbranch_execz .LBB6_490
; %bb.489:                              ;   in Loop: Header=BB6_468 Depth=3
	flat_load_dword v3, v[14:15] offset:4 glc
	s_waitcnt vmcnt(0) lgkmcnt(0)
	v_ashrrev_i32_e32 v4, 31, v3
	v_lshrrev_b64 v[12:13], 1, v[3:4]
.LBB6_490:                              ;   in Loop: Header=BB6_468 Depth=3
	s_or_b64 exec, exec, s[90:91]
	s_orn2_b64 s[28:29], vcc, exec
.LBB6_491:                              ;   in Loop: Header=BB6_468 Depth=3
	s_or_b64 exec, exec, s[88:89]
	s_and_saveexec_b64 s[88:89], s[28:29]
	s_cbranch_execz .LBB6_493
; %bb.492:                              ;   in Loop: Header=BB6_468 Depth=3
	buffer_load_dword v5, off, s[0:3], s33 offset:76 ; 4-byte Folded Reload
	buffer_load_dword v4, off, s[0:3], s33 offset:92 ; 4-byte Folded Reload
	s_waitcnt vmcnt(0)
	v_mul_lo_u32 v3, v11, v5
	v_mul_lo_u32 v4, v10, v4
	v_mad_u64_u32 v[12:13], s[28:29], v10, v5, 0
	v_add3_u32 v13, v13, v4, v3
.LBB6_493:                              ;   in Loop: Header=BB6_468 Depth=3
	s_or_b64 exec, exec, s[88:89]
	buffer_load_dword v5, off, s[0:3], s33 offset:60 ; 4-byte Folded Reload
	buffer_load_dword v6, off, s[0:3], s33 offset:64 ; 4-byte Folded Reload
	v_lshlrev_b64 v[3:4], 1, v[12:13]
	v_cmp_eq_u32_e32 vcc, 0, v0
	v_cndmask_b32_e32 v0, v24, v25, vcc
	v_add_u32_e32 v0, v0, v0
	s_waitcnt vmcnt(0)
	v_add_co_u32_e32 v3, vcc, v5, v3
	v_addc_co_u32_e32 v4, vcc, v6, v4, vcc
	ds_write_b64 v0, v[3:4] offset:584
	v_and_b32_e32 v0, 0x2000, v30
	v_cmp_ne_u32_e32 vcc, 0, v0
	s_and_saveexec_b64 s[28:29], vcc
	s_cbranch_execz .LBB6_495
; %bb.494:                              ;   in Loop: Header=BB6_468 Depth=3
	ds_read_b64 v[3:4], v0 offset:872
	s_waitcnt lgkmcnt(0)
	v_add_co_u32_e32 v3, vcc, 1, v3
	v_addc_co_u32_e32 v4, vcc, 0, v4, vcc
	ds_write_b64 v0, v[3:4] offset:872
.LBB6_495:                              ;   in Loop: Header=BB6_468 Depth=3
	s_or_b64 exec, exec, s[28:29]
	v_mov_b32_e32 v49, v9
	v_mov_b32_e32 v48, v8
.LBB6_496:                              ;   in Loop: Header=BB6_468 Depth=3
	s_or_b64 exec, exec, s[78:79]
	s_and_saveexec_b64 s[28:29], s[10:11]
	s_cbranch_execz .LBB6_515
; %bb.497:                              ;   in Loop: Header=BB6_468 Depth=3
	s_and_saveexec_b64 s[78:79], s[56:57]
	s_xor_b64 s[78:79], exec, s[78:79]
	s_cbranch_execz .LBB6_512
; %bb.498:                              ;   in Loop: Header=BB6_468 Depth=3
	s_and_saveexec_b64 s[88:89], s[16:17]
	s_cbranch_execz .LBB6_511
; %bb.499:                              ;   in Loop: Header=BB6_468 Depth=3
	s_mov_b64 s[92:93], exec
	v_mbcnt_lo_u32_b32 v0, s92, 0
	v_mbcnt_hi_u32_b32 v0, s93, v0
	v_cmp_eq_u32_e32 vcc, 0, v0
	s_waitcnt vmcnt(0) lgkmcnt(0)
	buffer_wbinvl1_vol
	s_and_saveexec_b64 s[90:91], vcc
	s_cbranch_execz .LBB6_501
; %bb.500:                              ;   in Loop: Header=BB6_468 Depth=3
	s_bcnt1_i32_b64 s92, s[92:93]
	v_mov_b32_e32 v3, s92
	v_mov_b32_e32 v4, v2
	ds_add_u64 v0, v[3:4]
	s_trap 2
.LBB6_501:                              ;   in Loop: Header=BB6_468 Depth=3
	s_or_b64 exec, exec, s[90:91]
	s_trap 2
	ds_read_b64 v[3:4], v0
	s_waitcnt lgkmcnt(0)
	v_add_co_u32_e32 v32, vcc, v32, v16
	v_addc_co_u32_e32 v33, vcc, 0, v33, vcc
	v_cmp_lt_u64_e32 vcc, v[3:4], v[32:33]
	s_and_saveexec_b64 s[90:91], vcc
	s_cbranch_execz .LBB6_510
; %bb.502:                              ;   in Loop: Header=BB6_468 Depth=3
	s_mov_b32 s38, 0
	s_mov_b64 s[92:93], 0
                                        ; implicit-def: $sgpr94_sgpr95
                                        ; implicit-def: $sgpr30_sgpr31
	s_branch .LBB6_504
.LBB6_503:                              ;   in Loop: Header=BB6_504 Depth=4
	s_or_b64 exec, exec, s[36:37]
	s_and_b64 vcc, exec, vcc
	s_or_b64 s[92:93], vcc, s[92:93]
	s_andn2_b64 s[94:95], s[94:95], exec
	s_and_b64 vcc, s[30:31], exec
	s_or_b64 s[94:95], s[94:95], vcc
	s_andn2_b64 exec, exec, s[92:93]
	s_cbranch_execz .LBB6_508
.LBB6_504:                              ;   Parent Loop BB6_47 Depth=1
                                        ;     Parent Loop BB6_465 Depth=2
                                        ;       Parent Loop BB6_468 Depth=3
                                        ; =>      This Inner Loop Header: Depth=4
	s_add_i32 s38, s38, 1
	s_cmpk_lg_i32 s38, 0x2710
	s_cselect_b64 s[34:35], -1, 0
	s_and_b64 vcc, exec, s[34:35]
	s_cbranch_vccz .LBB6_506
; %bb.505:                              ;   in Loop: Header=BB6_504 Depth=4
	s_mov_b64 vcc, -1
	s_or_b64 s[30:31], s[30:31], exec
	s_and_saveexec_b64 s[36:37], s[34:35]
	s_cbranch_execz .LBB6_503
	s_branch .LBB6_507
.LBB6_506:                              ;   in Loop: Header=BB6_504 Depth=4
	s_trap 2
	ds_read_b64 v[3:4], v0
	s_andn2_b64 s[34:35], s[34:35], exec
	s_mov_b32 s38, 0
	s_waitcnt lgkmcnt(0)
	flat_load_dword v0, v[3:4] glc
	s_waitcnt vmcnt(0) lgkmcnt(0)
	buffer_wbinvl1_vol
	v_cmp_eq_u32_e32 vcc, 0, v0
	s_and_b64 vcc, vcc, exec
	s_or_b64 s[34:35], s[34:35], vcc
	s_mov_b64 vcc, -1
	s_or_b64 s[30:31], s[30:31], exec
	s_and_saveexec_b64 s[36:37], s[34:35]
	s_cbranch_execz .LBB6_503
.LBB6_507:                              ;   in Loop: Header=BB6_504 Depth=4
	s_sleep 1
	s_trap 2
	ds_read_b64 v[3:4], v0
	s_waitcnt lgkmcnt(0)
	s_andn2_b64 s[30:31], s[30:31], exec
	v_cmp_ge_u64_e32 vcc, v[3:4], v[32:33]
	s_orn2_b64 vcc, vcc, exec
	s_branch .LBB6_503
.LBB6_508:                              ;   in Loop: Header=BB6_468 Depth=3
	s_or_b64 exec, exec, s[92:93]
	s_and_saveexec_b64 s[92:93], s[94:95]
	s_xor_b64 s[92:93], exec, s[92:93]
	s_cbranch_execz .LBB6_510
; %bb.509:                              ;   in Loop: Header=BB6_468 Depth=3
	v_mov_b32_e32 v0, 1
	ds_write_b32 v0, v0
	s_trap 2
.LBB6_510:                              ;   in Loop: Header=BB6_468 Depth=3
	s_or_b64 exec, exec, s[90:91]
	;;#ASMSTART
	s_wakeup
	;;#ASMEND
.LBB6_511:                              ;   in Loop: Header=BB6_468 Depth=3
	s_or_b64 exec, exec, s[88:89]
.LBB6_512:                              ;   in Loop: Header=BB6_468 Depth=3
	s_andn2_saveexec_b64 s[78:79], s[78:79]
	s_cbranch_execz .LBB6_514
; %bb.513:                              ;   in Loop: Header=BB6_468 Depth=3
	s_waitcnt vmcnt(0) lgkmcnt(0)
	buffer_wbinvl1_vol
	s_barrier
.LBB6_514:                              ;   in Loop: Header=BB6_468 Depth=3
	s_or_b64 exec, exec, s[78:79]
.LBB6_515:                              ;   in Loop: Header=BB6_468 Depth=3
	s_or_b64 exec, exec, s[28:29]
	s_trap 2
	ds_read_b32 v0, v0
	v_and_b32_e32 v3, 0x4000, v30
	v_cmp_ne_u32_e32 vcc, 0, v3
	s_xor_b64 s[28:29], s[6:7], -1
	s_and_b64 s[78:79], s[28:29], vcc
	s_and_saveexec_b64 s[28:29], s[78:79]
	s_cbranch_execz .LBB6_534
; %bb.516:                              ;   in Loop: Header=BB6_468 Depth=3
	s_and_saveexec_b64 s[78:79], s[56:57]
	s_xor_b64 s[78:79], exec, s[78:79]
	s_cbranch_execz .LBB6_531
; %bb.517:                              ;   in Loop: Header=BB6_468 Depth=3
	s_and_saveexec_b64 s[88:89], s[16:17]
	s_cbranch_execz .LBB6_530
; %bb.518:                              ;   in Loop: Header=BB6_468 Depth=3
	s_mov_b64 s[92:93], exec
	v_mbcnt_lo_u32_b32 v3, s92, 0
	v_mbcnt_hi_u32_b32 v3, s93, v3
	v_cmp_eq_u32_e32 vcc, 0, v3
	s_waitcnt vmcnt(0) lgkmcnt(0)
	buffer_wbinvl1_vol
	s_and_saveexec_b64 s[90:91], vcc
	s_cbranch_execz .LBB6_520
; %bb.519:                              ;   in Loop: Header=BB6_468 Depth=3
	s_bcnt1_i32_b64 s92, s[92:93]
	v_mov_b32_e32 v3, s92
	v_mov_b32_e32 v4, v2
	ds_add_u64 v0, v[3:4]
	s_trap 2
.LBB6_520:                              ;   in Loop: Header=BB6_468 Depth=3
	s_or_b64 exec, exec, s[90:91]
	s_trap 2
	ds_read_b64 v[3:4], v0
	s_waitcnt lgkmcnt(0)
	v_add_co_u32_e32 v32, vcc, v32, v16
	v_addc_co_u32_e32 v33, vcc, 0, v33, vcc
	v_cmp_lt_u64_e32 vcc, v[3:4], v[32:33]
	s_and_saveexec_b64 s[90:91], vcc
	s_cbranch_execz .LBB6_529
; %bb.521:                              ;   in Loop: Header=BB6_468 Depth=3
	s_mov_b32 s38, 0
	s_mov_b64 s[92:93], 0
                                        ; implicit-def: $sgpr94_sgpr95
                                        ; implicit-def: $sgpr30_sgpr31
	s_branch .LBB6_523
.LBB6_522:                              ;   in Loop: Header=BB6_523 Depth=4
	s_or_b64 exec, exec, s[36:37]
	s_and_b64 vcc, exec, vcc
	s_or_b64 s[92:93], vcc, s[92:93]
	s_andn2_b64 s[94:95], s[94:95], exec
	s_and_b64 vcc, s[30:31], exec
	s_or_b64 s[94:95], s[94:95], vcc
	s_andn2_b64 exec, exec, s[92:93]
	s_cbranch_execz .LBB6_527
.LBB6_523:                              ;   Parent Loop BB6_47 Depth=1
                                        ;     Parent Loop BB6_465 Depth=2
                                        ;       Parent Loop BB6_468 Depth=3
                                        ; =>      This Inner Loop Header: Depth=4
	s_add_i32 s38, s38, 1
	s_cmpk_lg_i32 s38, 0x2710
	s_cselect_b64 s[34:35], -1, 0
	s_and_b64 vcc, exec, s[34:35]
	s_cbranch_vccz .LBB6_525
; %bb.524:                              ;   in Loop: Header=BB6_523 Depth=4
	s_mov_b64 vcc, -1
	s_or_b64 s[30:31], s[30:31], exec
	s_and_saveexec_b64 s[36:37], s[34:35]
	s_cbranch_execz .LBB6_522
	s_branch .LBB6_526
.LBB6_525:                              ;   in Loop: Header=BB6_523 Depth=4
	s_trap 2
	ds_read_b64 v[3:4], v0
	s_andn2_b64 s[34:35], s[34:35], exec
	s_mov_b32 s38, 0
	s_waitcnt lgkmcnt(0)
	flat_load_dword v3, v[3:4] glc
	s_waitcnt vmcnt(0) lgkmcnt(0)
	buffer_wbinvl1_vol
	v_cmp_eq_u32_e32 vcc, 0, v3
	s_and_b64 vcc, vcc, exec
	s_or_b64 s[34:35], s[34:35], vcc
	s_mov_b64 vcc, -1
	s_or_b64 s[30:31], s[30:31], exec
	s_and_saveexec_b64 s[36:37], s[34:35]
	s_cbranch_execz .LBB6_522
.LBB6_526:                              ;   in Loop: Header=BB6_523 Depth=4
	s_sleep 1
	s_trap 2
	ds_read_b64 v[3:4], v0
	s_waitcnt lgkmcnt(0)
	s_andn2_b64 s[30:31], s[30:31], exec
	v_cmp_ge_u64_e32 vcc, v[3:4], v[32:33]
	s_orn2_b64 vcc, vcc, exec
	s_branch .LBB6_522
.LBB6_527:                              ;   in Loop: Header=BB6_468 Depth=3
	s_or_b64 exec, exec, s[92:93]
	s_and_saveexec_b64 s[92:93], s[94:95]
	s_xor_b64 s[92:93], exec, s[92:93]
	s_cbranch_execz .LBB6_529
; %bb.528:                              ;   in Loop: Header=BB6_468 Depth=3
	v_mov_b32_e32 v3, 1
	ds_write_b32 v0, v3
	s_trap 2
.LBB6_529:                              ;   in Loop: Header=BB6_468 Depth=3
	s_or_b64 exec, exec, s[90:91]
	;;#ASMSTART
	s_wakeup
	;;#ASMEND
.LBB6_530:                              ;   in Loop: Header=BB6_468 Depth=3
	s_or_b64 exec, exec, s[88:89]
.LBB6_531:                              ;   in Loop: Header=BB6_468 Depth=3
	s_andn2_saveexec_b64 s[78:79], s[78:79]
	s_cbranch_execz .LBB6_533
; %bb.532:                              ;   in Loop: Header=BB6_468 Depth=3
	s_waitcnt vmcnt(0) lgkmcnt(0)
	buffer_wbinvl1_vol
	s_barrier
.LBB6_533:                              ;   in Loop: Header=BB6_468 Depth=3
	s_or_b64 exec, exec, s[78:79]
.LBB6_534:                              ;   in Loop: Header=BB6_468 Depth=3
	s_or_b64 exec, exec, s[28:29]
	s_trap 2
	s_waitcnt lgkmcnt(0)
	ds_read_b64 v[46:47], v0
	s_waitcnt lgkmcnt(0)
	v_cmp_eq_u64_e32 vcc, 0, v[46:47]
	s_cbranch_vccnz .LBB6_542
; %bb.535:                              ;   in Loop: Header=BB6_468 Depth=3
	s_trap 2
	ds_read_b64 v[44:45], v0
	s_waitcnt lgkmcnt(0)
	v_cmp_eq_u64_e32 vcc, 0, v[44:45]
	s_cbranch_vccnz .LBB6_542
; %bb.536:                              ;   in Loop: Header=BB6_468 Depth=3
	s_mov_b64 s[28:29], -1
	s_and_saveexec_b64 s[78:79], s[22:23]
	s_cbranch_execz .LBB6_538
; %bb.537:                              ;   in Loop: Header=BB6_468 Depth=3
	ds_read_b32 v3, v0 offset:720
	s_waitcnt lgkmcnt(0)
	v_and_b32_e32 v3, 15, v3
	v_cmp_eq_u32_e32 vcc, 0, v3
	s_orn2_b64 s[28:29], vcc, exec
.LBB6_538:                              ;   in Loop: Header=BB6_468 Depth=3
	s_or_b64 exec, exec, s[78:79]
	s_and_saveexec_b64 s[78:79], s[20:21]
	s_cbranch_execz .LBB6_540
; %bb.539:                              ;   in Loop: Header=BB6_468 Depth=3
	ds_read_b32 v3, v0 offset:784
	s_waitcnt lgkmcnt(0)
	v_and_b32_e32 v3, 15, v3
	v_cmp_eq_u32_e32 vcc, 0, v3
	s_and_b64 s[88:89], s[28:29], vcc
	s_andn2_b64 s[28:29], s[28:29], exec
	s_and_b64 s[88:89], s[88:89], exec
	s_or_b64 s[28:29], s[28:29], s[88:89]
.LBB6_540:                              ;   in Loop: Header=BB6_468 Depth=3
	s_or_b64 exec, exec, s[78:79]
	v_cmp_eq_u32_e32 vcc, 0, v0
	s_xor_b64 s[28:29], s[28:29], -1
	v_cndmask_b32_e32 v3, 0, v54, vcc
	v_cndmask_b32_e64 v0, 0, 1, s[28:29]
	v_lshlrev_b32_e32 v41, 1, v3
	s_mov_b64 s[88:89], -1
	v_cmp_ne_u32_e32 vcc, 0, v0
	v_mov_b32_e32 v14, 0
	s_cbranch_vccz .LBB6_547
; %bb.541:                              ;   in Loop: Header=BB6_468 Depth=3
	s_waitcnt vmcnt(0)
	v_mov_b32_e32 v4, v56
	s_and_saveexec_b64 s[28:29], s[88:89]
	s_cbranch_execnz .LBB6_750
	s_branch .LBB6_830
.LBB6_542:                              ;   in Loop: Header=BB6_468 Depth=3
	s_mov_b64 s[28:29], 0
	s_and_saveexec_b64 s[78:79], s[10:11]
	s_cbranch_execnz .LBB6_831
.LBB6_543:                              ;   in Loop: Header=BB6_468 Depth=3
	s_or_b64 exec, exec, s[78:79]
                                        ; implicit-def: $vgpr0
	s_and_saveexec_b64 s[78:79], s[24:25]
	s_xor_b64 s[78:79], exec, s[78:79]
	s_cbranch_execz .LBB6_849
.LBB6_544:                              ;   in Loop: Header=BB6_468 Depth=3
	v_and_b32_e32 v3, 16, v30
	v_cmp_ne_u32_e32 vcc, 0, v3
	v_and_b32_e32 v0, 16, v30
	s_and_b64 s[88:89], vcc, s[28:29]
	s_and_saveexec_b64 s[28:29], s[88:89]
	s_cbranch_execz .LBB6_546
; %bb.545:                              ;   in Loop: Header=BB6_468 Depth=3
	v_mov_b32_e32 v0, 1
	s_waitcnt vmcnt(0) lgkmcnt(0)
	buffer_wbinvl1_vol
.LBB6_546:                              ;   in Loop: Header=BB6_468 Depth=3
	s_or_b64 exec, exec, s[28:29]
	s_andn2_saveexec_b64 s[28:29], s[78:79]
	s_cbranch_execz .LBB6_868
	s_branch .LBB6_850
.LBB6_547:                              ;   in Loop: Header=BB6_468 Depth=3
	v_ashrrev_i32_e32 v0, 31, v41
	v_lshrrev_b32_e32 v0, 21, v0
	v_add_u32_e32 v0, v41, v0
	v_ashrrev_i32_e32 v61, 11, v0
	buffer_load_dword v0, off, s[0:3], s33 offset:132 ; 4-byte Folded Reload
	s_waitcnt vmcnt(0)
	v_sub_u32_e32 v60, v61, v0
	v_cmp_lt_i32_e32 vcc, 0, v60
	s_and_saveexec_b64 s[28:29], vcc
	s_cbranch_execz .LBB6_679
; %bb.548:                              ;   in Loop: Header=BB6_468 Depth=3
	s_trap 2
	buffer_load_dword v6, off, s[0:3], s33 offset:168 ; 4-byte Folded Reload
	ds_read_b64 v[4:5], v0
	ds_read_b32 v0, v0
	s_mov_b64 s[78:79], 0
	s_waitcnt lgkmcnt(0)
	v_lshlrev_b32_e32 v62, 16, v0
	s_waitcnt vmcnt(0)
	v_add_co_u32_e32 v55, vcc, v46, v6
	v_addc_co_u32_e32 v56, vcc, 0, v47, vcc
	v_add_co_u32_e32 v18, vcc, v4, v6
	v_addc_co_u32_e32 v19, vcc, 0, v5, vcc
	;; [unrolled: 2-line block ×3, first 2 shown]
	s_branch .LBB6_550
.LBB6_549:                              ;   in Loop: Header=BB6_550 Depth=4
	s_or_b64 exec, exec, s[88:89]
	v_lshrrev_b32_e32 v6, 16, v6
	v_and_or_b32 v11, v12, s65, v6
	v_lshrrev_b32_e32 v6, 16, v35
	v_and_or_b32 v10, v7, s65, v6
	v_lshrrev_b32_e32 v6, 16, v13
	v_and_or_b32 v12, v14, s65, v6
	v_lshrrev_b32_e32 v6, 16, v17
	v_add_co_u32_e32 v55, vcc, v55, v36
	v_and_or_b32 v13, v15, s65, v6
	v_lshrrev_b32_e32 v6, 16, v27
	v_addc_co_u32_e32 v56, vcc, 0, v56, vcc
	v_and_or_b32 v7, v9, s65, v6
	v_lshrrev_b32_e32 v6, 16, v26
	v_add_co_u32_e32 v18, vcc, v18, v36
	v_and_or_b32 v6, v8, s65, v6
	v_lshrrev_b32_e32 v8, 16, v34
	v_addc_co_u32_e32 v19, vcc, 0, v19, vcc
	v_sub_u32_e32 v60, v60, v16
	v_and_or_b32 v8, v4, s65, v8
	v_lshrrev_b32_e32 v4, 16, v5
	v_cmp_gt_i32_e32 vcc, 1, v60
	v_and_or_b32 v9, v0, s65, v4
	global_store_dwordx4 v[57:58], v[10:13], off glc slc
	global_store_dwordx4 v[57:58], v[6:9], off offset:1024 glc slc
	s_or_b64 s[78:79], vcc, s[78:79]
	v_add_co_u32_e32 v57, vcc, v57, v36
	v_addc_co_u32_e32 v58, vcc, 0, v58, vcc
	s_andn2_b64 exec, exec, s[78:79]
	s_cbranch_execz .LBB6_678
.LBB6_550:                              ;   Parent Loop BB6_47 Depth=1
                                        ;     Parent Loop BB6_465 Depth=2
                                        ;       Parent Loop BB6_468 Depth=3
                                        ; =>      This Inner Loop Header: Depth=4
	global_load_dwordx4 v[8:11], v[55:56], off glc slc
                                        ; implicit-def: $vgpr7
	s_waitcnt vmcnt(0)
	v_lshlrev_b32_e32 v0, 16, v8
	v_mul_f32_e32 v0, v62, v0
	v_and_b32_e32 v4, 0x7f800000, v0
	v_cmp_ne_u32_e32 vcc, s55, v4
	s_and_saveexec_b64 s[88:89], vcc
	s_xor_b64 s[88:89], exec, s[88:89]
; %bb.551:                              ;   in Loop: Header=BB6_550 Depth=4
	v_bfe_u32 v4, v0, 16, 1
	v_add3_u32 v7, v0, v4, s64
                                        ; implicit-def: $vgpr0
; %bb.552:                              ;   in Loop: Header=BB6_550 Depth=4
	s_andn2_saveexec_b64 s[88:89], s[88:89]
; %bb.553:                              ;   in Loop: Header=BB6_550 Depth=4
	v_or_b32_e32 v4, 0x10000, v0
	v_cmp_eq_u32_sdwa vcc, v0, v2 src0_sel:WORD_0 src1_sel:DWORD
	v_cndmask_b32_e32 v7, v4, v0, vcc
; %bb.554:                              ;   in Loop: Header=BB6_550 Depth=4
	s_or_b64 exec, exec, s[88:89]
	v_and_b32_e32 v0, 0xffff0000, v8
	v_mul_f32_e32 v0, v62, v0
	v_and_b32_e32 v4, 0x7f800000, v0
	v_cmp_ne_u32_e32 vcc, s55, v4
                                        ; implicit-def: $vgpr27
	s_and_saveexec_b64 s[88:89], vcc
	s_xor_b64 s[88:89], exec, s[88:89]
; %bb.555:                              ;   in Loop: Header=BB6_550 Depth=4
	v_bfe_u32 v4, v0, 16, 1
	v_add3_u32 v27, v0, v4, s64
                                        ; implicit-def: $vgpr0
; %bb.556:                              ;   in Loop: Header=BB6_550 Depth=4
	s_andn2_saveexec_b64 s[88:89], s[88:89]
; %bb.557:                              ;   in Loop: Header=BB6_550 Depth=4
	v_or_b32_e32 v4, 0x10000, v0
	v_cmp_eq_u32_sdwa vcc, v0, v2 src0_sel:WORD_0 src1_sel:DWORD
	v_cndmask_b32_e32 v27, v4, v0, vcc
; %bb.558:                              ;   in Loop: Header=BB6_550 Depth=4
	s_or_b64 exec, exec, s[88:89]
	v_lshlrev_b32_e32 v0, 16, v9
	v_mul_f32_e32 v0, v62, v0
	v_and_b32_e32 v4, 0x7f800000, v0
	v_cmp_ne_u32_e32 vcc, s55, v4
                                        ; implicit-def: $vgpr6
	s_and_saveexec_b64 s[88:89], vcc
	s_xor_b64 s[88:89], exec, s[88:89]
; %bb.559:                              ;   in Loop: Header=BB6_550 Depth=4
	v_bfe_u32 v4, v0, 16, 1
	v_add3_u32 v6, v0, v4, s64
                                        ; implicit-def: $vgpr0
; %bb.560:                              ;   in Loop: Header=BB6_550 Depth=4
	s_andn2_saveexec_b64 s[88:89], s[88:89]
; %bb.561:                              ;   in Loop: Header=BB6_550 Depth=4
	v_or_b32_e32 v4, 0x10000, v0
	v_cmp_eq_u32_sdwa vcc, v0, v2 src0_sel:WORD_0 src1_sel:DWORD
	v_cndmask_b32_e32 v6, v4, v0, vcc
; %bb.562:                              ;   in Loop: Header=BB6_550 Depth=4
	s_or_b64 exec, exec, s[88:89]
	v_and_b32_e32 v0, 0xffff0000, v9
	v_mul_f32_e32 v0, v62, v0
	v_and_b32_e32 v4, 0x7f800000, v0
	v_cmp_ne_u32_e32 vcc, s55, v4
                                        ; implicit-def: $vgpr17
	s_and_saveexec_b64 s[88:89], vcc
	s_xor_b64 s[88:89], exec, s[88:89]
; %bb.563:                              ;   in Loop: Header=BB6_550 Depth=4
	v_bfe_u32 v4, v0, 16, 1
	v_add3_u32 v17, v0, v4, s64
                                        ; implicit-def: $vgpr0
; %bb.564:                              ;   in Loop: Header=BB6_550 Depth=4
	s_andn2_saveexec_b64 s[88:89], s[88:89]
; %bb.565:                              ;   in Loop: Header=BB6_550 Depth=4
	v_or_b32_e32 v4, 0x10000, v0
	v_cmp_eq_u32_sdwa vcc, v0, v2 src0_sel:WORD_0 src1_sel:DWORD
	v_cndmask_b32_e32 v17, v4, v0, vcc
; %bb.566:                              ;   in Loop: Header=BB6_550 Depth=4
	s_or_b64 exec, exec, s[88:89]
	v_lshlrev_b32_e32 v0, 16, v10
	v_mul_f32_e32 v0, v62, v0
	v_and_b32_e32 v4, 0x7f800000, v0
	v_cmp_ne_u32_e32 vcc, s55, v4
                                        ; implicit-def: $vgpr26
	s_and_saveexec_b64 s[88:89], vcc
	s_xor_b64 s[88:89], exec, s[88:89]
; %bb.567:                              ;   in Loop: Header=BB6_550 Depth=4
	v_bfe_u32 v4, v0, 16, 1
	v_add3_u32 v26, v0, v4, s64
                                        ; implicit-def: $vgpr0
; %bb.568:                              ;   in Loop: Header=BB6_550 Depth=4
	s_andn2_saveexec_b64 s[88:89], s[88:89]
; %bb.569:                              ;   in Loop: Header=BB6_550 Depth=4
	v_or_b32_e32 v4, 0x10000, v0
	v_cmp_eq_u32_sdwa vcc, v0, v2 src0_sel:WORD_0 src1_sel:DWORD
	v_cndmask_b32_e32 v26, v4, v0, vcc
; %bb.570:                              ;   in Loop: Header=BB6_550 Depth=4
	s_or_b64 exec, exec, s[88:89]
	v_and_b32_e32 v0, 0xffff0000, v10
	v_mul_f32_e32 v0, v62, v0
	v_and_b32_e32 v4, 0x7f800000, v0
	v_cmp_ne_u32_e32 vcc, s55, v4
                                        ; implicit-def: $vgpr39
	s_and_saveexec_b64 s[88:89], vcc
	s_xor_b64 s[88:89], exec, s[88:89]
; %bb.571:                              ;   in Loop: Header=BB6_550 Depth=4
	v_bfe_u32 v4, v0, 16, 1
	v_add3_u32 v39, v0, v4, s64
                                        ; implicit-def: $vgpr0
; %bb.572:                              ;   in Loop: Header=BB6_550 Depth=4
	s_andn2_saveexec_b64 s[88:89], s[88:89]
; %bb.573:                              ;   in Loop: Header=BB6_550 Depth=4
	v_or_b32_e32 v4, 0x10000, v0
	v_cmp_eq_u32_sdwa vcc, v0, v2 src0_sel:WORD_0 src1_sel:DWORD
	v_cndmask_b32_e32 v39, v4, v0, vcc
; %bb.574:                              ;   in Loop: Header=BB6_550 Depth=4
	s_or_b64 exec, exec, s[88:89]
	v_lshlrev_b32_e32 v0, 16, v11
	v_mul_f32_e32 v0, v62, v0
	v_and_b32_e32 v4, 0x7f800000, v0
	v_cmp_ne_u32_e32 vcc, s55, v4
                                        ; implicit-def: $vgpr37
	s_and_saveexec_b64 s[88:89], vcc
	s_xor_b64 s[88:89], exec, s[88:89]
; %bb.575:                              ;   in Loop: Header=BB6_550 Depth=4
	v_bfe_u32 v4, v0, 16, 1
	v_add3_u32 v37, v0, v4, s64
                                        ; implicit-def: $vgpr0
; %bb.576:                              ;   in Loop: Header=BB6_550 Depth=4
	s_andn2_saveexec_b64 s[88:89], s[88:89]
; %bb.577:                              ;   in Loop: Header=BB6_550 Depth=4
	v_or_b32_e32 v4, 0x10000, v0
	v_cmp_eq_u32_sdwa vcc, v0, v2 src0_sel:WORD_0 src1_sel:DWORD
	v_cndmask_b32_e32 v37, v4, v0, vcc
; %bb.578:                              ;   in Loop: Header=BB6_550 Depth=4
	s_or_b64 exec, exec, s[88:89]
	v_and_b32_e32 v0, 0xffff0000, v11
	v_mul_f32_e32 v0, v62, v0
	v_and_b32_e32 v4, 0x7f800000, v0
	v_cmp_ne_u32_e32 vcc, s55, v4
                                        ; implicit-def: $vgpr34
	s_and_saveexec_b64 s[88:89], vcc
	s_xor_b64 s[88:89], exec, s[88:89]
; %bb.579:                              ;   in Loop: Header=BB6_550 Depth=4
	v_bfe_u32 v4, v0, 16, 1
	v_add3_u32 v34, v0, v4, s64
                                        ; implicit-def: $vgpr0
; %bb.580:                              ;   in Loop: Header=BB6_550 Depth=4
	s_andn2_saveexec_b64 s[88:89], s[88:89]
; %bb.581:                              ;   in Loop: Header=BB6_550 Depth=4
	v_or_b32_e32 v4, 0x10000, v0
	v_cmp_eq_u32_sdwa vcc, v0, v2 src0_sel:WORD_0 src1_sel:DWORD
	v_cndmask_b32_e32 v34, v4, v0, vcc
; %bb.582:                              ;   in Loop: Header=BB6_550 Depth=4
	s_or_b64 exec, exec, s[88:89]
	global_load_dwordx4 v[8:11], v[55:56], off offset:1024 glc slc
                                        ; implicit-def: $vgpr38
	s_waitcnt vmcnt(0)
	v_lshlrev_b32_e32 v0, 16, v8
	v_mul_f32_e32 v0, v62, v0
	v_and_b32_e32 v4, 0x7f800000, v0
	v_cmp_ne_u32_e32 vcc, s55, v4
	s_and_saveexec_b64 s[88:89], vcc
	s_xor_b64 s[88:89], exec, s[88:89]
; %bb.583:                              ;   in Loop: Header=BB6_550 Depth=4
	v_bfe_u32 v4, v0, 16, 1
	v_add3_u32 v38, v0, v4, s64
                                        ; implicit-def: $vgpr0
; %bb.584:                              ;   in Loop: Header=BB6_550 Depth=4
	s_andn2_saveexec_b64 s[88:89], s[88:89]
; %bb.585:                              ;   in Loop: Header=BB6_550 Depth=4
	v_or_b32_e32 v4, 0x10000, v0
	v_cmp_eq_u32_sdwa vcc, v0, v2 src0_sel:WORD_0 src1_sel:DWORD
	v_cndmask_b32_e32 v38, v4, v0, vcc
; %bb.586:                              ;   in Loop: Header=BB6_550 Depth=4
	s_or_b64 exec, exec, s[88:89]
	v_and_b32_e32 v0, 0xffff0000, v8
	v_mul_f32_e32 v0, v62, v0
	v_and_b32_e32 v4, 0x7f800000, v0
	v_cmp_ne_u32_e32 vcc, s55, v4
                                        ; implicit-def: $vgpr52
	s_and_saveexec_b64 s[88:89], vcc
	s_xor_b64 s[88:89], exec, s[88:89]
; %bb.587:                              ;   in Loop: Header=BB6_550 Depth=4
	v_bfe_u32 v4, v0, 16, 1
	v_add3_u32 v52, v0, v4, s64
                                        ; implicit-def: $vgpr0
; %bb.588:                              ;   in Loop: Header=BB6_550 Depth=4
	s_andn2_saveexec_b64 s[88:89], s[88:89]
; %bb.589:                              ;   in Loop: Header=BB6_550 Depth=4
	v_or_b32_e32 v4, 0x10000, v0
	v_cmp_eq_u32_sdwa vcc, v0, v2 src0_sel:WORD_0 src1_sel:DWORD
	v_cndmask_b32_e32 v52, v4, v0, vcc
; %bb.590:                              ;   in Loop: Header=BB6_550 Depth=4
	s_or_b64 exec, exec, s[88:89]
	v_lshlrev_b32_e32 v0, 16, v9
	v_mul_f32_e32 v0, v62, v0
	v_and_b32_e32 v4, 0x7f800000, v0
	v_cmp_ne_u32_e32 vcc, s55, v4
                                        ; implicit-def: $vgpr53
	s_and_saveexec_b64 s[88:89], vcc
	s_xor_b64 s[88:89], exec, s[88:89]
; %bb.591:                              ;   in Loop: Header=BB6_550 Depth=4
	v_bfe_u32 v4, v0, 16, 1
	v_add3_u32 v53, v0, v4, s64
                                        ; implicit-def: $vgpr0
; %bb.592:                              ;   in Loop: Header=BB6_550 Depth=4
	s_andn2_saveexec_b64 s[88:89], s[88:89]
; %bb.593:                              ;   in Loop: Header=BB6_550 Depth=4
	v_or_b32_e32 v4, 0x10000, v0
	v_cmp_eq_u32_sdwa vcc, v0, v2 src0_sel:WORD_0 src1_sel:DWORD
	v_cndmask_b32_e32 v53, v4, v0, vcc
; %bb.594:                              ;   in Loop: Header=BB6_550 Depth=4
	s_or_b64 exec, exec, s[88:89]
	v_and_b32_e32 v0, 0xffff0000, v9
	v_mul_f32_e32 v0, v62, v0
	v_and_b32_e32 v4, 0x7f800000, v0
	v_cmp_ne_u32_e32 vcc, s55, v4
                                        ; implicit-def: $vgpr50
	s_and_saveexec_b64 s[88:89], vcc
	s_xor_b64 s[88:89], exec, s[88:89]
; %bb.595:                              ;   in Loop: Header=BB6_550 Depth=4
	v_bfe_u32 v4, v0, 16, 1
	v_add3_u32 v50, v0, v4, s64
                                        ; implicit-def: $vgpr0
; %bb.596:                              ;   in Loop: Header=BB6_550 Depth=4
	s_andn2_saveexec_b64 s[88:89], s[88:89]
; %bb.597:                              ;   in Loop: Header=BB6_550 Depth=4
	v_or_b32_e32 v4, 0x10000, v0
	v_cmp_eq_u32_sdwa vcc, v0, v2 src0_sel:WORD_0 src1_sel:DWORD
	v_cndmask_b32_e32 v50, v4, v0, vcc
; %bb.598:                              ;   in Loop: Header=BB6_550 Depth=4
	s_or_b64 exec, exec, s[88:89]
	v_lshlrev_b32_e32 v0, 16, v10
	v_mul_f32_e32 v0, v62, v0
	v_and_b32_e32 v4, 0x7f800000, v0
	v_cmp_ne_u32_e32 vcc, s55, v4
                                        ; implicit-def: $vgpr51
	s_and_saveexec_b64 s[88:89], vcc
	s_xor_b64 s[88:89], exec, s[88:89]
; %bb.599:                              ;   in Loop: Header=BB6_550 Depth=4
	v_bfe_u32 v4, v0, 16, 1
	v_add3_u32 v51, v0, v4, s64
                                        ; implicit-def: $vgpr0
; %bb.600:                              ;   in Loop: Header=BB6_550 Depth=4
	s_andn2_saveexec_b64 s[88:89], s[88:89]
; %bb.601:                              ;   in Loop: Header=BB6_550 Depth=4
	v_or_b32_e32 v4, 0x10000, v0
	v_cmp_eq_u32_sdwa vcc, v0, v2 src0_sel:WORD_0 src1_sel:DWORD
	v_cndmask_b32_e32 v51, v4, v0, vcc
; %bb.602:                              ;   in Loop: Header=BB6_550 Depth=4
	s_or_b64 exec, exec, s[88:89]
	v_and_b32_e32 v0, 0xffff0000, v10
	v_mul_f32_e32 v0, v62, v0
	v_and_b32_e32 v4, 0x7f800000, v0
	v_cmp_ne_u32_e32 vcc, s55, v4
                                        ; implicit-def: $vgpr4
	s_and_saveexec_b64 s[88:89], vcc
	s_xor_b64 s[88:89], exec, s[88:89]
; %bb.603:                              ;   in Loop: Header=BB6_550 Depth=4
	v_bfe_u32 v4, v0, 16, 1
	v_add3_u32 v4, v0, v4, s64
                                        ; implicit-def: $vgpr0
; %bb.604:                              ;   in Loop: Header=BB6_550 Depth=4
	s_andn2_saveexec_b64 s[88:89], s[88:89]
; %bb.605:                              ;   in Loop: Header=BB6_550 Depth=4
	v_or_b32_e32 v4, 0x10000, v0
	v_cmp_eq_u32_sdwa vcc, v0, v2 src0_sel:WORD_0 src1_sel:DWORD
	v_cndmask_b32_e32 v4, v4, v0, vcc
; %bb.606:                              ;   in Loop: Header=BB6_550 Depth=4
	s_or_b64 exec, exec, s[88:89]
	v_lshlrev_b32_e32 v0, 16, v11
	v_mul_f32_e32 v0, v62, v0
	v_and_b32_e32 v5, 0x7f800000, v0
	v_cmp_ne_u32_e32 vcc, s55, v5
                                        ; implicit-def: $vgpr5
	s_and_saveexec_b64 s[88:89], vcc
	s_xor_b64 s[88:89], exec, s[88:89]
; %bb.607:                              ;   in Loop: Header=BB6_550 Depth=4
	v_bfe_u32 v5, v0, 16, 1
	v_add3_u32 v5, v0, v5, s64
                                        ; implicit-def: $vgpr0
; %bb.608:                              ;   in Loop: Header=BB6_550 Depth=4
	s_andn2_saveexec_b64 s[88:89], s[88:89]
; %bb.609:                              ;   in Loop: Header=BB6_550 Depth=4
	v_or_b32_e32 v5, 0x10000, v0
	v_cmp_eq_u32_sdwa vcc, v0, v2 src0_sel:WORD_0 src1_sel:DWORD
	v_cndmask_b32_e32 v5, v5, v0, vcc
; %bb.610:                              ;   in Loop: Header=BB6_550 Depth=4
	s_or_b64 exec, exec, s[88:89]
	v_and_b32_e32 v0, 0xffff0000, v11
	v_mul_f32_e32 v8, v62, v0
	v_and_b32_e32 v0, 0x7f800000, v8
	v_cmp_ne_u32_e32 vcc, s55, v0
                                        ; implicit-def: $vgpr0
	s_and_saveexec_b64 s[88:89], vcc
	s_xor_b64 s[88:89], exec, s[88:89]
; %bb.611:                              ;   in Loop: Header=BB6_550 Depth=4
	v_bfe_u32 v0, v8, 16, 1
	v_add3_u32 v0, v8, v0, s64
                                        ; implicit-def: $vgpr8
; %bb.612:                              ;   in Loop: Header=BB6_550 Depth=4
	s_andn2_saveexec_b64 s[88:89], s[88:89]
; %bb.613:                              ;   in Loop: Header=BB6_550 Depth=4
	v_or_b32_e32 v0, 0x10000, v8
	v_cmp_eq_u32_sdwa vcc, v8, v2 src0_sel:WORD_0 src1_sel:DWORD
	v_cndmask_b32_e32 v0, v0, v8, vcc
; %bb.614:                              ;   in Loop: Header=BB6_550 Depth=4
	s_or_b64 exec, exec, s[88:89]
	global_load_dwordx4 v[12:15], v[18:19], off glc slc
	global_load_dwordx4 v[8:11], v[18:19], off offset:1024 glc slc
	v_and_b32_e32 v7, 0xffff0000, v7
                                        ; implicit-def: $vgpr35
	s_waitcnt vmcnt(1)
	v_lshlrev_b32_e32 v20, 16, v12
	v_add_f32_e32 v7, v7, v20
	v_and_b32_e32 v20, 0x7f800000, v7
	v_cmp_ne_u32_e32 vcc, s55, v20
	s_and_saveexec_b64 s[88:89], vcc
	s_xor_b64 s[88:89], exec, s[88:89]
; %bb.615:                              ;   in Loop: Header=BB6_550 Depth=4
	v_bfe_u32 v20, v7, 16, 1
	v_add3_u32 v35, v7, v20, s64
                                        ; implicit-def: $vgpr7
; %bb.616:                              ;   in Loop: Header=BB6_550 Depth=4
	s_andn2_saveexec_b64 s[88:89], s[88:89]
; %bb.617:                              ;   in Loop: Header=BB6_550 Depth=4
	v_or_b32_e32 v20, 0x10000, v7
	v_cmp_eq_u32_sdwa vcc, v7, v2 src0_sel:WORD_0 src1_sel:DWORD
	v_cndmask_b32_e32 v35, v20, v7, vcc
; %bb.618:                              ;   in Loop: Header=BB6_550 Depth=4
	s_or_b64 exec, exec, s[88:89]
	v_and_b32_e32 v7, 0xffff0000, v12
	v_and_b32_e32 v12, 0xffff0000, v27
	v_add_f32_e32 v12, v12, v7
	v_and_b32_e32 v7, 0x7f800000, v12
	v_cmp_ne_u32_e32 vcc, s55, v7
                                        ; implicit-def: $vgpr7
	s_and_saveexec_b64 s[88:89], vcc
	s_xor_b64 s[88:89], exec, s[88:89]
; %bb.619:                              ;   in Loop: Header=BB6_550 Depth=4
	v_bfe_u32 v7, v12, 16, 1
	v_add3_u32 v7, v12, v7, s64
                                        ; implicit-def: $vgpr12
; %bb.620:                              ;   in Loop: Header=BB6_550 Depth=4
	s_andn2_saveexec_b64 s[88:89], s[88:89]
; %bb.621:                              ;   in Loop: Header=BB6_550 Depth=4
	v_or_b32_e32 v7, 0x10000, v12
	v_cmp_eq_u32_sdwa vcc, v12, v2 src0_sel:WORD_0 src1_sel:DWORD
	v_cndmask_b32_e32 v7, v7, v12, vcc
; %bb.622:                              ;   in Loop: Header=BB6_550 Depth=4
	s_or_b64 exec, exec, s[88:89]
	v_and_b32_e32 v6, 0xffff0000, v6
	v_lshlrev_b32_e32 v12, 16, v13
	v_add_f32_e32 v12, v6, v12
	v_and_b32_e32 v6, 0x7f800000, v12
	v_cmp_ne_u32_e32 vcc, s55, v6
                                        ; implicit-def: $vgpr6
	s_and_saveexec_b64 s[88:89], vcc
	s_xor_b64 s[88:89], exec, s[88:89]
; %bb.623:                              ;   in Loop: Header=BB6_550 Depth=4
	v_bfe_u32 v6, v12, 16, 1
	v_add3_u32 v6, v12, v6, s64
                                        ; implicit-def: $vgpr12
; %bb.624:                              ;   in Loop: Header=BB6_550 Depth=4
	s_andn2_saveexec_b64 s[88:89], s[88:89]
; %bb.625:                              ;   in Loop: Header=BB6_550 Depth=4
	v_or_b32_e32 v6, 0x10000, v12
	v_cmp_eq_u32_sdwa vcc, v12, v2 src0_sel:WORD_0 src1_sel:DWORD
	v_cndmask_b32_e32 v6, v6, v12, vcc
; %bb.626:                              ;   in Loop: Header=BB6_550 Depth=4
	s_or_b64 exec, exec, s[88:89]
	v_and_b32_e32 v12, 0xffff0000, v13
	v_and_b32_e32 v13, 0xffff0000, v17
	v_add_f32_e32 v13, v13, v12
	v_and_b32_e32 v12, 0x7f800000, v13
	v_cmp_ne_u32_e32 vcc, s55, v12
                                        ; implicit-def: $vgpr12
	s_and_saveexec_b64 s[88:89], vcc
	s_xor_b64 s[88:89], exec, s[88:89]
; %bb.627:                              ;   in Loop: Header=BB6_550 Depth=4
	v_bfe_u32 v12, v13, 16, 1
	v_add3_u32 v12, v13, v12, s64
                                        ; implicit-def: $vgpr13
; %bb.628:                              ;   in Loop: Header=BB6_550 Depth=4
	s_andn2_saveexec_b64 s[88:89], s[88:89]
; %bb.629:                              ;   in Loop: Header=BB6_550 Depth=4
	v_or_b32_e32 v12, 0x10000, v13
	v_cmp_eq_u32_sdwa vcc, v13, v2 src0_sel:WORD_0 src1_sel:DWORD
	v_cndmask_b32_e32 v12, v12, v13, vcc
; %bb.630:                              ;   in Loop: Header=BB6_550 Depth=4
	s_or_b64 exec, exec, s[88:89]
	v_and_b32_e32 v13, 0xffff0000, v26
	v_lshlrev_b32_e32 v17, 16, v14
	v_add_f32_e32 v17, v13, v17
	v_and_b32_e32 v13, 0x7f800000, v17
	v_cmp_ne_u32_e32 vcc, s55, v13
                                        ; implicit-def: $vgpr13
	s_and_saveexec_b64 s[88:89], vcc
	s_xor_b64 s[88:89], exec, s[88:89]
; %bb.631:                              ;   in Loop: Header=BB6_550 Depth=4
	v_bfe_u32 v13, v17, 16, 1
	v_add3_u32 v13, v17, v13, s64
                                        ; implicit-def: $vgpr17
; %bb.632:                              ;   in Loop: Header=BB6_550 Depth=4
	s_andn2_saveexec_b64 s[88:89], s[88:89]
; %bb.633:                              ;   in Loop: Header=BB6_550 Depth=4
	v_or_b32_e32 v13, 0x10000, v17
	v_cmp_eq_u32_sdwa vcc, v17, v2 src0_sel:WORD_0 src1_sel:DWORD
	v_cndmask_b32_e32 v13, v13, v17, vcc
; %bb.634:                              ;   in Loop: Header=BB6_550 Depth=4
	s_or_b64 exec, exec, s[88:89]
	v_and_b32_e32 v14, 0xffff0000, v14
	v_and_b32_e32 v17, 0xffff0000, v39
	v_add_f32_e32 v17, v17, v14
	v_and_b32_e32 v14, 0x7f800000, v17
	v_cmp_ne_u32_e32 vcc, s55, v14
                                        ; implicit-def: $vgpr14
	s_and_saveexec_b64 s[88:89], vcc
	s_xor_b64 s[88:89], exec, s[88:89]
; %bb.635:                              ;   in Loop: Header=BB6_550 Depth=4
	v_bfe_u32 v14, v17, 16, 1
	v_add3_u32 v14, v17, v14, s64
                                        ; implicit-def: $vgpr17
; %bb.636:                              ;   in Loop: Header=BB6_550 Depth=4
	s_andn2_saveexec_b64 s[88:89], s[88:89]
; %bb.637:                              ;   in Loop: Header=BB6_550 Depth=4
	v_or_b32_e32 v14, 0x10000, v17
	v_cmp_eq_u32_sdwa vcc, v17, v2 src0_sel:WORD_0 src1_sel:DWORD
	v_cndmask_b32_e32 v14, v14, v17, vcc
; %bb.638:                              ;   in Loop: Header=BB6_550 Depth=4
	s_or_b64 exec, exec, s[88:89]
	v_and_b32_e32 v17, 0xffff0000, v37
	v_lshlrev_b32_e32 v20, 16, v15
	v_add_f32_e32 v26, v17, v20
	v_and_b32_e32 v17, 0x7f800000, v26
	v_cmp_ne_u32_e32 vcc, s55, v17
                                        ; implicit-def: $vgpr17
	s_and_saveexec_b64 s[88:89], vcc
	s_xor_b64 s[88:89], exec, s[88:89]
; %bb.639:                              ;   in Loop: Header=BB6_550 Depth=4
	v_bfe_u32 v17, v26, 16, 1
	v_add3_u32 v17, v26, v17, s64
                                        ; implicit-def: $vgpr26
; %bb.640:                              ;   in Loop: Header=BB6_550 Depth=4
	s_andn2_saveexec_b64 s[88:89], s[88:89]
; %bb.641:                              ;   in Loop: Header=BB6_550 Depth=4
	v_or_b32_e32 v17, 0x10000, v26
	v_cmp_eq_u32_sdwa vcc, v26, v2 src0_sel:WORD_0 src1_sel:DWORD
	v_cndmask_b32_e32 v17, v17, v26, vcc
; %bb.642:                              ;   in Loop: Header=BB6_550 Depth=4
	s_or_b64 exec, exec, s[88:89]
	v_and_b32_e32 v15, 0xffff0000, v15
	v_and_b32_e32 v20, 0xffff0000, v34
	v_add_f32_e32 v26, v20, v15
	v_and_b32_e32 v15, 0x7f800000, v26
	v_cmp_ne_u32_e32 vcc, s55, v15
                                        ; implicit-def: $vgpr15
	s_and_saveexec_b64 s[88:89], vcc
	s_xor_b64 s[88:89], exec, s[88:89]
; %bb.643:                              ;   in Loop: Header=BB6_550 Depth=4
	v_bfe_u32 v15, v26, 16, 1
	v_add3_u32 v15, v26, v15, s64
                                        ; implicit-def: $vgpr26
; %bb.644:                              ;   in Loop: Header=BB6_550 Depth=4
	s_andn2_saveexec_b64 s[88:89], s[88:89]
; %bb.645:                              ;   in Loop: Header=BB6_550 Depth=4
	v_or_b32_e32 v15, 0x10000, v26
	v_cmp_eq_u32_sdwa vcc, v26, v2 src0_sel:WORD_0 src1_sel:DWORD
	v_cndmask_b32_e32 v15, v15, v26, vcc
; %bb.646:                              ;   in Loop: Header=BB6_550 Depth=4
	s_or_b64 exec, exec, s[88:89]
	v_and_b32_e32 v20, 0xffff0000, v38
	s_waitcnt vmcnt(0)
	v_lshlrev_b32_e32 v21, 16, v8
	v_add_f32_e32 v27, v20, v21
	v_and_b32_e32 v20, 0x7f800000, v27
	v_cmp_ne_u32_e32 vcc, s55, v20
                                        ; implicit-def: $vgpr26
	s_and_saveexec_b64 s[88:89], vcc
	s_xor_b64 s[88:89], exec, s[88:89]
; %bb.647:                              ;   in Loop: Header=BB6_550 Depth=4
	v_bfe_u32 v20, v27, 16, 1
	v_add3_u32 v26, v27, v20, s64
                                        ; implicit-def: $vgpr27
; %bb.648:                              ;   in Loop: Header=BB6_550 Depth=4
	s_andn2_saveexec_b64 s[88:89], s[88:89]
; %bb.649:                              ;   in Loop: Header=BB6_550 Depth=4
	v_or_b32_e32 v20, 0x10000, v27
	v_cmp_eq_u32_sdwa vcc, v27, v2 src0_sel:WORD_0 src1_sel:DWORD
	v_cndmask_b32_e32 v26, v20, v27, vcc
; %bb.650:                              ;   in Loop: Header=BB6_550 Depth=4
	s_or_b64 exec, exec, s[88:89]
	v_and_b32_e32 v8, 0xffff0000, v8
	v_and_b32_e32 v20, 0xffff0000, v52
	v_add_f32_e32 v27, v20, v8
	v_and_b32_e32 v8, 0x7f800000, v27
	v_cmp_ne_u32_e32 vcc, s55, v8
                                        ; implicit-def: $vgpr8
	s_and_saveexec_b64 s[88:89], vcc
	s_xor_b64 s[88:89], exec, s[88:89]
; %bb.651:                              ;   in Loop: Header=BB6_550 Depth=4
	v_bfe_u32 v8, v27, 16, 1
	v_add3_u32 v8, v27, v8, s64
                                        ; implicit-def: $vgpr27
; %bb.652:                              ;   in Loop: Header=BB6_550 Depth=4
	s_andn2_saveexec_b64 s[88:89], s[88:89]
; %bb.653:                              ;   in Loop: Header=BB6_550 Depth=4
	v_or_b32_e32 v8, 0x10000, v27
	v_cmp_eq_u32_sdwa vcc, v27, v2 src0_sel:WORD_0 src1_sel:DWORD
	v_cndmask_b32_e32 v8, v8, v27, vcc
; %bb.654:                              ;   in Loop: Header=BB6_550 Depth=4
	s_or_b64 exec, exec, s[88:89]
	v_and_b32_e32 v20, 0xffff0000, v53
	v_lshlrev_b32_e32 v21, 16, v9
	v_add_f32_e32 v34, v20, v21
	v_and_b32_e32 v20, 0x7f800000, v34
	v_cmp_ne_u32_e32 vcc, s55, v20
                                        ; implicit-def: $vgpr27
	s_and_saveexec_b64 s[88:89], vcc
	s_xor_b64 s[88:89], exec, s[88:89]
; %bb.655:                              ;   in Loop: Header=BB6_550 Depth=4
	v_bfe_u32 v20, v34, 16, 1
	v_add3_u32 v27, v34, v20, s64
                                        ; implicit-def: $vgpr34
; %bb.656:                              ;   in Loop: Header=BB6_550 Depth=4
	s_andn2_saveexec_b64 s[88:89], s[88:89]
; %bb.657:                              ;   in Loop: Header=BB6_550 Depth=4
	v_or_b32_e32 v20, 0x10000, v34
	v_cmp_eq_u32_sdwa vcc, v34, v2 src0_sel:WORD_0 src1_sel:DWORD
	v_cndmask_b32_e32 v27, v20, v34, vcc
; %bb.658:                              ;   in Loop: Header=BB6_550 Depth=4
	s_or_b64 exec, exec, s[88:89]
	v_and_b32_e32 v9, 0xffff0000, v9
	v_and_b32_e32 v20, 0xffff0000, v50
	v_add_f32_e32 v34, v20, v9
	v_and_b32_e32 v9, 0x7f800000, v34
	v_cmp_ne_u32_e32 vcc, s55, v9
                                        ; implicit-def: $vgpr9
	s_and_saveexec_b64 s[88:89], vcc
	s_xor_b64 s[88:89], exec, s[88:89]
; %bb.659:                              ;   in Loop: Header=BB6_550 Depth=4
	v_bfe_u32 v9, v34, 16, 1
	v_add3_u32 v9, v34, v9, s64
                                        ; implicit-def: $vgpr34
; %bb.660:                              ;   in Loop: Header=BB6_550 Depth=4
	s_andn2_saveexec_b64 s[88:89], s[88:89]
; %bb.661:                              ;   in Loop: Header=BB6_550 Depth=4
	v_or_b32_e32 v9, 0x10000, v34
	v_cmp_eq_u32_sdwa vcc, v34, v2 src0_sel:WORD_0 src1_sel:DWORD
	v_cndmask_b32_e32 v9, v9, v34, vcc
; %bb.662:                              ;   in Loop: Header=BB6_550 Depth=4
	s_or_b64 exec, exec, s[88:89]
	v_and_b32_e32 v20, 0xffff0000, v51
	v_lshlrev_b32_e32 v21, 16, v10
	v_add_f32_e32 v37, v20, v21
	v_and_b32_e32 v20, 0x7f800000, v37
	v_cmp_ne_u32_e32 vcc, s55, v20
                                        ; implicit-def: $vgpr34
	s_and_saveexec_b64 s[88:89], vcc
	s_xor_b64 s[88:89], exec, s[88:89]
; %bb.663:                              ;   in Loop: Header=BB6_550 Depth=4
	v_bfe_u32 v20, v37, 16, 1
	v_add3_u32 v34, v37, v20, s64
                                        ; implicit-def: $vgpr37
; %bb.664:                              ;   in Loop: Header=BB6_550 Depth=4
	s_andn2_saveexec_b64 s[88:89], s[88:89]
; %bb.665:                              ;   in Loop: Header=BB6_550 Depth=4
	v_or_b32_e32 v20, 0x10000, v37
	v_cmp_eq_u32_sdwa vcc, v37, v2 src0_sel:WORD_0 src1_sel:DWORD
	v_cndmask_b32_e32 v34, v20, v37, vcc
; %bb.666:                              ;   in Loop: Header=BB6_550 Depth=4
	s_or_b64 exec, exec, s[88:89]
	v_and_b32_e32 v10, 0xffff0000, v10
	v_and_b32_e32 v4, 0xffff0000, v4
	v_add_f32_e32 v10, v4, v10
	v_and_b32_e32 v4, 0x7f800000, v10
	v_cmp_ne_u32_e32 vcc, s55, v4
                                        ; implicit-def: $vgpr4
	s_and_saveexec_b64 s[88:89], vcc
	s_xor_b64 s[88:89], exec, s[88:89]
; %bb.667:                              ;   in Loop: Header=BB6_550 Depth=4
	v_bfe_u32 v4, v10, 16, 1
	v_add3_u32 v4, v10, v4, s64
                                        ; implicit-def: $vgpr10
; %bb.668:                              ;   in Loop: Header=BB6_550 Depth=4
	s_andn2_saveexec_b64 s[88:89], s[88:89]
; %bb.669:                              ;   in Loop: Header=BB6_550 Depth=4
	v_or_b32_e32 v4, 0x10000, v10
	v_cmp_eq_u32_sdwa vcc, v10, v2 src0_sel:WORD_0 src1_sel:DWORD
	v_cndmask_b32_e32 v4, v4, v10, vcc
; %bb.670:                              ;   in Loop: Header=BB6_550 Depth=4
	s_or_b64 exec, exec, s[88:89]
	v_and_b32_e32 v5, 0xffff0000, v5
	v_lshlrev_b32_e32 v10, 16, v11
	v_add_f32_e32 v10, v5, v10
	v_and_b32_e32 v5, 0x7f800000, v10
	v_cmp_ne_u32_e32 vcc, s55, v5
                                        ; implicit-def: $vgpr5
	s_and_saveexec_b64 s[88:89], vcc
	s_xor_b64 s[88:89], exec, s[88:89]
; %bb.671:                              ;   in Loop: Header=BB6_550 Depth=4
	v_bfe_u32 v5, v10, 16, 1
	v_add3_u32 v5, v10, v5, s64
                                        ; implicit-def: $vgpr10
; %bb.672:                              ;   in Loop: Header=BB6_550 Depth=4
	s_andn2_saveexec_b64 s[88:89], s[88:89]
; %bb.673:                              ;   in Loop: Header=BB6_550 Depth=4
	v_or_b32_e32 v5, 0x10000, v10
	v_cmp_eq_u32_sdwa vcc, v10, v2 src0_sel:WORD_0 src1_sel:DWORD
	v_cndmask_b32_e32 v5, v5, v10, vcc
; %bb.674:                              ;   in Loop: Header=BB6_550 Depth=4
	s_or_b64 exec, exec, s[88:89]
	v_and_b32_e32 v10, 0xffff0000, v11
	v_and_b32_e32 v0, 0xffff0000, v0
	v_add_f32_e32 v10, v0, v10
	v_and_b32_e32 v0, 0x7f800000, v10
	v_cmp_ne_u32_e32 vcc, s55, v0
                                        ; implicit-def: $vgpr0
	s_and_saveexec_b64 s[88:89], vcc
	s_xor_b64 s[88:89], exec, s[88:89]
; %bb.675:                              ;   in Loop: Header=BB6_550 Depth=4
	v_bfe_u32 v0, v10, 16, 1
	v_add3_u32 v0, v10, v0, s64
                                        ; implicit-def: $vgpr10
; %bb.676:                              ;   in Loop: Header=BB6_550 Depth=4
	s_andn2_saveexec_b64 s[88:89], s[88:89]
	s_cbranch_execz .LBB6_549
; %bb.677:                              ;   in Loop: Header=BB6_550 Depth=4
	v_or_b32_e32 v0, 0x10000, v10
	v_cmp_eq_u32_sdwa vcc, v10, v2 src0_sel:WORD_0 src1_sel:DWORD
	v_cndmask_b32_e32 v0, v0, v10, vcc
	s_branch .LBB6_549
.LBB6_678:                              ;   in Loop: Header=BB6_468 Depth=3
	s_or_b64 exec, exec, s[78:79]
	buffer_load_dword v56, off, s[0:3], s33 offset:172 ; 4-byte Folded Reload
	buffer_load_dword v57, off, s[0:3], s33 offset:144 ; 4-byte Folded Reload
	;; [unrolled: 1-line block ×3, first 2 shown]
	v_mov_b32_e32 v24, 0xc8
	v_mov_b32_e32 v25, 0x90
.LBB6_679:                              ;   in Loop: Header=BB6_468 Depth=3
	s_or_b64 exec, exec, s[28:29]
	v_lshlrev_b32_e32 v0, 11, v61
	v_cmp_ne_u32_e32 vcc, v41, v0
	s_mov_b64 s[88:89], 0
	v_mov_b32_e32 v14, 0
                                        ; implicit-def: $vgpr4
	s_and_saveexec_b64 s[78:79], vcc
	s_cbranch_execz .LBB6_749
; %bb.680:                              ;   in Loop: Header=BB6_468 Depth=3
	buffer_load_dword v5, off, s[0:3], s33 offset:140 ; 4-byte Folded Reload
	v_lshlrev_b32_e32 v4, 6, v60
	v_sub_u32_e32 v7, v41, v0
	s_waitcnt vmcnt(0)
	v_sub_u32_e32 v4, v5, v4
	v_ashrrev_i32_e32 v5, 31, v4
	v_lshrrev_b32_e32 v5, 26, v5
	v_add_u32_e32 v5, v4, v5
	v_ashrrev_i32_e32 v8, 6, v5
	v_and_b32_e32 v5, 0xffffffc0, v5
	v_sub_u32_e32 v4, v4, v5
	v_lshlrev_b32_e32 v5, 4, v4
	v_lshl_add_u32 v6, v8, 10, v5
	v_ashrrev_i32_e32 v5, 31, v7
	v_lshrrev_b32_e32 v5, 22, v5
	v_add_u32_e32 v5, v7, v5
	v_ashrrev_i32_e32 v9, 10, v5
	v_and_b32_e32 v5, 0xfffffc00, v5
	v_sub_u32_e32 v50, v7, v5
	v_cmp_lt_i32_e32 vcc, 15, v50
	v_sub_u32_e32 v52, v7, v6
	v_addc_co_u32_e64 v7, s[28:29], 0, v9, vcc
	v_sub_u32_e32 v51, v7, v8
	v_cmp_lt_i32_e64 s[28:29], 15, v52
	s_and_saveexec_b64 s[88:89], s[28:29]
	s_cbranch_execz .LBB6_748
; %bb.681:                              ;   in Loop: Header=BB6_468 Depth=3
	v_add_u32_e32 v8, v6, v0
	s_trap 2
	ds_read_b64 v[6:7], v0
	ds_read_b32 v10, v0
	v_ashrrev_i32_e32 v9, 31, v8
	v_add_co_u32_e64 v12, s[28:29], v8, v46
	v_addc_co_u32_e64 v13, s[28:29], v9, v47, s[28:29]
	s_waitcnt lgkmcnt(1)
	v_add_co_u32_e64 v14, s[28:29], v6, v8
	v_addc_co_u32_e64 v15, s[28:29], v7, v9, s[28:29]
	v_add_co_u32_e64 v18, s[28:29], v8, v44
	v_addc_co_u32_e64 v19, s[28:29], v9, v45, s[28:29]
	s_waitcnt lgkmcnt(0)
	v_lshlrev_b32_e32 v53, 16, v10
	s_mov_b64 s[90:91], 0
	s_branch .LBB6_683
.LBB6_682:                              ;   in Loop: Header=BB6_683 Depth=4
	s_or_b64 exec, exec, s[92:93]
	v_lshrrev_b32_e32 v7, 16, v7
	v_add_co_u32_e64 v12, s[28:29], v12, v31
	v_and_or_b32 v8, v8, s65, v7
	v_lshrrev_b32_e32 v7, 16, v27
	v_addc_co_u32_e64 v13, s[28:29], 0, v13, s[28:29]
	v_lshrrev_b32_e32 v11, 16, v35
	v_and_or_b32 v10, v10, s65, v7
	v_lshrrev_b32_e32 v7, 16, v17
	v_add_co_u32_e64 v14, s[28:29], v14, v31
	v_and_or_b32 v9, v9, s65, v11
	v_and_or_b32 v11, v6, s65, v7
	v_addc_co_u32_e64 v15, s[28:29], 0, v15, s[28:29]
	global_store_dwordx4 v[18:19], v[8:11], off glc slc
	v_add_co_u32_e64 v18, s[28:29], v18, v31
	v_addc_co_u32_e64 v19, s[28:29], 0, v19, s[28:29]
	v_sub_u32_e32 v52, v52, v31
	v_cmp_gt_i32_e64 s[28:29], 16, v52
	s_or_b64 s[90:91], s[28:29], s[90:91]
	v_sub_u32_e32 v51, v51, v16
	s_andn2_b64 exec, exec, s[90:91]
	s_cbranch_execz .LBB6_747
.LBB6_683:                              ;   Parent Loop BB6_47 Depth=1
                                        ;     Parent Loop BB6_465 Depth=2
                                        ;       Parent Loop BB6_468 Depth=3
                                        ; =>      This Inner Loop Header: Depth=4
	global_load_dwordx4 v[8:11], v[12:13], off glc slc
	s_waitcnt vmcnt(0)
	v_lshlrev_b32_e32 v6, 16, v8
	v_mul_f32_e32 v6, v53, v6
	v_and_b32_e32 v7, 0x7f800000, v6
	v_cmp_ne_u32_e64 s[28:29], s55, v7
                                        ; implicit-def: $vgpr7
	s_and_saveexec_b64 s[92:93], s[28:29]
	s_xor_b64 s[28:29], exec, s[92:93]
; %bb.684:                              ;   in Loop: Header=BB6_683 Depth=4
	v_bfe_u32 v7, v6, 16, 1
	v_add3_u32 v7, v6, v7, s64
                                        ; implicit-def: $vgpr6
; %bb.685:                              ;   in Loop: Header=BB6_683 Depth=4
	s_andn2_saveexec_b64 s[92:93], s[28:29]
; %bb.686:                              ;   in Loop: Header=BB6_683 Depth=4
	v_or_b32_e32 v7, 0x10000, v6
	v_cmp_eq_u32_sdwa s[28:29], v6, v2 src0_sel:WORD_0 src1_sel:DWORD
	v_cndmask_b32_e64 v7, v7, v6, s[28:29]
; %bb.687:                              ;   in Loop: Header=BB6_683 Depth=4
	s_or_b64 exec, exec, s[92:93]
	v_and_b32_e32 v6, 0xffff0000, v8
	v_mul_f32_e32 v6, v53, v6
	v_and_b32_e32 v8, 0x7f800000, v6
	v_cmp_ne_u32_e64 s[28:29], s55, v8
                                        ; implicit-def: $vgpr37
	s_and_saveexec_b64 s[92:93], s[28:29]
	s_xor_b64 s[28:29], exec, s[92:93]
; %bb.688:                              ;   in Loop: Header=BB6_683 Depth=4
	v_bfe_u32 v8, v6, 16, 1
	v_add3_u32 v37, v6, v8, s64
                                        ; implicit-def: $vgpr6
; %bb.689:                              ;   in Loop: Header=BB6_683 Depth=4
	s_andn2_saveexec_b64 s[92:93], s[28:29]
; %bb.690:                              ;   in Loop: Header=BB6_683 Depth=4
	v_or_b32_e32 v8, 0x10000, v6
	v_cmp_eq_u32_sdwa s[28:29], v6, v2 src0_sel:WORD_0 src1_sel:DWORD
	v_cndmask_b32_e64 v37, v8, v6, s[28:29]
; %bb.691:                              ;   in Loop: Header=BB6_683 Depth=4
	s_or_b64 exec, exec, s[92:93]
	v_lshlrev_b32_e32 v6, 16, v9
	v_mul_f32_e32 v6, v53, v6
	v_and_b32_e32 v8, 0x7f800000, v6
	v_cmp_ne_u32_e64 s[28:29], s55, v8
                                        ; implicit-def: $vgpr35
	s_and_saveexec_b64 s[92:93], s[28:29]
	s_xor_b64 s[28:29], exec, s[92:93]
; %bb.692:                              ;   in Loop: Header=BB6_683 Depth=4
	v_bfe_u32 v8, v6, 16, 1
	v_add3_u32 v35, v6, v8, s64
                                        ; implicit-def: $vgpr6
; %bb.693:                              ;   in Loop: Header=BB6_683 Depth=4
	s_andn2_saveexec_b64 s[92:93], s[28:29]
; %bb.694:                              ;   in Loop: Header=BB6_683 Depth=4
	v_or_b32_e32 v8, 0x10000, v6
	v_cmp_eq_u32_sdwa s[28:29], v6, v2 src0_sel:WORD_0 src1_sel:DWORD
	v_cndmask_b32_e64 v35, v8, v6, s[28:29]
; %bb.695:                              ;   in Loop: Header=BB6_683 Depth=4
	s_or_b64 exec, exec, s[92:93]
	v_and_b32_e32 v6, 0xffff0000, v9
	v_mul_f32_e32 v6, v53, v6
	v_and_b32_e32 v8, 0x7f800000, v6
	v_cmp_ne_u32_e64 s[28:29], s55, v8
                                        ; implicit-def: $vgpr34
	s_and_saveexec_b64 s[92:93], s[28:29]
	s_xor_b64 s[28:29], exec, s[92:93]
; %bb.696:                              ;   in Loop: Header=BB6_683 Depth=4
	v_bfe_u32 v8, v6, 16, 1
	v_add3_u32 v34, v6, v8, s64
                                        ; implicit-def: $vgpr6
; %bb.697:                              ;   in Loop: Header=BB6_683 Depth=4
	s_andn2_saveexec_b64 s[92:93], s[28:29]
; %bb.698:                              ;   in Loop: Header=BB6_683 Depth=4
	v_or_b32_e32 v8, 0x10000, v6
	v_cmp_eq_u32_sdwa s[28:29], v6, v2 src0_sel:WORD_0 src1_sel:DWORD
	v_cndmask_b32_e64 v34, v8, v6, s[28:29]
; %bb.699:                              ;   in Loop: Header=BB6_683 Depth=4
	s_or_b64 exec, exec, s[92:93]
	v_lshlrev_b32_e32 v6, 16, v10
	v_mul_f32_e32 v6, v53, v6
	v_and_b32_e32 v8, 0x7f800000, v6
	v_cmp_ne_u32_e64 s[28:29], s55, v8
                                        ; implicit-def: $vgpr27
	s_and_saveexec_b64 s[92:93], s[28:29]
	s_xor_b64 s[28:29], exec, s[92:93]
; %bb.700:                              ;   in Loop: Header=BB6_683 Depth=4
	v_bfe_u32 v8, v6, 16, 1
	v_add3_u32 v27, v6, v8, s64
                                        ; implicit-def: $vgpr6
; %bb.701:                              ;   in Loop: Header=BB6_683 Depth=4
	s_andn2_saveexec_b64 s[92:93], s[28:29]
; %bb.702:                              ;   in Loop: Header=BB6_683 Depth=4
	v_or_b32_e32 v8, 0x10000, v6
	v_cmp_eq_u32_sdwa s[28:29], v6, v2 src0_sel:WORD_0 src1_sel:DWORD
	v_cndmask_b32_e64 v27, v8, v6, s[28:29]
; %bb.703:                              ;   in Loop: Header=BB6_683 Depth=4
	s_or_b64 exec, exec, s[92:93]
	v_and_b32_e32 v6, 0xffff0000, v10
	v_mul_f32_e32 v6, v53, v6
	v_and_b32_e32 v8, 0x7f800000, v6
	v_cmp_ne_u32_e64 s[28:29], s55, v8
                                        ; implicit-def: $vgpr26
	s_and_saveexec_b64 s[92:93], s[28:29]
	s_xor_b64 s[28:29], exec, s[92:93]
; %bb.704:                              ;   in Loop: Header=BB6_683 Depth=4
	v_bfe_u32 v8, v6, 16, 1
	v_add3_u32 v26, v6, v8, s64
                                        ; implicit-def: $vgpr6
; %bb.705:                              ;   in Loop: Header=BB6_683 Depth=4
	s_andn2_saveexec_b64 s[92:93], s[28:29]
; %bb.706:                              ;   in Loop: Header=BB6_683 Depth=4
	v_or_b32_e32 v8, 0x10000, v6
	v_cmp_eq_u32_sdwa s[28:29], v6, v2 src0_sel:WORD_0 src1_sel:DWORD
	v_cndmask_b32_e64 v26, v8, v6, s[28:29]
; %bb.707:                              ;   in Loop: Header=BB6_683 Depth=4
	s_or_b64 exec, exec, s[92:93]
	v_lshlrev_b32_e32 v6, 16, v11
	v_mul_f32_e32 v6, v53, v6
	v_and_b32_e32 v8, 0x7f800000, v6
	v_cmp_ne_u32_e64 s[28:29], s55, v8
                                        ; implicit-def: $vgpr17
	s_and_saveexec_b64 s[92:93], s[28:29]
	s_xor_b64 s[28:29], exec, s[92:93]
; %bb.708:                              ;   in Loop: Header=BB6_683 Depth=4
	v_bfe_u32 v8, v6, 16, 1
	v_add3_u32 v17, v6, v8, s64
                                        ; implicit-def: $vgpr6
; %bb.709:                              ;   in Loop: Header=BB6_683 Depth=4
	s_andn2_saveexec_b64 s[92:93], s[28:29]
; %bb.710:                              ;   in Loop: Header=BB6_683 Depth=4
	v_or_b32_e32 v8, 0x10000, v6
	v_cmp_eq_u32_sdwa s[28:29], v6, v2 src0_sel:WORD_0 src1_sel:DWORD
	v_cndmask_b32_e64 v17, v8, v6, s[28:29]
; %bb.711:                              ;   in Loop: Header=BB6_683 Depth=4
	s_or_b64 exec, exec, s[92:93]
	v_and_b32_e32 v6, 0xffff0000, v11
	v_mul_f32_e32 v8, v53, v6
	v_and_b32_e32 v6, 0x7f800000, v8
	v_cmp_ne_u32_e64 s[28:29], s55, v6
                                        ; implicit-def: $vgpr6
	s_and_saveexec_b64 s[92:93], s[28:29]
	s_xor_b64 s[28:29], exec, s[92:93]
; %bb.712:                              ;   in Loop: Header=BB6_683 Depth=4
	v_bfe_u32 v6, v8, 16, 1
	v_add3_u32 v6, v8, v6, s64
                                        ; implicit-def: $vgpr8
; %bb.713:                              ;   in Loop: Header=BB6_683 Depth=4
	s_andn2_saveexec_b64 s[92:93], s[28:29]
; %bb.714:                              ;   in Loop: Header=BB6_683 Depth=4
	v_or_b32_e32 v6, 0x10000, v8
	v_cmp_eq_u32_sdwa s[28:29], v8, v2 src0_sel:WORD_0 src1_sel:DWORD
	v_cndmask_b32_e64 v6, v6, v8, s[28:29]
; %bb.715:                              ;   in Loop: Header=BB6_683 Depth=4
	s_or_b64 exec, exec, s[92:93]
	global_load_dwordx4 v[8:11], v[14:15], off glc slc
	v_and_b32_e32 v7, 0xffff0000, v7
	s_waitcnt vmcnt(0)
	v_lshlrev_b32_e32 v20, 16, v8
	v_add_f32_e32 v38, v7, v20
	v_and_b32_e32 v7, 0x7f800000, v38
	v_cmp_ne_u32_e64 s[28:29], s55, v7
                                        ; implicit-def: $vgpr7
	s_and_saveexec_b64 s[92:93], s[28:29]
	s_xor_b64 s[28:29], exec, s[92:93]
; %bb.716:                              ;   in Loop: Header=BB6_683 Depth=4
	v_bfe_u32 v7, v38, 16, 1
	v_add3_u32 v7, v38, v7, s64
                                        ; implicit-def: $vgpr38
; %bb.717:                              ;   in Loop: Header=BB6_683 Depth=4
	s_andn2_saveexec_b64 s[92:93], s[28:29]
; %bb.718:                              ;   in Loop: Header=BB6_683 Depth=4
	v_or_b32_e32 v7, 0x10000, v38
	v_cmp_eq_u32_sdwa s[28:29], v38, v2 src0_sel:WORD_0 src1_sel:DWORD
	v_cndmask_b32_e64 v7, v7, v38, s[28:29]
; %bb.719:                              ;   in Loop: Header=BB6_683 Depth=4
	s_or_b64 exec, exec, s[92:93]
	v_and_b32_e32 v20, 0xffff0000, v37
	v_and_b32_e32 v8, 0xffff0000, v8
	v_add_f32_e32 v37, v20, v8
	v_and_b32_e32 v8, 0x7f800000, v37
	v_cmp_ne_u32_e64 s[28:29], s55, v8
                                        ; implicit-def: $vgpr8
	s_and_saveexec_b64 s[92:93], s[28:29]
	s_xor_b64 s[28:29], exec, s[92:93]
; %bb.720:                              ;   in Loop: Header=BB6_683 Depth=4
	v_bfe_u32 v8, v37, 16, 1
	v_add3_u32 v8, v37, v8, s64
                                        ; implicit-def: $vgpr37
; %bb.721:                              ;   in Loop: Header=BB6_683 Depth=4
	s_andn2_saveexec_b64 s[92:93], s[28:29]
; %bb.722:                              ;   in Loop: Header=BB6_683 Depth=4
	v_or_b32_e32 v8, 0x10000, v37
	v_cmp_eq_u32_sdwa s[28:29], v37, v2 src0_sel:WORD_0 src1_sel:DWORD
	v_cndmask_b32_e64 v8, v8, v37, s[28:29]
; %bb.723:                              ;   in Loop: Header=BB6_683 Depth=4
	s_or_b64 exec, exec, s[92:93]
	v_and_b32_e32 v20, 0xffff0000, v35
	v_lshlrev_b32_e32 v21, 16, v9
	v_add_f32_e32 v37, v20, v21
	v_and_b32_e32 v20, 0x7f800000, v37
	v_cmp_ne_u32_e64 s[28:29], s55, v20
                                        ; implicit-def: $vgpr35
	s_and_saveexec_b64 s[92:93], s[28:29]
	s_xor_b64 s[28:29], exec, s[92:93]
; %bb.724:                              ;   in Loop: Header=BB6_683 Depth=4
	v_bfe_u32 v20, v37, 16, 1
	v_add3_u32 v35, v37, v20, s64
                                        ; implicit-def: $vgpr37
; %bb.725:                              ;   in Loop: Header=BB6_683 Depth=4
	s_andn2_saveexec_b64 s[92:93], s[28:29]
; %bb.726:                              ;   in Loop: Header=BB6_683 Depth=4
	v_or_b32_e32 v20, 0x10000, v37
	v_cmp_eq_u32_sdwa s[28:29], v37, v2 src0_sel:WORD_0 src1_sel:DWORD
	v_cndmask_b32_e64 v35, v20, v37, s[28:29]
; %bb.727:                              ;   in Loop: Header=BB6_683 Depth=4
	s_or_b64 exec, exec, s[92:93]
	v_and_b32_e32 v20, 0xffff0000, v34
	v_and_b32_e32 v9, 0xffff0000, v9
	v_add_f32_e32 v34, v20, v9
	v_and_b32_e32 v9, 0x7f800000, v34
	v_cmp_ne_u32_e64 s[28:29], s55, v9
                                        ; implicit-def: $vgpr9
	s_and_saveexec_b64 s[92:93], s[28:29]
	s_xor_b64 s[28:29], exec, s[92:93]
; %bb.728:                              ;   in Loop: Header=BB6_683 Depth=4
	v_bfe_u32 v9, v34, 16, 1
	v_add3_u32 v9, v34, v9, s64
                                        ; implicit-def: $vgpr34
; %bb.729:                              ;   in Loop: Header=BB6_683 Depth=4
	s_andn2_saveexec_b64 s[92:93], s[28:29]
; %bb.730:                              ;   in Loop: Header=BB6_683 Depth=4
	v_or_b32_e32 v9, 0x10000, v34
	v_cmp_eq_u32_sdwa s[28:29], v34, v2 src0_sel:WORD_0 src1_sel:DWORD
	v_cndmask_b32_e64 v9, v9, v34, s[28:29]
; %bb.731:                              ;   in Loop: Header=BB6_683 Depth=4
	s_or_b64 exec, exec, s[92:93]
	v_and_b32_e32 v20, 0xffff0000, v27
	v_lshlrev_b32_e32 v21, 16, v10
	v_add_f32_e32 v34, v20, v21
	v_and_b32_e32 v20, 0x7f800000, v34
	v_cmp_ne_u32_e64 s[28:29], s55, v20
                                        ; implicit-def: $vgpr27
	s_and_saveexec_b64 s[92:93], s[28:29]
	s_xor_b64 s[28:29], exec, s[92:93]
; %bb.732:                              ;   in Loop: Header=BB6_683 Depth=4
	v_bfe_u32 v20, v34, 16, 1
	v_add3_u32 v27, v34, v20, s64
                                        ; implicit-def: $vgpr34
; %bb.733:                              ;   in Loop: Header=BB6_683 Depth=4
	s_andn2_saveexec_b64 s[92:93], s[28:29]
; %bb.734:                              ;   in Loop: Header=BB6_683 Depth=4
	v_or_b32_e32 v20, 0x10000, v34
	v_cmp_eq_u32_sdwa s[28:29], v34, v2 src0_sel:WORD_0 src1_sel:DWORD
	v_cndmask_b32_e64 v27, v20, v34, s[28:29]
; %bb.735:                              ;   in Loop: Header=BB6_683 Depth=4
	s_or_b64 exec, exec, s[92:93]
	v_and_b32_e32 v20, 0xffff0000, v26
	v_and_b32_e32 v10, 0xffff0000, v10
	v_add_f32_e32 v26, v20, v10
	v_and_b32_e32 v10, 0x7f800000, v26
	v_cmp_ne_u32_e64 s[28:29], s55, v10
                                        ; implicit-def: $vgpr10
	s_and_saveexec_b64 s[92:93], s[28:29]
	s_xor_b64 s[28:29], exec, s[92:93]
; %bb.736:                              ;   in Loop: Header=BB6_683 Depth=4
	v_bfe_u32 v10, v26, 16, 1
	v_add3_u32 v10, v26, v10, s64
                                        ; implicit-def: $vgpr26
; %bb.737:                              ;   in Loop: Header=BB6_683 Depth=4
	s_andn2_saveexec_b64 s[92:93], s[28:29]
; %bb.738:                              ;   in Loop: Header=BB6_683 Depth=4
	v_or_b32_e32 v10, 0x10000, v26
	v_cmp_eq_u32_sdwa s[28:29], v26, v2 src0_sel:WORD_0 src1_sel:DWORD
	v_cndmask_b32_e64 v10, v10, v26, s[28:29]
; %bb.739:                              ;   in Loop: Header=BB6_683 Depth=4
	s_or_b64 exec, exec, s[92:93]
	v_and_b32_e32 v17, 0xffff0000, v17
	v_lshlrev_b32_e32 v20, 16, v11
	v_add_f32_e32 v26, v17, v20
	v_and_b32_e32 v17, 0x7f800000, v26
	v_cmp_ne_u32_e64 s[28:29], s55, v17
                                        ; implicit-def: $vgpr17
	s_and_saveexec_b64 s[92:93], s[28:29]
	s_xor_b64 s[28:29], exec, s[92:93]
; %bb.740:                              ;   in Loop: Header=BB6_683 Depth=4
	v_bfe_u32 v17, v26, 16, 1
	v_add3_u32 v17, v26, v17, s64
                                        ; implicit-def: $vgpr26
; %bb.741:                              ;   in Loop: Header=BB6_683 Depth=4
	s_andn2_saveexec_b64 s[92:93], s[28:29]
; %bb.742:                              ;   in Loop: Header=BB6_683 Depth=4
	v_or_b32_e32 v17, 0x10000, v26
	v_cmp_eq_u32_sdwa s[28:29], v26, v2 src0_sel:WORD_0 src1_sel:DWORD
	v_cndmask_b32_e64 v17, v17, v26, s[28:29]
; %bb.743:                              ;   in Loop: Header=BB6_683 Depth=4
	s_or_b64 exec, exec, s[92:93]
	v_and_b32_e32 v6, 0xffff0000, v6
	v_and_b32_e32 v11, 0xffff0000, v11
	v_add_f32_e32 v11, v6, v11
	v_and_b32_e32 v6, 0x7f800000, v11
	v_cmp_ne_u32_e64 s[28:29], s55, v6
                                        ; implicit-def: $vgpr6
	s_and_saveexec_b64 s[92:93], s[28:29]
	s_xor_b64 s[28:29], exec, s[92:93]
; %bb.744:                              ;   in Loop: Header=BB6_683 Depth=4
	v_bfe_u32 v6, v11, 16, 1
	v_add3_u32 v6, v11, v6, s64
                                        ; implicit-def: $vgpr11
; %bb.745:                              ;   in Loop: Header=BB6_683 Depth=4
	s_andn2_saveexec_b64 s[92:93], s[28:29]
	s_cbranch_execz .LBB6_682
; %bb.746:                              ;   in Loop: Header=BB6_683 Depth=4
	v_or_b32_e32 v6, 0x10000, v11
	v_cmp_eq_u32_sdwa s[28:29], v11, v2 src0_sel:WORD_0 src1_sel:DWORD
	v_cndmask_b32_e64 v6, v6, v11, s[28:29]
	s_branch .LBB6_682
.LBB6_747:                              ;   in Loop: Header=BB6_468 Depth=3
	s_or_b64 exec, exec, s[90:91]
.LBB6_748:                              ;   in Loop: Header=BB6_468 Depth=3
	s_or_b64 exec, exec, s[88:89]
	v_and_b32_e32 v6, 14, v41
	v_sub_u32_e32 v7, v50, v6
	v_cndmask_b32_e32 v7, 0, v7, vcc
	v_cndmask_b32_e32 v41, v50, v6, vcc
	v_cmp_lt_i32_e32 vcc, 0, v51
	v_add3_u32 v14, v5, v0, v7
	v_cndmask_b32_e32 v0, 0, v16, vcc
	v_sub_u32_e32 v0, v0, v51
	v_cmp_ne_u32_e32 vcc, 0, v41
	v_lshl_add_u32 v4, v0, 6, v4
	s_and_b64 s[88:89], vcc, exec
.LBB6_749:                              ;   in Loop: Header=BB6_468 Depth=3
	s_or_b64 exec, exec, s[78:79]
	s_and_saveexec_b64 s[28:29], s[88:89]
	s_cbranch_execz .LBB6_830
.LBB6_750:                              ;   in Loop: Header=BB6_468 Depth=3
	v_ashrrev_i32_e32 v0, 31, v4
	v_ashrrev_i32_e32 v6, 31, v41
	v_lshrrev_b32_e32 v0, 26, v0
	v_lshrrev_b32_e32 v6, 22, v6
	v_add_u32_e32 v5, v4, v0
	v_add_u32_e32 v6, v41, v6
	v_ashrrev_i32_e32 v0, 6, v5
	v_ashrrev_i32_e32 v18, 10, v6
	v_sub_u32_e32 v15, v18, v0
	v_cmp_lt_i32_e32 vcc, 0, v15
	s_and_saveexec_b64 s[78:79], vcc
	s_cbranch_execz .LBB6_818
; %bb.751:                              ;   in Loop: Header=BB6_468 Depth=3
	v_and_b32_e32 v5, 0x7fffffc0, v5
	v_sub_u32_e32 v5, v4, v5
	v_lshlrev_b32_e32 v5, 1, v5
	v_lshlrev_b32_e32 v6, 10, v0
	v_add3_u32 v7, v5, v14, v6
	s_trap 2
	ds_read_b64 v[5:6], v0
	ds_read_b32 v12, v0
	v_ashrrev_i32_e32 v13, 31, v7
	v_add_co_u32_e32 v8, vcc, v7, v46
	v_addc_co_u32_e32 v9, vcc, v13, v47, vcc
	s_waitcnt lgkmcnt(1)
	v_add_co_u32_e32 v10, vcc, v5, v7
	v_addc_co_u32_e32 v11, vcc, v6, v13, vcc
	v_add_co_u32_e32 v6, vcc, 0x380, v44
	v_addc_co_u32_e32 v17, vcc, 0, v45, vcc
	s_waitcnt lgkmcnt(0)
	v_lshlrev_b32_e32 v5, 16, v12
	v_add_co_u32_e32 v12, vcc, v6, v7
	v_addc_co_u32_e32 v13, vcc, v17, v13, vcc
	s_mov_b64 s[88:89], 0
	s_branch .LBB6_753
.LBB6_752:                              ;   in Loop: Header=BB6_753 Depth=4
	s_or_b64 exec, exec, s[90:91]
	v_add_co_u32_e32 v20, vcc, 0xfffffc80, v12
	v_addc_co_u32_e32 v21, vcc, -1, v13, vcc
	flat_store_short_d16_hi v[20:21], v6 glc slc
	v_add_co_u32_e32 v20, vcc, 0xfffffd00, v12
	v_addc_co_u32_e32 v21, vcc, -1, v13, vcc
	v_add_co_u32_e32 v6, vcc, 0xfffffd80, v12
	flat_store_short_d16_hi v[20:21], v7 glc slc
	v_addc_co_u32_e32 v7, vcc, -1, v13, vcc
	flat_store_short_d16_hi v[6:7], v17 glc slc
	v_add_co_u32_e32 v6, vcc, 0xfffffe00, v12
	v_addc_co_u32_e32 v7, vcc, -1, v13, vcc
	flat_store_short_d16_hi v[6:7], v19 glc slc
	v_add_co_u32_e32 v6, vcc, 0xfffffe80, v12
	;; [unrolled: 3-line block ×4, first 2 shown]
	v_addc_co_u32_e32 v7, vcc, -1, v13, vcc
	v_add_co_u32_e32 v8, vcc, v8, v31
	v_addc_co_u32_e32 v9, vcc, 0, v9, vcc
	v_add_co_u32_e32 v10, vcc, v10, v31
	v_addc_co_u32_e32 v11, vcc, 0, v11, vcc
	v_sub_u32_e32 v15, v15, v16
	v_cmp_gt_i32_e32 vcc, 1, v15
	flat_store_short_d16_hi v[6:7], v34 glc slc
	flat_store_short_d16_hi v[12:13], v35 glc slc
	s_or_b64 s[88:89], vcc, s[88:89]
	v_add_co_u32_e32 v12, vcc, v12, v31
	v_addc_co_u32_e32 v13, vcc, 0, v13, vcc
	s_andn2_b64 exec, exec, s[88:89]
	s_cbranch_execz .LBB6_817
.LBB6_753:                              ;   Parent Loop BB6_47 Depth=1
                                        ;     Parent Loop BB6_465 Depth=2
                                        ;       Parent Loop BB6_468 Depth=3
                                        ; =>      This Inner Loop Header: Depth=4
	flat_load_ushort v6, v[8:9] glc slc
	s_waitcnt vmcnt(0) lgkmcnt(0)
	v_lshlrev_b32_e32 v6, 16, v6
	v_mul_f32_e32 v7, v5, v6
	v_and_b32_e32 v6, 0x7f800000, v7
	v_cmp_ne_u32_e32 vcc, s55, v6
                                        ; implicit-def: $vgpr6
	s_and_saveexec_b64 s[90:91], vcc
	s_xor_b64 s[90:91], exec, s[90:91]
; %bb.754:                              ;   in Loop: Header=BB6_753 Depth=4
	v_bfe_u32 v6, v7, 16, 1
	v_add3_u32 v6, v7, v6, s64
                                        ; implicit-def: $vgpr7
; %bb.755:                              ;   in Loop: Header=BB6_753 Depth=4
	s_andn2_saveexec_b64 s[90:91], s[90:91]
; %bb.756:                              ;   in Loop: Header=BB6_753 Depth=4
	v_or_b32_e32 v6, 0x10000, v7
	v_cmp_eq_u32_sdwa vcc, v7, v2 src0_sel:WORD_0 src1_sel:DWORD
	v_cndmask_b32_e32 v6, v6, v7, vcc
; %bb.757:                              ;   in Loop: Header=BB6_753 Depth=4
	s_or_b64 exec, exec, s[90:91]
	flat_load_ushort v7, v[8:9] offset:128 glc slc
	s_waitcnt vmcnt(0) lgkmcnt(0)
	v_lshlrev_b32_e32 v7, 16, v7
	v_mul_f32_e32 v17, v5, v7
	v_and_b32_e32 v7, 0x7f800000, v17
	v_cmp_ne_u32_e32 vcc, s55, v7
                                        ; implicit-def: $vgpr7
	s_and_saveexec_b64 s[90:91], vcc
	s_xor_b64 s[90:91], exec, s[90:91]
; %bb.758:                              ;   in Loop: Header=BB6_753 Depth=4
	v_bfe_u32 v7, v17, 16, 1
	v_add3_u32 v7, v17, v7, s64
                                        ; implicit-def: $vgpr17
; %bb.759:                              ;   in Loop: Header=BB6_753 Depth=4
	s_andn2_saveexec_b64 s[90:91], s[90:91]
; %bb.760:                              ;   in Loop: Header=BB6_753 Depth=4
	v_or_b32_e32 v7, 0x10000, v17
	v_cmp_eq_u32_sdwa vcc, v17, v2 src0_sel:WORD_0 src1_sel:DWORD
	v_cndmask_b32_e32 v7, v7, v17, vcc
; %bb.761:                              ;   in Loop: Header=BB6_753 Depth=4
	s_or_b64 exec, exec, s[90:91]
	flat_load_ushort v17, v[8:9] offset:256 glc slc
	s_waitcnt vmcnt(0) lgkmcnt(0)
	v_lshlrev_b32_e32 v17, 16, v17
	v_mul_f32_e32 v19, v5, v17
	v_and_b32_e32 v17, 0x7f800000, v19
	v_cmp_ne_u32_e32 vcc, s55, v17
                                        ; implicit-def: $vgpr17
	s_and_saveexec_b64 s[90:91], vcc
	s_xor_b64 s[90:91], exec, s[90:91]
; %bb.762:                              ;   in Loop: Header=BB6_753 Depth=4
	v_bfe_u32 v17, v19, 16, 1
	v_add3_u32 v17, v19, v17, s64
                                        ; implicit-def: $vgpr19
; %bb.763:                              ;   in Loop: Header=BB6_753 Depth=4
	s_andn2_saveexec_b64 s[90:91], s[90:91]
; %bb.764:                              ;   in Loop: Header=BB6_753 Depth=4
	v_or_b32_e32 v17, 0x10000, v19
	v_cmp_eq_u32_sdwa vcc, v19, v2 src0_sel:WORD_0 src1_sel:DWORD
	v_cndmask_b32_e32 v17, v17, v19, vcc
; %bb.765:                              ;   in Loop: Header=BB6_753 Depth=4
	s_or_b64 exec, exec, s[90:91]
	flat_load_ushort v19, v[8:9] offset:384 glc slc
	s_waitcnt vmcnt(0) lgkmcnt(0)
	v_lshlrev_b32_e32 v19, 16, v19
	v_mul_f32_e32 v26, v5, v19
	v_and_b32_e32 v19, 0x7f800000, v26
	v_cmp_ne_u32_e32 vcc, s55, v19
                                        ; implicit-def: $vgpr19
	s_and_saveexec_b64 s[90:91], vcc
	s_xor_b64 s[90:91], exec, s[90:91]
; %bb.766:                              ;   in Loop: Header=BB6_753 Depth=4
	v_bfe_u32 v19, v26, 16, 1
	v_add3_u32 v19, v26, v19, s64
                                        ; implicit-def: $vgpr26
; %bb.767:                              ;   in Loop: Header=BB6_753 Depth=4
	s_andn2_saveexec_b64 s[90:91], s[90:91]
; %bb.768:                              ;   in Loop: Header=BB6_753 Depth=4
	v_or_b32_e32 v19, 0x10000, v26
	v_cmp_eq_u32_sdwa vcc, v26, v2 src0_sel:WORD_0 src1_sel:DWORD
	v_cndmask_b32_e32 v19, v19, v26, vcc
; %bb.769:                              ;   in Loop: Header=BB6_753 Depth=4
	s_or_b64 exec, exec, s[90:91]
	flat_load_ushort v20, v[8:9] offset:512 glc slc
                                        ; implicit-def: $vgpr26
	s_waitcnt vmcnt(0) lgkmcnt(0)
	v_lshlrev_b32_e32 v20, 16, v20
	v_mul_f32_e32 v27, v5, v20
	v_and_b32_e32 v20, 0x7f800000, v27
	v_cmp_ne_u32_e32 vcc, s55, v20
	s_and_saveexec_b64 s[90:91], vcc
	s_xor_b64 s[90:91], exec, s[90:91]
; %bb.770:                              ;   in Loop: Header=BB6_753 Depth=4
	v_bfe_u32 v20, v27, 16, 1
	v_add3_u32 v26, v27, v20, s64
                                        ; implicit-def: $vgpr27
; %bb.771:                              ;   in Loop: Header=BB6_753 Depth=4
	s_andn2_saveexec_b64 s[90:91], s[90:91]
; %bb.772:                              ;   in Loop: Header=BB6_753 Depth=4
	v_or_b32_e32 v20, 0x10000, v27
	v_cmp_eq_u32_sdwa vcc, v27, v2 src0_sel:WORD_0 src1_sel:DWORD
	v_cndmask_b32_e32 v26, v20, v27, vcc
; %bb.773:                              ;   in Loop: Header=BB6_753 Depth=4
	s_or_b64 exec, exec, s[90:91]
	flat_load_ushort v20, v[8:9] offset:640 glc slc
                                        ; implicit-def: $vgpr27
	s_waitcnt vmcnt(0) lgkmcnt(0)
	v_lshlrev_b32_e32 v20, 16, v20
	v_mul_f32_e32 v34, v5, v20
	v_and_b32_e32 v20, 0x7f800000, v34
	v_cmp_ne_u32_e32 vcc, s55, v20
	s_and_saveexec_b64 s[90:91], vcc
	s_xor_b64 s[90:91], exec, s[90:91]
; %bb.774:                              ;   in Loop: Header=BB6_753 Depth=4
	v_bfe_u32 v20, v34, 16, 1
	v_add3_u32 v27, v34, v20, s64
                                        ; implicit-def: $vgpr34
; %bb.775:                              ;   in Loop: Header=BB6_753 Depth=4
	s_andn2_saveexec_b64 s[90:91], s[90:91]
; %bb.776:                              ;   in Loop: Header=BB6_753 Depth=4
	v_or_b32_e32 v20, 0x10000, v34
	v_cmp_eq_u32_sdwa vcc, v34, v2 src0_sel:WORD_0 src1_sel:DWORD
	v_cndmask_b32_e32 v27, v20, v34, vcc
; %bb.777:                              ;   in Loop: Header=BB6_753 Depth=4
	s_or_b64 exec, exec, s[90:91]
	flat_load_ushort v20, v[8:9] offset:768 glc slc
                                        ; implicit-def: $vgpr34
	s_waitcnt vmcnt(0) lgkmcnt(0)
	v_lshlrev_b32_e32 v20, 16, v20
	v_mul_f32_e32 v35, v5, v20
	v_and_b32_e32 v20, 0x7f800000, v35
	v_cmp_ne_u32_e32 vcc, s55, v20
	s_and_saveexec_b64 s[90:91], vcc
	s_xor_b64 s[90:91], exec, s[90:91]
; %bb.778:                              ;   in Loop: Header=BB6_753 Depth=4
	v_bfe_u32 v20, v35, 16, 1
	v_add3_u32 v34, v35, v20, s64
                                        ; implicit-def: $vgpr35
; %bb.779:                              ;   in Loop: Header=BB6_753 Depth=4
	s_andn2_saveexec_b64 s[90:91], s[90:91]
; %bb.780:                              ;   in Loop: Header=BB6_753 Depth=4
	v_or_b32_e32 v20, 0x10000, v35
	v_cmp_eq_u32_sdwa vcc, v35, v2 src0_sel:WORD_0 src1_sel:DWORD
	v_cndmask_b32_e32 v34, v20, v35, vcc
; %bb.781:                              ;   in Loop: Header=BB6_753 Depth=4
	s_or_b64 exec, exec, s[90:91]
	flat_load_ushort v20, v[8:9] offset:896 glc slc
                                        ; implicit-def: $vgpr35
	s_waitcnt vmcnt(0) lgkmcnt(0)
	v_lshlrev_b32_e32 v20, 16, v20
	v_mul_f32_e32 v37, v5, v20
	v_and_b32_e32 v20, 0x7f800000, v37
	v_cmp_ne_u32_e32 vcc, s55, v20
	s_and_saveexec_b64 s[90:91], vcc
	s_xor_b64 s[90:91], exec, s[90:91]
; %bb.782:                              ;   in Loop: Header=BB6_753 Depth=4
	v_bfe_u32 v20, v37, 16, 1
	v_add3_u32 v35, v37, v20, s64
                                        ; implicit-def: $vgpr37
; %bb.783:                              ;   in Loop: Header=BB6_753 Depth=4
	s_andn2_saveexec_b64 s[90:91], s[90:91]
; %bb.784:                              ;   in Loop: Header=BB6_753 Depth=4
	v_or_b32_e32 v20, 0x10000, v37
	v_cmp_eq_u32_sdwa vcc, v37, v2 src0_sel:WORD_0 src1_sel:DWORD
	v_cndmask_b32_e32 v35, v20, v37, vcc
; %bb.785:                              ;   in Loop: Header=BB6_753 Depth=4
	s_or_b64 exec, exec, s[90:91]
	flat_load_ushort v52, v[10:11] offset:256 glc slc
	flat_load_ushort v51, v[10:11] offset:384 glc slc
	flat_load_ushort v50, v[10:11] offset:512 glc slc
	flat_load_ushort v20, v[10:11] glc slc
	flat_load_ushort v39, v[10:11] offset:640 glc slc
	flat_load_ushort v38, v[10:11] offset:768 glc slc
	;; [unrolled: 1-line block ×4, first 2 shown]
	v_and_b32_e32 v6, 0xffff0000, v6
	s_waitcnt vmcnt(0) lgkmcnt(0)
	v_lshlrev_b32_e32 v20, 16, v20
	v_add_f32_e32 v55, v6, v20
	v_and_b32_e32 v6, 0x7f800000, v55
	v_cmp_ne_u32_e32 vcc, s55, v6
                                        ; implicit-def: $vgpr6
	s_and_saveexec_b64 s[90:91], vcc
	s_xor_b64 s[90:91], exec, s[90:91]
; %bb.786:                              ;   in Loop: Header=BB6_753 Depth=4
	v_bfe_u32 v6, v55, 16, 1
	v_add3_u32 v6, v55, v6, s64
                                        ; implicit-def: $vgpr55
; %bb.787:                              ;   in Loop: Header=BB6_753 Depth=4
	s_andn2_saveexec_b64 s[90:91], s[90:91]
; %bb.788:                              ;   in Loop: Header=BB6_753 Depth=4
	v_or_b32_e32 v6, 0x10000, v55
	v_cmp_eq_u32_sdwa vcc, v55, v2 src0_sel:WORD_0 src1_sel:DWORD
	v_cndmask_b32_e32 v6, v6, v55, vcc
; %bb.789:                              ;   in Loop: Header=BB6_753 Depth=4
	s_or_b64 exec, exec, s[90:91]
	v_and_b32_e32 v7, 0xffff0000, v7
	v_lshlrev_b32_e32 v20, 16, v53
	v_add_f32_e32 v53, v7, v20
	v_and_b32_e32 v7, 0x7f800000, v53
	v_cmp_ne_u32_e32 vcc, s55, v7
                                        ; implicit-def: $vgpr7
	s_and_saveexec_b64 s[90:91], vcc
	s_xor_b64 s[90:91], exec, s[90:91]
; %bb.790:                              ;   in Loop: Header=BB6_753 Depth=4
	v_bfe_u32 v7, v53, 16, 1
	v_add3_u32 v7, v53, v7, s64
                                        ; implicit-def: $vgpr53
; %bb.791:                              ;   in Loop: Header=BB6_753 Depth=4
	s_andn2_saveexec_b64 s[90:91], s[90:91]
; %bb.792:                              ;   in Loop: Header=BB6_753 Depth=4
	v_or_b32_e32 v7, 0x10000, v53
	v_cmp_eq_u32_sdwa vcc, v53, v2 src0_sel:WORD_0 src1_sel:DWORD
	v_cndmask_b32_e32 v7, v7, v53, vcc
; %bb.793:                              ;   in Loop: Header=BB6_753 Depth=4
	s_or_b64 exec, exec, s[90:91]
	v_and_b32_e32 v17, 0xffff0000, v17
	v_lshlrev_b32_e32 v20, 16, v52
	v_add_f32_e32 v52, v17, v20
	v_and_b32_e32 v17, 0x7f800000, v52
	v_cmp_ne_u32_e32 vcc, s55, v17
                                        ; implicit-def: $vgpr17
	s_and_saveexec_b64 s[90:91], vcc
	s_xor_b64 s[90:91], exec, s[90:91]
; %bb.794:                              ;   in Loop: Header=BB6_753 Depth=4
	v_bfe_u32 v17, v52, 16, 1
	v_add3_u32 v17, v52, v17, s64
                                        ; implicit-def: $vgpr52
; %bb.795:                              ;   in Loop: Header=BB6_753 Depth=4
	s_andn2_saveexec_b64 s[90:91], s[90:91]
; %bb.796:                              ;   in Loop: Header=BB6_753 Depth=4
	v_or_b32_e32 v17, 0x10000, v52
	v_cmp_eq_u32_sdwa vcc, v52, v2 src0_sel:WORD_0 src1_sel:DWORD
	v_cndmask_b32_e32 v17, v17, v52, vcc
; %bb.797:                              ;   in Loop: Header=BB6_753 Depth=4
	s_or_b64 exec, exec, s[90:91]
	v_and_b32_e32 v19, 0xffff0000, v19
	v_lshlrev_b32_e32 v20, 16, v51
	v_add_f32_e32 v51, v19, v20
	v_and_b32_e32 v19, 0x7f800000, v51
	v_cmp_ne_u32_e32 vcc, s55, v19
                                        ; implicit-def: $vgpr19
	s_and_saveexec_b64 s[90:91], vcc
	s_xor_b64 s[90:91], exec, s[90:91]
; %bb.798:                              ;   in Loop: Header=BB6_753 Depth=4
	v_bfe_u32 v19, v51, 16, 1
	v_add3_u32 v19, v51, v19, s64
                                        ; implicit-def: $vgpr51
; %bb.799:                              ;   in Loop: Header=BB6_753 Depth=4
	s_andn2_saveexec_b64 s[90:91], s[90:91]
; %bb.800:                              ;   in Loop: Header=BB6_753 Depth=4
	v_or_b32_e32 v19, 0x10000, v51
	v_cmp_eq_u32_sdwa vcc, v51, v2 src0_sel:WORD_0 src1_sel:DWORD
	v_cndmask_b32_e32 v19, v19, v51, vcc
; %bb.801:                              ;   in Loop: Header=BB6_753 Depth=4
	s_or_b64 exec, exec, s[90:91]
	v_and_b32_e32 v20, 0xffff0000, v26
	v_lshlrev_b32_e32 v21, 16, v50
	v_add_f32_e32 v50, v20, v21
	v_and_b32_e32 v20, 0x7f800000, v50
	v_cmp_ne_u32_e32 vcc, s55, v20
                                        ; implicit-def: $vgpr26
	s_and_saveexec_b64 s[90:91], vcc
	s_xor_b64 s[90:91], exec, s[90:91]
; %bb.802:                              ;   in Loop: Header=BB6_753 Depth=4
	v_bfe_u32 v20, v50, 16, 1
	v_add3_u32 v26, v50, v20, s64
                                        ; implicit-def: $vgpr50
; %bb.803:                              ;   in Loop: Header=BB6_753 Depth=4
	s_andn2_saveexec_b64 s[90:91], s[90:91]
; %bb.804:                              ;   in Loop: Header=BB6_753 Depth=4
	v_or_b32_e32 v20, 0x10000, v50
	v_cmp_eq_u32_sdwa vcc, v50, v2 src0_sel:WORD_0 src1_sel:DWORD
	v_cndmask_b32_e32 v26, v20, v50, vcc
; %bb.805:                              ;   in Loop: Header=BB6_753 Depth=4
	s_or_b64 exec, exec, s[90:91]
	v_and_b32_e32 v20, 0xffff0000, v27
	v_lshlrev_b32_e32 v21, 16, v39
	v_add_f32_e32 v39, v20, v21
	v_and_b32_e32 v20, 0x7f800000, v39
	v_cmp_ne_u32_e32 vcc, s55, v20
                                        ; implicit-def: $vgpr27
	s_and_saveexec_b64 s[90:91], vcc
	s_xor_b64 s[90:91], exec, s[90:91]
; %bb.806:                              ;   in Loop: Header=BB6_753 Depth=4
	v_bfe_u32 v20, v39, 16, 1
	v_add3_u32 v27, v39, v20, s64
                                        ; implicit-def: $vgpr39
; %bb.807:                              ;   in Loop: Header=BB6_753 Depth=4
	s_andn2_saveexec_b64 s[90:91], s[90:91]
; %bb.808:                              ;   in Loop: Header=BB6_753 Depth=4
	v_or_b32_e32 v20, 0x10000, v39
	v_cmp_eq_u32_sdwa vcc, v39, v2 src0_sel:WORD_0 src1_sel:DWORD
	v_cndmask_b32_e32 v27, v20, v39, vcc
; %bb.809:                              ;   in Loop: Header=BB6_753 Depth=4
	s_or_b64 exec, exec, s[90:91]
	v_and_b32_e32 v20, 0xffff0000, v34
	v_lshlrev_b32_e32 v21, 16, v38
	v_add_f32_e32 v38, v20, v21
	v_and_b32_e32 v20, 0x7f800000, v38
	v_cmp_ne_u32_e32 vcc, s55, v20
                                        ; implicit-def: $vgpr34
	s_and_saveexec_b64 s[90:91], vcc
	s_xor_b64 s[90:91], exec, s[90:91]
; %bb.810:                              ;   in Loop: Header=BB6_753 Depth=4
	v_bfe_u32 v20, v38, 16, 1
	v_add3_u32 v34, v38, v20, s64
                                        ; implicit-def: $vgpr38
; %bb.811:                              ;   in Loop: Header=BB6_753 Depth=4
	s_andn2_saveexec_b64 s[90:91], s[90:91]
; %bb.812:                              ;   in Loop: Header=BB6_753 Depth=4
	v_or_b32_e32 v20, 0x10000, v38
	v_cmp_eq_u32_sdwa vcc, v38, v2 src0_sel:WORD_0 src1_sel:DWORD
	v_cndmask_b32_e32 v34, v20, v38, vcc
; %bb.813:                              ;   in Loop: Header=BB6_753 Depth=4
	s_or_b64 exec, exec, s[90:91]
	v_and_b32_e32 v20, 0xffff0000, v35
	v_lshlrev_b32_e32 v21, 16, v37
	v_add_f32_e32 v37, v20, v21
	v_and_b32_e32 v20, 0x7f800000, v37
	v_cmp_ne_u32_e32 vcc, s55, v20
                                        ; implicit-def: $vgpr35
	s_and_saveexec_b64 s[90:91], vcc
	s_xor_b64 s[90:91], exec, s[90:91]
; %bb.814:                              ;   in Loop: Header=BB6_753 Depth=4
	v_bfe_u32 v20, v37, 16, 1
	v_add3_u32 v35, v37, v20, s64
                                        ; implicit-def: $vgpr37
; %bb.815:                              ;   in Loop: Header=BB6_753 Depth=4
	s_andn2_saveexec_b64 s[90:91], s[90:91]
	s_cbranch_execz .LBB6_752
; %bb.816:                              ;   in Loop: Header=BB6_753 Depth=4
	v_or_b32_e32 v20, 0x10000, v37
	v_cmp_eq_u32_sdwa vcc, v37, v2 src0_sel:WORD_0 src1_sel:DWORD
	v_cndmask_b32_e32 v35, v20, v37, vcc
	s_branch .LBB6_752
.LBB6_817:                              ;   in Loop: Header=BB6_468 Depth=3
	s_or_b64 exec, exec, s[88:89]
.LBB6_818:                              ;   in Loop: Header=BB6_468 Depth=3
	s_or_b64 exec, exec, s[78:79]
	v_lshlrev_b32_e32 v5, 10, v18
	v_cmp_ne_u32_e32 vcc, v41, v5
	s_and_b64 exec, exec, vcc
	s_cbranch_execz .LBB6_830
; %bb.819:                              ;   in Loop: Header=BB6_468 Depth=3
	v_lshlrev_b32_e32 v0, 6, v0
	v_sub_u32_e32 v0, v4, v0
	v_lshlrev_b32_e32 v4, 6, v15
	v_sub_u32_e32 v0, v0, v4
	v_ashrrev_i32_e32 v4, 31, v0
	v_lshrrev_b32_e32 v4, 26, v4
	v_add_u32_e32 v4, v0, v4
	v_and_b32_e32 v6, 0x7fffffc0, v4
	v_sub_u32_e32 v0, v0, v6
	v_lshlrev_b32_e32 v4, 1, v4
	v_and_b32_e32 v4, 0xffffff80, v4
	v_lshlrev_b32_e32 v0, 1, v0
	v_add3_u32 v4, v4, v0, v5
	v_sub_u32_e32 v0, v41, v4
	v_cmp_lt_i32_e32 vcc, 1, v0
	s_and_b64 exec, exec, vcc
	s_cbranch_execz .LBB6_830
; %bb.820:                              ;   in Loop: Header=BB6_468 Depth=3
	v_add_u32_e32 v6, v4, v14
	s_trap 2
	ds_read_b64 v[4:5], v0
	v_ashrrev_i32_e32 v7, 31, v6
	v_add_co_u32_e32 v8, vcc, v6, v46
	v_addc_co_u32_e32 v9, vcc, v7, v47, vcc
	s_waitcnt lgkmcnt(0)
	v_add_co_u32_e32 v10, vcc, v4, v6
	ds_read_b32 v4, v0
	v_addc_co_u32_e32 v11, vcc, v5, v7, vcc
	v_add_co_u32_e32 v12, vcc, v6, v44
	v_addc_co_u32_e32 v13, vcc, v7, v45, vcc
	s_waitcnt lgkmcnt(0)
	v_lshlrev_b32_e32 v4, 16, v4
	s_mov_b64 s[78:79], 0
	s_branch .LBB6_822
.LBB6_821:                              ;   in Loop: Header=BB6_822 Depth=4
	s_or_b64 exec, exec, s[88:89]
	v_add_co_u32_e32 v8, vcc, v8, v1
	v_addc_co_u32_e32 v9, vcc, 0, v9, vcc
	v_add_co_u32_e32 v10, vcc, v10, v1
	v_addc_co_u32_e32 v11, vcc, 0, v11, vcc
	v_sub_u32_e32 v0, v0, v1
	v_cmp_gt_i32_e32 vcc, 2, v0
	flat_store_short_d16_hi v[12:13], v6 glc slc
	s_or_b64 s[78:79], vcc, s[78:79]
	v_add_co_u32_e32 v12, vcc, v12, v1
	v_addc_co_u32_e32 v13, vcc, 0, v13, vcc
	s_andn2_b64 exec, exec, s[78:79]
	s_cbranch_execz .LBB6_830
.LBB6_822:                              ;   Parent Loop BB6_47 Depth=1
                                        ;     Parent Loop BB6_465 Depth=2
                                        ;       Parent Loop BB6_468 Depth=3
                                        ; =>      This Inner Loop Header: Depth=4
	flat_load_ushort v5, v[8:9] glc slc
	s_waitcnt vmcnt(0) lgkmcnt(0)
	v_lshlrev_b32_e32 v5, 16, v5
	v_mul_f32_e32 v5, v4, v5
	v_and_b32_e32 v6, 0x7f800000, v5
	v_cmp_ne_u32_e32 vcc, s55, v6
                                        ; implicit-def: $vgpr6
	s_and_saveexec_b64 s[88:89], vcc
	s_xor_b64 s[88:89], exec, s[88:89]
; %bb.823:                              ;   in Loop: Header=BB6_822 Depth=4
	v_bfe_u32 v6, v5, 16, 1
	v_add3_u32 v6, v5, v6, s64
                                        ; implicit-def: $vgpr5
; %bb.824:                              ;   in Loop: Header=BB6_822 Depth=4
	s_andn2_saveexec_b64 s[88:89], s[88:89]
; %bb.825:                              ;   in Loop: Header=BB6_822 Depth=4
	v_or_b32_e32 v6, 0x10000, v5
	v_cmp_eq_u32_sdwa vcc, v5, v2 src0_sel:WORD_0 src1_sel:DWORD
	v_cndmask_b32_e32 v6, v6, v5, vcc
; %bb.826:                              ;   in Loop: Header=BB6_822 Depth=4
	s_or_b64 exec, exec, s[88:89]
	flat_load_ushort v5, v[10:11] glc slc
	v_and_b32_e32 v6, 0xffff0000, v6
	s_waitcnt vmcnt(0) lgkmcnt(0)
	v_lshlrev_b32_e32 v5, 16, v5
	v_add_f32_e32 v5, v6, v5
	v_and_b32_e32 v6, 0x7f800000, v5
	v_cmp_ne_u32_e32 vcc, s55, v6
                                        ; implicit-def: $vgpr6
	s_and_saveexec_b64 s[88:89], vcc
	s_xor_b64 s[88:89], exec, s[88:89]
; %bb.827:                              ;   in Loop: Header=BB6_822 Depth=4
	v_bfe_u32 v6, v5, 16, 1
	v_add3_u32 v6, v5, v6, s64
                                        ; implicit-def: $vgpr5
; %bb.828:                              ;   in Loop: Header=BB6_822 Depth=4
	s_andn2_saveexec_b64 s[88:89], s[88:89]
	s_cbranch_execz .LBB6_821
; %bb.829:                              ;   in Loop: Header=BB6_822 Depth=4
	v_or_b32_e32 v6, 0x10000, v5
	v_cmp_eq_u32_sdwa vcc, v5, v2 src0_sel:WORD_0 src1_sel:DWORD
	v_cndmask_b32_e32 v6, v6, v5, vcc
	s_branch .LBB6_821
.LBB6_830:                              ;   in Loop: Header=BB6_468 Depth=3
	s_or_b64 exec, exec, s[28:29]
	v_cmp_lt_i32_e64 s[28:29], 0, v3
	s_and_saveexec_b64 s[78:79], s[10:11]
	s_cbranch_execz .LBB6_543
.LBB6_831:                              ;   in Loop: Header=BB6_468 Depth=3
	s_and_saveexec_b64 s[88:89], s[56:57]
	s_xor_b64 s[88:89], exec, s[88:89]
	s_cbranch_execz .LBB6_846
; %bb.832:                              ;   in Loop: Header=BB6_468 Depth=3
	s_and_saveexec_b64 s[90:91], s[16:17]
	s_cbranch_execz .LBB6_845
; %bb.833:                              ;   in Loop: Header=BB6_468 Depth=3
	s_mov_b64 s[94:95], exec
	v_mbcnt_lo_u32_b32 v0, s94, 0
	v_mbcnt_hi_u32_b32 v0, s95, v0
	v_cmp_eq_u32_e32 vcc, 0, v0
	s_waitcnt vmcnt(0) lgkmcnt(0)
	buffer_wbinvl1_vol
	s_and_saveexec_b64 s[92:93], vcc
	s_cbranch_execz .LBB6_835
; %bb.834:                              ;   in Loop: Header=BB6_468 Depth=3
	s_bcnt1_i32_b64 s94, s[94:95]
	v_mov_b32_e32 v3, s94
	v_mov_b32_e32 v4, v2
	ds_add_u64 v0, v[3:4]
	s_trap 2
.LBB6_835:                              ;   in Loop: Header=BB6_468 Depth=3
	s_or_b64 exec, exec, s[92:93]
	s_trap 2
	ds_read_b64 v[3:4], v0
	s_waitcnt lgkmcnt(0)
	v_add_co_u32_e32 v32, vcc, v32, v16
	v_addc_co_u32_e32 v33, vcc, 0, v33, vcc
	v_cmp_lt_u64_e32 vcc, v[3:4], v[32:33]
	s_and_saveexec_b64 s[92:93], vcc
	s_cbranch_execz .LBB6_844
; %bb.836:                              ;   in Loop: Header=BB6_468 Depth=3
	s_mov_b32 s48, 0
	s_mov_b64 s[94:95], 0
                                        ; implicit-def: $sgpr30_sgpr31
                                        ; implicit-def: $sgpr34_sgpr35
	s_branch .LBB6_838
.LBB6_837:                              ;   in Loop: Header=BB6_838 Depth=4
	s_or_b64 exec, exec, s[38:39]
	s_and_b64 vcc, exec, vcc
	s_or_b64 s[94:95], vcc, s[94:95]
	s_andn2_b64 vcc, s[30:31], exec
	s_and_b64 s[30:31], s[34:35], exec
	s_or_b64 s[30:31], vcc, s[30:31]
	s_andn2_b64 exec, exec, s[94:95]
	s_cbranch_execz .LBB6_842
.LBB6_838:                              ;   Parent Loop BB6_47 Depth=1
                                        ;     Parent Loop BB6_465 Depth=2
                                        ;       Parent Loop BB6_468 Depth=3
                                        ; =>      This Inner Loop Header: Depth=4
	s_add_i32 s48, s48, 1
	s_cmpk_lg_i32 s48, 0x2710
	s_cselect_b64 s[36:37], -1, 0
	s_and_b64 vcc, exec, s[36:37]
	s_cbranch_vccz .LBB6_840
; %bb.839:                              ;   in Loop: Header=BB6_838 Depth=4
	s_mov_b64 vcc, -1
	s_or_b64 s[34:35], s[34:35], exec
	s_and_saveexec_b64 s[38:39], s[36:37]
	s_cbranch_execz .LBB6_837
	s_branch .LBB6_841
.LBB6_840:                              ;   in Loop: Header=BB6_838 Depth=4
	s_trap 2
	ds_read_b64 v[3:4], v0
	s_andn2_b64 s[36:37], s[36:37], exec
	s_mov_b32 s48, 0
	s_waitcnt lgkmcnt(0)
	flat_load_dword v0, v[3:4] glc
	s_waitcnt vmcnt(0) lgkmcnt(0)
	buffer_wbinvl1_vol
	v_cmp_eq_u32_e32 vcc, 0, v0
	s_and_b64 vcc, vcc, exec
	s_or_b64 s[36:37], s[36:37], vcc
	s_mov_b64 vcc, -1
	s_or_b64 s[34:35], s[34:35], exec
	s_and_saveexec_b64 s[38:39], s[36:37]
	s_cbranch_execz .LBB6_837
.LBB6_841:                              ;   in Loop: Header=BB6_838 Depth=4
	s_sleep 1
	s_trap 2
	ds_read_b64 v[3:4], v0
	s_waitcnt lgkmcnt(0)
	s_andn2_b64 s[34:35], s[34:35], exec
	v_cmp_ge_u64_e32 vcc, v[3:4], v[32:33]
	s_orn2_b64 vcc, vcc, exec
	s_branch .LBB6_837
.LBB6_842:                              ;   in Loop: Header=BB6_468 Depth=3
	s_or_b64 exec, exec, s[94:95]
	s_and_saveexec_b64 s[94:95], s[30:31]
	s_xor_b64 s[94:95], exec, s[94:95]
	s_cbranch_execz .LBB6_844
; %bb.843:                              ;   in Loop: Header=BB6_468 Depth=3
	v_mov_b32_e32 v0, 1
	ds_write_b32 v0, v0
	s_trap 2
.LBB6_844:                              ;   in Loop: Header=BB6_468 Depth=3
	s_or_b64 exec, exec, s[92:93]
	;;#ASMSTART
	s_wakeup
	;;#ASMEND
.LBB6_845:                              ;   in Loop: Header=BB6_468 Depth=3
	s_or_b64 exec, exec, s[90:91]
.LBB6_846:                              ;   in Loop: Header=BB6_468 Depth=3
	s_andn2_saveexec_b64 s[88:89], s[88:89]
	s_cbranch_execz .LBB6_848
; %bb.847:                              ;   in Loop: Header=BB6_468 Depth=3
	s_waitcnt vmcnt(0) lgkmcnt(0)
	buffer_wbinvl1_vol
	s_barrier
.LBB6_848:                              ;   in Loop: Header=BB6_468 Depth=3
	s_or_b64 exec, exec, s[88:89]
	s_or_b64 exec, exec, s[78:79]
                                        ; implicit-def: $vgpr0
	s_and_saveexec_b64 s[78:79], s[24:25]
	s_xor_b64 s[78:79], exec, s[78:79]
	s_cbranch_execnz .LBB6_544
.LBB6_849:                              ;   in Loop: Header=BB6_468 Depth=3
	s_andn2_saveexec_b64 s[28:29], s[78:79]
	s_cbranch_execz .LBB6_868
.LBB6_850:                              ;   in Loop: Header=BB6_468 Depth=3
	s_and_saveexec_b64 s[78:79], s[56:57]
	s_xor_b64 s[78:79], exec, s[78:79]
	s_cbranch_execz .LBB6_865
; %bb.851:                              ;   in Loop: Header=BB6_468 Depth=3
	s_and_saveexec_b64 s[88:89], s[16:17]
	s_cbranch_execz .LBB6_864
; %bb.852:                              ;   in Loop: Header=BB6_468 Depth=3
	s_mov_b64 s[92:93], exec
	v_mbcnt_lo_u32_b32 v0, s92, 0
	v_mbcnt_hi_u32_b32 v0, s93, v0
	v_cmp_eq_u32_e32 vcc, 0, v0
	;;#ASMSTART
	s_waitcnt lgkmcnt(0) vmcnt(0)
	;;#ASMEND
	s_and_saveexec_b64 s[90:91], vcc
	s_cbranch_execz .LBB6_854
; %bb.853:                              ;   in Loop: Header=BB6_468 Depth=3
	s_bcnt1_i32_b64 s92, s[92:93]
	v_mov_b32_e32 v3, s92
	v_mov_b32_e32 v4, v2
	s_waitcnt lgkmcnt(0)
	ds_add_u64 v0, v[3:4]
	s_trap 2
.LBB6_854:                              ;   in Loop: Header=BB6_468 Depth=3
	s_or_b64 exec, exec, s[90:91]
	s_trap 2
	ds_read_b64 v[3:4], v0
	s_waitcnt lgkmcnt(0)
	v_add_co_u32_e32 v32, vcc, v32, v16
	v_addc_co_u32_e32 v33, vcc, 0, v33, vcc
	v_cmp_lt_u64_e32 vcc, v[3:4], v[32:33]
	s_and_saveexec_b64 s[90:91], vcc
	s_cbranch_execz .LBB6_863
; %bb.855:                              ;   in Loop: Header=BB6_468 Depth=3
	s_mov_b32 s38, 0
	s_mov_b64 s[92:93], 0
                                        ; implicit-def: $sgpr94_sgpr95
                                        ; implicit-def: $sgpr30_sgpr31
	s_branch .LBB6_857
.LBB6_856:                              ;   in Loop: Header=BB6_857 Depth=4
	s_or_b64 exec, exec, s[36:37]
	s_and_b64 vcc, exec, vcc
	s_or_b64 s[92:93], vcc, s[92:93]
	s_andn2_b64 s[94:95], s[94:95], exec
	s_and_b64 vcc, s[30:31], exec
	s_or_b64 s[94:95], s[94:95], vcc
	s_andn2_b64 exec, exec, s[92:93]
	s_cbranch_execz .LBB6_861
.LBB6_857:                              ;   Parent Loop BB6_47 Depth=1
                                        ;     Parent Loop BB6_465 Depth=2
                                        ;       Parent Loop BB6_468 Depth=3
                                        ; =>      This Inner Loop Header: Depth=4
	s_add_i32 s38, s38, 1
	s_cmpk_lg_i32 s38, 0x2710
	s_cselect_b64 s[34:35], -1, 0
	s_and_b64 vcc, exec, s[34:35]
	s_cbranch_vccz .LBB6_859
; %bb.858:                              ;   in Loop: Header=BB6_857 Depth=4
	s_mov_b64 vcc, -1
	s_or_b64 s[30:31], s[30:31], exec
	s_and_saveexec_b64 s[36:37], s[34:35]
	s_cbranch_execz .LBB6_856
	s_branch .LBB6_860
.LBB6_859:                              ;   in Loop: Header=BB6_857 Depth=4
	s_trap 2
	ds_read_b64 v[3:4], v0
	s_andn2_b64 s[34:35], s[34:35], exec
	s_mov_b32 s38, 0
	s_waitcnt vmcnt(0) lgkmcnt(0)
	flat_load_dword v0, v[3:4] glc
	s_waitcnt vmcnt(0) lgkmcnt(0)
	buffer_wbinvl1_vol
	v_cmp_eq_u32_e32 vcc, 0, v0
	s_and_b64 vcc, vcc, exec
	s_or_b64 s[34:35], s[34:35], vcc
	s_mov_b64 vcc, -1
	s_or_b64 s[30:31], s[30:31], exec
	s_and_saveexec_b64 s[36:37], s[34:35]
	s_cbranch_execz .LBB6_856
.LBB6_860:                              ;   in Loop: Header=BB6_857 Depth=4
	s_sleep 1
	s_trap 2
	ds_read_b64 v[3:4], v0
	s_waitcnt lgkmcnt(0)
	s_andn2_b64 s[30:31], s[30:31], exec
	v_cmp_ge_u64_e32 vcc, v[3:4], v[32:33]
	s_orn2_b64 vcc, vcc, exec
	s_branch .LBB6_856
.LBB6_861:                              ;   in Loop: Header=BB6_468 Depth=3
	s_or_b64 exec, exec, s[92:93]
	s_and_saveexec_b64 s[92:93], s[94:95]
	s_xor_b64 s[92:93], exec, s[92:93]
	s_cbranch_execz .LBB6_863
; %bb.862:                              ;   in Loop: Header=BB6_468 Depth=3
	v_mov_b32_e32 v0, 1
	ds_write_b32 v0, v0
	s_trap 2
.LBB6_863:                              ;   in Loop: Header=BB6_468 Depth=3
	s_or_b64 exec, exec, s[90:91]
	;;#ASMSTART
	s_wakeup
	;;#ASMEND
.LBB6_864:                              ;   in Loop: Header=BB6_468 Depth=3
	s_or_b64 exec, exec, s[88:89]
.LBB6_865:                              ;   in Loop: Header=BB6_468 Depth=3
	s_andn2_saveexec_b64 s[78:79], s[78:79]
	s_cbranch_execz .LBB6_867
; %bb.866:                              ;   in Loop: Header=BB6_468 Depth=3
	;;#ASMSTART
	s_waitcnt lgkmcnt(0) vmcnt(0)
	;;#ASMEND
	s_waitcnt vmcnt(0) lgkmcnt(0)
	s_barrier
.LBB6_867:                              ;   in Loop: Header=BB6_468 Depth=3
	s_or_b64 exec, exec, s[78:79]
	v_and_b32_e32 v0, 16, v30
.LBB6_868:                              ;   in Loop: Header=BB6_468 Depth=3
	s_or_b64 exec, exec, s[28:29]
	v_cmp_ne_u32_e32 vcc, 0, v0
	s_xor_b64 s[28:29], s[12:13], -1
	s_and_b64 s[78:79], vcc, s[28:29]
	s_and_saveexec_b64 s[28:29], s[78:79]
	s_cbranch_execz .LBB6_870
; %bb.869:                              ;   in Loop: Header=BB6_468 Depth=3
	buffer_load_dword v3, off, s[0:3], s33 offset:68 ; 4-byte Folded Reload
	buffer_load_dword v4, off, s[0:3], s33 offset:72 ; 4-byte Folded Reload
	v_mov_b32_e32 v0, 1
	s_waitcnt vmcnt(0)
	flat_store_dword v[3:4], v0
.LBB6_870:                              ;   in Loop: Header=BB6_468 Depth=3
	s_or_b64 exec, exec, s[28:29]
	v_and_b32_e32 v0, 48, v30
	v_cmp_ne_u32_e32 vcc, 0, v0
	s_and_saveexec_b64 s[28:29], vcc
	s_cbranch_execz .LBB6_467
; %bb.871:                              ;   in Loop: Header=BB6_468 Depth=3
	v_add_co_u32_e32 v48, vcc, 2, v48
	v_addc_co_u32_e32 v49, vcc, 0, v49, vcc
	flat_store_dwordx2 v[22:23], v[48:49]
	s_branch .LBB6_467
.LBB6_872:                              ;   in Loop: Header=BB6_465 Depth=2
	s_or_b64 exec, exec, s[40:41]
	v_cmp_gt_i32_e32 vcc, 2, v0
	s_and_saveexec_b64 s[40:41], vcc
	s_cbranch_execz .LBB6_464
	s_branch .LBB6_874
.LBB6_873:                              ;   in Loop: Header=BB6_465 Depth=2
	s_or_b64 exec, exec, s[42:43]
	buffer_load_dword v42, off, s[0:3], s33 offset:124 ; 4-byte Folded Reload
	buffer_load_dword v43, off, s[0:3], s33 offset:128 ; 4-byte Folded Reload
	s_or_b64 exec, exec, s[40:41]
	v_cmp_gt_i32_e32 vcc, 2, v0
	s_and_saveexec_b64 s[40:41], vcc
	s_cbranch_execz .LBB6_464
.LBB6_874:                              ;   in Loop: Header=BB6_465 Depth=2
	v_cmp_eq_u32_e64 s[76:77], 0, v0
	s_mov_b64 s[42:43], 0
	s_branch .LBB6_876
.LBB6_875:                              ;   in Loop: Header=BB6_876 Depth=3
	s_or_b64 exec, exec, s[28:29]
	v_add_u32_e32 v40, v54, v40
	s_mov_b64 s[76:77], 0
	s_andn2_b64 exec, exec, s[42:43]
	s_cbranch_execz .LBB6_463
.LBB6_876:                              ;   Parent Loop BB6_47 Depth=1
                                        ;     Parent Loop BB6_465 Depth=2
                                        ; =>    This Loop Header: Depth=3
                                        ;         Child Loop BB6_882 Depth 4
                                        ;         Child Loop BB6_910 Depth 4
                                        ;         Child Loop BB6_929 Depth 4
	v_sub_u32_e32 v0, v59, v40
	v_min_i32_e32 v54, v54, v0
	v_and_b32_e32 v0, 12, v30
	v_cmp_ne_u32_e32 vcc, 0, v0
	s_and_saveexec_b64 s[78:79], vcc
	s_cbranch_execz .LBB6_902
; %bb.877:                              ;   in Loop: Header=BB6_876 Depth=3
	v_and_b32_e32 v0, 8, v30
	s_waitcnt lgkmcnt(0)
	v_add_co_u32_e32 v3, vcc, v28, v0
	v_addc_co_u32_e32 v4, vcc, 0, v29, vcc
	v_add_co_u32_e32 v8, vcc, 2, v48
	v_addc_co_u32_e32 v9, vcc, 0, v49, vcc
	v_cmp_lt_u64_e32 vcc, v[3:4], v[8:9]
	s_and_saveexec_b64 s[88:89], vcc
	s_cbranch_execz .LBB6_889
; %bb.878:                              ;   in Loop: Header=BB6_876 Depth=3
	v_and_b32_e32 v3, 64, v30
	s_mov_b32 s84, 0
	v_cmp_eq_u32_e32 vcc, 0, v3
	s_mov_b64 s[90:91], 0
                                        ; implicit-def: $sgpr92_sgpr93
                                        ; implicit-def: $sgpr94_sgpr95
                                        ; implicit-def: $sgpr30_sgpr31
	s_branch .LBB6_882
.LBB6_879:                              ;   in Loop: Header=BB6_882 Depth=4
	s_waitcnt vmcnt(0) lgkmcnt(0)
	v_add_co_u32_e64 v4, s[28:29], v28, v0
	v_addc_co_u32_e64 v5, s[28:29], 0, v29, s[28:29]
	v_cmp_ge_u64_e64 s[28:29], v[4:5], v[8:9]
	s_or_b64 s[38:39], s[38:39], exec
	s_orn2_b64 s[36:37], s[28:29], exec
.LBB6_880:                              ;   in Loop: Header=BB6_882 Depth=4
	s_or_b64 exec, exec, s[50:51]
	s_andn2_b64 s[28:29], s[30:31], exec
	s_and_b64 s[30:31], s[38:39], exec
	s_or_b64 s[30:31], s[28:29], s[30:31]
	s_andn2_b64 s[28:29], s[94:95], exec
	s_and_b64 s[94:95], s[36:37], exec
	s_or_b64 s[94:95], s[28:29], s[94:95]
.LBB6_881:                              ;   in Loop: Header=BB6_882 Depth=4
	s_or_b64 exec, exec, s[34:35]
	s_and_b64 s[28:29], exec, s[94:95]
	s_or_b64 s[90:91], s[28:29], s[90:91]
	s_andn2_b64 s[28:29], s[92:93], exec
	s_and_b64 s[92:93], s[30:31], exec
	s_or_b64 s[92:93], s[28:29], s[92:93]
	s_andn2_b64 exec, exec, s[90:91]
	s_cbranch_execz .LBB6_886
.LBB6_882:                              ;   Parent Loop BB6_47 Depth=1
                                        ;     Parent Loop BB6_465 Depth=2
                                        ;       Parent Loop BB6_876 Depth=3
                                        ; =>      This Inner Loop Header: Depth=4
	s_sleep 1
	s_waitcnt vmcnt(0) lgkmcnt(0)
	flat_load_dwordx2 v[28:29], v[22:23] glc
	s_or_b64 s[30:31], s[30:31], exec
	s_or_b64 s[94:95], s[94:95], exec
                                        ; implicit-def: $vgpr3
	s_and_saveexec_b64 s[34:35], vcc
	s_cbranch_execz .LBB6_881
; %bb.883:                              ;   in Loop: Header=BB6_882 Depth=4
	s_cmpk_lt_i32 s84, 0x270f
	s_cselect_b64 s[48:49], -1, 0
	s_cmpk_gt_i32 s84, 0x270e
	s_mov_b64 s[36:37], -1
	s_cbranch_scc0 .LBB6_885
; %bb.884:                              ;   in Loop: Header=BB6_882 Depth=4
	s_trap 2
	ds_read_b64 v[3:4], v0
	s_andn2_b64 s[48:49], s[48:49], exec
	s_mov_b32 s84, 0
	s_mov_b64 s[38:39], 0
	s_waitcnt vmcnt(0) lgkmcnt(0)
	flat_load_dword v3, v[3:4] glc
	s_waitcnt vmcnt(0) lgkmcnt(0)
	buffer_wbinvl1_vol
	v_cmp_eq_u32_e64 s[28:29], 0, v3
	s_and_b64 s[28:29], s[28:29], exec
	s_or_b64 s[48:49], s[48:49], s[28:29]
	s_and_saveexec_b64 s[50:51], s[48:49]
	s_cbranch_execz .LBB6_880
	s_branch .LBB6_879
.LBB6_885:                              ;   in Loop: Header=BB6_882 Depth=4
	s_add_i32 s84, s84, 1
	s_mov_b64 s[38:39], -1
                                        ; implicit-def: $vgpr3
	s_and_saveexec_b64 s[50:51], s[48:49]
	s_cbranch_execz .LBB6_880
	s_branch .LBB6_879
.LBB6_886:                              ;   in Loop: Header=BB6_876 Depth=3
	s_or_b64 exec, exec, s[90:91]
	s_xor_b64 s[28:29], s[92:93], -1
	s_and_saveexec_b64 s[90:91], s[28:29]
	s_xor_b64 s[28:29], exec, s[90:91]
	s_cbranch_execz .LBB6_888
; %bb.887:                              ;   in Loop: Header=BB6_876 Depth=3
	v_or_b32_e32 v30, 64, v30
	s_waitcnt lgkmcnt(0)
	ds_write_b32 v0, v3
	s_trap 2
.LBB6_888:                              ;   in Loop: Header=BB6_876 Depth=3
	s_or_b64 exec, exec, s[28:29]
.LBB6_889:                              ;   in Loop: Header=BB6_876 Depth=3
	s_or_b64 exec, exec, s[88:89]
	v_and_b32_e32 v3, 0x108, v30
	v_cmp_ne_u32_e32 vcc, s66, v3
	;;#ASMSTART
	s_wakeup
	;;#ASMEND
                                        ; implicit-def: $vgpr10_vgpr11
	s_and_saveexec_b64 s[28:29], vcc
	s_xor_b64 s[28:29], exec, s[28:29]
; %bb.890:                              ;   in Loop: Header=BB6_876 Depth=3
	v_and_b32_e32 v10, 7, v48
	v_mov_b32_e32 v11, v2
                                        ; implicit-def: $vgpr48_vgpr49
; %bb.891:                              ;   in Loop: Header=BB6_876 Depth=3
	s_andn2_saveexec_b64 s[28:29], s[28:29]
	s_cbranch_execz .LBB6_893
; %bb.892:                              ;   in Loop: Header=BB6_876 Depth=3
	buffer_load_dword v3, off, s[0:3], s33 offset:96 ; 4-byte Folded Reload
	buffer_load_dword v4, off, s[0:3], s33 offset:100 ; 4-byte Folded Reload
	;; [unrolled: 1-line block ×4, first 2 shown]
	v_and_b32_e32 v10, 7, v48
	v_ashrrev_i32_e32 v55, 31, v54
	s_waitcnt vmcnt(0)
	v_lshlrev_b64 v[5:6], 1, v[54:55]
	v_mov_b32_e32 v11, v2
	v_mad_u64_u32 v[3:4], s[88:89], v10, 24, v[3:4]
	flat_store_dwordx2 v[3:4], v[5:6] offset:8
.LBB6_893:                              ;   in Loop: Header=BB6_876 Depth=3
	s_or_b64 exec, exec, s[28:29]
	v_and_b32_e32 v3, 0x100, v30
	v_cmp_ne_u32_e32 vcc, 0, v3
	s_mov_b64 s[28:29], -1
                                        ; implicit-def: $vgpr12_vgpr13
	s_and_saveexec_b64 s[88:89], vcc
	s_cbranch_execz .LBB6_897
; %bb.894:                              ;   in Loop: Header=BB6_876 Depth=3
	buffer_load_dword v3, off, s[0:3], s33 offset:96 ; 4-byte Folded Reload
	buffer_load_dword v4, off, s[0:3], s33 offset:100 ; 4-byte Folded Reload
	;; [unrolled: 1-line block ×4, first 2 shown]
                                        ; implicit-def: $vgpr12_vgpr13
	s_waitcnt vmcnt(0)
	v_mad_u64_u32 v[14:15], s[28:29], v10, 24, v[3:4]
	v_mov_b32_e32 v3, v15
	v_mad_u64_u32 v[3:4], s[28:29], v11, 24, v[3:4]
	v_mov_b32_e32 v15, v3
	flat_load_dword v3, v[14:15]
	s_waitcnt vmcnt(0) lgkmcnt(0)
	v_cmp_ne_u32_e32 vcc, 1, v3
	v_cmp_eq_u32_e64 s[28:29], 1, v3
	s_and_saveexec_b64 s[90:91], s[28:29]
	s_cbranch_execz .LBB6_896
; %bb.895:                              ;   in Loop: Header=BB6_876 Depth=3
	flat_load_dword v3, v[14:15] offset:4 glc
	s_waitcnt vmcnt(0) lgkmcnt(0)
	v_ashrrev_i32_e32 v4, 31, v3
	v_lshrrev_b64 v[12:13], 1, v[3:4]
.LBB6_896:                              ;   in Loop: Header=BB6_876 Depth=3
	s_or_b64 exec, exec, s[90:91]
	s_orn2_b64 s[28:29], vcc, exec
.LBB6_897:                              ;   in Loop: Header=BB6_876 Depth=3
	s_or_b64 exec, exec, s[88:89]
	s_and_saveexec_b64 s[88:89], s[28:29]
	s_cbranch_execz .LBB6_899
; %bb.898:                              ;   in Loop: Header=BB6_876 Depth=3
	buffer_load_dword v5, off, s[0:3], s33 offset:76 ; 4-byte Folded Reload
	buffer_load_dword v4, off, s[0:3], s33 offset:92 ; 4-byte Folded Reload
	s_waitcnt vmcnt(0)
	v_mul_lo_u32 v3, v11, v5
	v_mul_lo_u32 v4, v10, v4
	v_mad_u64_u32 v[12:13], s[28:29], v10, v5, 0
	v_add3_u32 v13, v13, v4, v3
.LBB6_899:                              ;   in Loop: Header=BB6_876 Depth=3
	s_or_b64 exec, exec, s[88:89]
	buffer_load_dword v5, off, s[0:3], s33 offset:60 ; 4-byte Folded Reload
	buffer_load_dword v6, off, s[0:3], s33 offset:64 ; 4-byte Folded Reload
	v_lshlrev_b64 v[3:4], 1, v[12:13]
	v_cmp_eq_u32_e32 vcc, 0, v0
	v_cndmask_b32_e32 v0, v24, v25, vcc
	v_add_u32_e32 v0, v0, v0
	s_waitcnt vmcnt(0)
	v_add_co_u32_e32 v3, vcc, v5, v3
	v_addc_co_u32_e32 v4, vcc, v6, v4, vcc
	ds_write_b64 v0, v[3:4] offset:584
	v_and_b32_e32 v0, 0x2000, v30
	v_cmp_ne_u32_e32 vcc, 0, v0
	s_and_saveexec_b64 s[28:29], vcc
	s_cbranch_execz .LBB6_901
; %bb.900:                              ;   in Loop: Header=BB6_876 Depth=3
	ds_read_b64 v[3:4], v0 offset:872
	s_waitcnt lgkmcnt(0)
	v_add_co_u32_e32 v3, vcc, 1, v3
	v_addc_co_u32_e32 v4, vcc, 0, v4, vcc
	ds_write_b64 v0, v[3:4] offset:872
.LBB6_901:                              ;   in Loop: Header=BB6_876 Depth=3
	s_or_b64 exec, exec, s[28:29]
	v_mov_b32_e32 v49, v9
	v_mov_b32_e32 v48, v8
.LBB6_902:                              ;   in Loop: Header=BB6_876 Depth=3
	s_or_b64 exec, exec, s[78:79]
	s_xor_b64 s[28:29], s[76:77], -1
	s_and_b64 s[28:29], exec, s[28:29]
	s_or_b64 s[42:43], s[28:29], s[42:43]
	s_and_saveexec_b64 s[28:29], s[10:11]
	s_cbranch_execz .LBB6_921
; %bb.903:                              ;   in Loop: Header=BB6_876 Depth=3
	s_and_saveexec_b64 s[76:77], s[56:57]
	s_xor_b64 s[76:77], exec, s[76:77]
	s_cbranch_execz .LBB6_918
; %bb.904:                              ;   in Loop: Header=BB6_876 Depth=3
	s_and_saveexec_b64 s[78:79], s[16:17]
	s_cbranch_execz .LBB6_917
; %bb.905:                              ;   in Loop: Header=BB6_876 Depth=3
	s_mov_b64 s[90:91], exec
	v_mbcnt_lo_u32_b32 v0, s90, 0
	v_mbcnt_hi_u32_b32 v0, s91, v0
	v_cmp_eq_u32_e32 vcc, 0, v0
	s_waitcnt vmcnt(0) lgkmcnt(0)
	buffer_wbinvl1_vol
	s_and_saveexec_b64 s[88:89], vcc
	s_cbranch_execz .LBB6_907
; %bb.906:                              ;   in Loop: Header=BB6_876 Depth=3
	s_bcnt1_i32_b64 s90, s[90:91]
	v_mov_b32_e32 v3, s90
	v_mov_b32_e32 v4, v2
	ds_add_u64 v0, v[3:4]
	s_trap 2
.LBB6_907:                              ;   in Loop: Header=BB6_876 Depth=3
	s_or_b64 exec, exec, s[88:89]
	s_trap 2
	ds_read_b64 v[3:4], v0
	s_waitcnt lgkmcnt(0)
	v_add_co_u32_e32 v32, vcc, v32, v16
	v_addc_co_u32_e32 v33, vcc, 0, v33, vcc
	v_cmp_lt_u64_e32 vcc, v[3:4], v[32:33]
	s_and_saveexec_b64 s[88:89], vcc
	s_cbranch_execz .LBB6_916
; %bb.908:                              ;   in Loop: Header=BB6_876 Depth=3
	s_mov_b32 s36, 0
	s_mov_b64 s[90:91], 0
                                        ; implicit-def: $sgpr92_sgpr93
                                        ; implicit-def: $sgpr94_sgpr95
	s_branch .LBB6_910
.LBB6_909:                              ;   in Loop: Header=BB6_910 Depth=4
	s_or_b64 exec, exec, s[34:35]
	s_and_b64 vcc, exec, vcc
	s_or_b64 s[90:91], vcc, s[90:91]
	s_andn2_b64 s[92:93], s[92:93], exec
	s_and_b64 vcc, s[94:95], exec
	s_or_b64 s[92:93], s[92:93], vcc
	s_andn2_b64 exec, exec, s[90:91]
	s_cbranch_execz .LBB6_914
.LBB6_910:                              ;   Parent Loop BB6_47 Depth=1
                                        ;     Parent Loop BB6_465 Depth=2
                                        ;       Parent Loop BB6_876 Depth=3
                                        ; =>      This Inner Loop Header: Depth=4
	s_add_i32 s36, s36, 1
	s_cmpk_lg_i32 s36, 0x2710
	s_cselect_b64 s[30:31], -1, 0
	s_and_b64 vcc, exec, s[30:31]
	s_cbranch_vccz .LBB6_912
; %bb.911:                              ;   in Loop: Header=BB6_910 Depth=4
	s_mov_b64 vcc, -1
	s_or_b64 s[94:95], s[94:95], exec
	s_and_saveexec_b64 s[34:35], s[30:31]
	s_cbranch_execz .LBB6_909
	s_branch .LBB6_913
.LBB6_912:                              ;   in Loop: Header=BB6_910 Depth=4
	s_trap 2
	ds_read_b64 v[3:4], v0
	s_andn2_b64 s[30:31], s[30:31], exec
	s_mov_b32 s36, 0
	s_waitcnt lgkmcnt(0)
	flat_load_dword v0, v[3:4] glc
	s_waitcnt vmcnt(0) lgkmcnt(0)
	buffer_wbinvl1_vol
	v_cmp_eq_u32_e32 vcc, 0, v0
	s_and_b64 vcc, vcc, exec
	s_or_b64 s[30:31], s[30:31], vcc
	s_mov_b64 vcc, -1
	s_or_b64 s[94:95], s[94:95], exec
	s_and_saveexec_b64 s[34:35], s[30:31]
	s_cbranch_execz .LBB6_909
.LBB6_913:                              ;   in Loop: Header=BB6_910 Depth=4
	s_sleep 1
	s_trap 2
	ds_read_b64 v[3:4], v0
	s_waitcnt lgkmcnt(0)
	s_andn2_b64 s[94:95], s[94:95], exec
	v_cmp_ge_u64_e32 vcc, v[3:4], v[32:33]
	s_orn2_b64 vcc, vcc, exec
	s_branch .LBB6_909
.LBB6_914:                              ;   in Loop: Header=BB6_876 Depth=3
	s_or_b64 exec, exec, s[90:91]
	s_and_saveexec_b64 s[90:91], s[92:93]
	s_xor_b64 s[90:91], exec, s[90:91]
	s_cbranch_execz .LBB6_916
; %bb.915:                              ;   in Loop: Header=BB6_876 Depth=3
	v_mov_b32_e32 v0, 1
	ds_write_b32 v0, v0
	s_trap 2
.LBB6_916:                              ;   in Loop: Header=BB6_876 Depth=3
	s_or_b64 exec, exec, s[88:89]
	;;#ASMSTART
	s_wakeup
	;;#ASMEND
.LBB6_917:                              ;   in Loop: Header=BB6_876 Depth=3
	s_or_b64 exec, exec, s[78:79]
.LBB6_918:                              ;   in Loop: Header=BB6_876 Depth=3
	s_andn2_saveexec_b64 s[76:77], s[76:77]
	s_cbranch_execz .LBB6_920
; %bb.919:                              ;   in Loop: Header=BB6_876 Depth=3
	s_waitcnt vmcnt(0) lgkmcnt(0)
	buffer_wbinvl1_vol
	s_barrier
.LBB6_920:                              ;   in Loop: Header=BB6_876 Depth=3
	s_or_b64 exec, exec, s[76:77]
.LBB6_921:                              ;   in Loop: Header=BB6_876 Depth=3
	s_or_b64 exec, exec, s[28:29]
                                        ; implicit-def: $vgpr0
	s_and_saveexec_b64 s[28:29], s[62:63]
	s_xor_b64 s[28:29], exec, s[28:29]
	s_cbranch_execz .LBB6_933
; %bb.922:                              ;   in Loop: Header=BB6_876 Depth=3
	s_and_saveexec_b64 s[76:77], s[56:57]
	s_xor_b64 s[76:77], exec, s[76:77]
	s_cbranch_execz .LBB6_938
; %bb.923:                              ;   in Loop: Header=BB6_876 Depth=3
	s_and_saveexec_b64 s[78:79], s[16:17]
	s_cbranch_execz .LBB6_937
; %bb.924:                              ;   in Loop: Header=BB6_876 Depth=3
	s_mov_b64 s[90:91], exec
	v_mbcnt_lo_u32_b32 v0, s90, 0
	v_mbcnt_hi_u32_b32 v0, s91, v0
	v_cmp_eq_u32_e32 vcc, 0, v0
	;;#ASMSTART
	s_waitcnt lgkmcnt(0) vmcnt(0)
	;;#ASMEND
	s_and_saveexec_b64 s[88:89], vcc
	s_cbranch_execz .LBB6_926
; %bb.925:                              ;   in Loop: Header=BB6_876 Depth=3
	s_bcnt1_i32_b64 s90, s[90:91]
	v_mov_b32_e32 v3, s90
	v_mov_b32_e32 v4, v2
	s_waitcnt lgkmcnt(0)
	ds_add_u64 v0, v[3:4]
	s_trap 2
.LBB6_926:                              ;   in Loop: Header=BB6_876 Depth=3
	s_or_b64 exec, exec, s[88:89]
	s_trap 2
	ds_read_b64 v[3:4], v0
	s_waitcnt lgkmcnt(0)
	v_add_co_u32_e32 v32, vcc, v32, v16
	v_addc_co_u32_e32 v33, vcc, 0, v33, vcc
	v_cmp_lt_u64_e32 vcc, v[3:4], v[32:33]
	s_and_saveexec_b64 s[88:89], vcc
	s_cbranch_execz .LBB6_936
; %bb.927:                              ;   in Loop: Header=BB6_876 Depth=3
	s_mov_b32 s36, 0
	s_mov_b64 s[90:91], 0
                                        ; implicit-def: $sgpr92_sgpr93
                                        ; implicit-def: $sgpr94_sgpr95
	s_branch .LBB6_929
.LBB6_928:                              ;   in Loop: Header=BB6_929 Depth=4
	s_or_b64 exec, exec, s[34:35]
	s_and_b64 vcc, exec, vcc
	s_or_b64 s[90:91], vcc, s[90:91]
	s_andn2_b64 s[92:93], s[92:93], exec
	s_and_b64 vcc, s[94:95], exec
	s_or_b64 s[92:93], s[92:93], vcc
	s_andn2_b64 exec, exec, s[90:91]
	s_cbranch_execz .LBB6_934
.LBB6_929:                              ;   Parent Loop BB6_47 Depth=1
                                        ;     Parent Loop BB6_465 Depth=2
                                        ;       Parent Loop BB6_876 Depth=3
                                        ; =>      This Inner Loop Header: Depth=4
	s_add_i32 s36, s36, 1
	s_cmpk_lg_i32 s36, 0x2710
	s_cselect_b64 s[30:31], -1, 0
	s_and_b64 vcc, exec, s[30:31]
	s_cbranch_vccz .LBB6_931
; %bb.930:                              ;   in Loop: Header=BB6_929 Depth=4
	s_mov_b64 vcc, -1
	s_or_b64 s[94:95], s[94:95], exec
	s_and_saveexec_b64 s[34:35], s[30:31]
	s_cbranch_execz .LBB6_928
	s_branch .LBB6_932
.LBB6_931:                              ;   in Loop: Header=BB6_929 Depth=4
	s_trap 2
	ds_read_b64 v[3:4], v0
	s_andn2_b64 s[30:31], s[30:31], exec
	s_mov_b32 s36, 0
	s_waitcnt vmcnt(0) lgkmcnt(0)
	flat_load_dword v0, v[3:4] glc
	s_waitcnt vmcnt(0) lgkmcnt(0)
	buffer_wbinvl1_vol
	v_cmp_eq_u32_e32 vcc, 0, v0
	s_and_b64 vcc, vcc, exec
	s_or_b64 s[30:31], s[30:31], vcc
	s_mov_b64 vcc, -1
	s_or_b64 s[94:95], s[94:95], exec
	s_and_saveexec_b64 s[34:35], s[30:31]
	s_cbranch_execz .LBB6_928
.LBB6_932:                              ;   in Loop: Header=BB6_929 Depth=4
	s_sleep 1
	s_trap 2
	ds_read_b64 v[3:4], v0
	s_waitcnt lgkmcnt(0)
	s_andn2_b64 s[94:95], s[94:95], exec
	v_cmp_ge_u64_e32 vcc, v[3:4], v[32:33]
	s_orn2_b64 vcc, vcc, exec
	s_branch .LBB6_928
.LBB6_933:                              ;   in Loop: Header=BB6_876 Depth=3
	s_andn2_saveexec_b64 s[28:29], s[28:29]
	s_cbranch_execnz .LBB6_941
	s_branch .LBB6_944
.LBB6_934:                              ;   in Loop: Header=BB6_876 Depth=3
	s_or_b64 exec, exec, s[90:91]
	s_and_saveexec_b64 s[90:91], s[92:93]
	s_xor_b64 s[90:91], exec, s[90:91]
	s_cbranch_execz .LBB6_936
; %bb.935:                              ;   in Loop: Header=BB6_876 Depth=3
	v_mov_b32_e32 v0, 1
	ds_write_b32 v0, v0
	s_trap 2
.LBB6_936:                              ;   in Loop: Header=BB6_876 Depth=3
	s_or_b64 exec, exec, s[88:89]
	;;#ASMSTART
	s_wakeup
	;;#ASMEND
.LBB6_937:                              ;   in Loop: Header=BB6_876 Depth=3
	s_or_b64 exec, exec, s[78:79]
.LBB6_938:                              ;   in Loop: Header=BB6_876 Depth=3
	s_andn2_saveexec_b64 s[76:77], s[76:77]
	s_cbranch_execz .LBB6_940
; %bb.939:                              ;   in Loop: Header=BB6_876 Depth=3
	;;#ASMSTART
	s_waitcnt lgkmcnt(0) vmcnt(0)
	;;#ASMEND
	s_waitcnt vmcnt(0) lgkmcnt(0)
	s_barrier
.LBB6_940:                              ;   in Loop: Header=BB6_876 Depth=3
	s_or_b64 exec, exec, s[76:77]
	v_and_b32_e32 v0, 16, v30
	s_andn2_saveexec_b64 s[28:29], s[28:29]
	s_cbranch_execz .LBB6_944
.LBB6_941:                              ;   in Loop: Header=BB6_876 Depth=3
	s_trap 2
	ds_read_b32 v0, v0
	v_cmp_lt_i32_e32 vcc, 0, v54
	v_and_b32_e32 v3, 16, v30
	s_waitcnt lgkmcnt(0)
	v_readfirstlane_b32 s76, v0
	s_cmp_eq_u32 s76, 0
	s_cselect_b64 s[76:77], -1, 0
	s_and_b64 s[76:77], vcc, s[76:77]
	v_cmp_ne_u32_e32 vcc, 0, v3
	v_and_b32_e32 v0, 16, v30
	s_and_b64 s[78:79], vcc, s[76:77]
	s_and_saveexec_b64 s[76:77], s[78:79]
	s_cbranch_execz .LBB6_943
; %bb.942:                              ;   in Loop: Header=BB6_876 Depth=3
	v_mov_b32_e32 v0, 1
	s_waitcnt vmcnt(0)
	buffer_wbinvl1_vol
.LBB6_943:                              ;   in Loop: Header=BB6_876 Depth=3
	s_or_b64 exec, exec, s[76:77]
.LBB6_944:                              ;   in Loop: Header=BB6_876 Depth=3
	s_or_b64 exec, exec, s[28:29]
	v_cmp_ne_u32_e32 vcc, 0, v0
	s_xor_b64 s[28:29], s[12:13], -1
	s_and_b64 s[76:77], vcc, s[28:29]
	s_and_saveexec_b64 s[28:29], s[76:77]
	s_cbranch_execz .LBB6_946
; %bb.945:                              ;   in Loop: Header=BB6_876 Depth=3
	buffer_load_dword v3, off, s[0:3], s33 offset:68 ; 4-byte Folded Reload
	buffer_load_dword v4, off, s[0:3], s33 offset:72 ; 4-byte Folded Reload
	v_mov_b32_e32 v0, 1
	s_waitcnt vmcnt(0)
	flat_store_dword v[3:4], v0
.LBB6_946:                              ;   in Loop: Header=BB6_876 Depth=3
	s_or_b64 exec, exec, s[28:29]
	v_and_b32_e32 v0, 48, v30
	v_cmp_ne_u32_e32 vcc, 0, v0
	s_and_saveexec_b64 s[28:29], vcc
	s_cbranch_execz .LBB6_875
; %bb.947:                              ;   in Loop: Header=BB6_876 Depth=3
	v_add_co_u32_e32 v48, vcc, 2, v48
	v_addc_co_u32_e32 v49, vcc, 0, v49, vcc
	flat_store_dwordx2 v[22:23], v[48:49]
	s_branch .LBB6_875
.LBB6_948:                              ;   in Loop: Header=BB6_47 Depth=1
	buffer_load_dword v58, off, s[0:3], s33 offset:96 ; 4-byte Folded Reload
	buffer_load_dword v59, off, s[0:3], s33 offset:100 ; 4-byte Folded Reload
	;; [unrolled: 1-line block ×4, first 2 shown]
.LBB6_949:                              ;   in Loop: Header=BB6_47 Depth=1
	buffer_load_dword v5, off, s[0:3], s33 offset:160 ; 4-byte Folded Reload
	buffer_load_dword v6, off, s[0:3], s33 offset:164 ; 4-byte Folded Reload
	v_mov_b32_e32 v40, 0
	s_waitcnt vmcnt(0)
	v_mul_lo_u32 v3, v5, s53
	v_mul_lo_u32 v0, v6, s52
	v_mad_u64_u32 v[8:9], s[28:29], v5, s52, 0
	v_add3_u32 v9, v9, v3, v0
	buffer_load_dword v3, off, s[0:3], s33 offset:152 ; 4-byte Folded Reload
	buffer_load_dword v4, off, s[0:3], s33 offset:156 ; 4-byte Folded Reload
	v_mov_b32_e32 v0, 0
	s_waitcnt vmcnt(0)
	v_sub_co_u32_e32 v3, vcc, v3, v8
	v_subb_co_u32_e32 v4, vcc, v4, v9, vcc
	v_cmp_lt_i64_e32 vcc, v[5:6], v[3:4]
	v_cndmask_b32_e32 v4, v3, v5, vcc
	v_max_i32_e32 v3, 0, v4
	v_add_u32_e32 v5, 31, v3
	v_lshrrev_b32_e32 v5, 1, v5
	v_and_b32_e32 v5, 0x3ffffff0, v5
	v_cmp_lt_i32_e32 vcc, 0, v4
	v_max_i32_e32 v54, s80, v5
	s_and_b64 s[28:29], s[72:73], vcc
	s_and_saveexec_b64 s[76:77], s[28:29]
	s_cbranch_execz .LBB6_1653
; %bb.950:                              ;   in Loop: Header=BB6_47 Depth=1
	buffer_load_dword v4, off, s[0:3], s33 offset:144 ; 4-byte Folded Reload
	buffer_load_dword v5, off, s[0:3], s33 offset:148 ; 4-byte Folded Reload
	s_mov_b32 s75, 1
	s_mov_b64 s[88:89], -1
	v_mov_b32_e32 v40, 0
	s_mov_b64 s[78:79], 0
	s_waitcnt vmcnt(0)
	v_add_co_u32_e32 v4, vcc, v8, v4
	v_addc_co_u32_e32 v5, vcc, v9, v5, vcc
	v_lshlrev_b64 v[42:43], 1, v[4:5]
	s_branch .LBB6_952
.LBB6_951:                              ;   in Loop: Header=BB6_952 Depth=2
	s_or_b64 exec, exec, s[28:29]
	v_add_u32_e32 v40, v54, v40
	v_cmp_ge_i32_e32 vcc, v40, v3
	s_xor_b64 s[28:29], s[88:89], -1
	s_or_b64 s[28:29], s[28:29], vcc
	s_and_b64 s[28:29], exec, s[28:29]
	s_or_b64 s[78:79], s[28:29], s[78:79]
	s_mov_b64 s[88:89], 0
	v_mov_b32_e32 v0, s75
	s_mov_b32 s75, 2
	s_andn2_b64 exec, exec, s[78:79]
	s_cbranch_execz .LBB6_1728
.LBB6_952:                              ;   Parent Loop BB6_47 Depth=1
                                        ; =>  This Loop Header: Depth=2
                                        ;       Child Loop BB6_960 Depth 3
                                        ;       Child Loop BB6_988 Depth 3
	;; [unrolled: 1-line block ×9, first 2 shown]
                                        ;         Child Loop BB6_1234 Depth 4
                                        ;       Child Loop BB6_1242 Depth 3
                                        ;       Child Loop BB6_1310 Depth 3
                                        ;         Child Loop BB6_1319 Depth 4
                                        ;       Child Loop BB6_1619 Depth 3
                                        ;       Child Loop BB6_1638 Depth 3
	s_and_saveexec_b64 s[28:29], s[4:5]
	s_cbranch_execz .LBB6_954
; %bb.953:                              ;   in Loop: Header=BB6_952 Depth=2
	s_trap 2
	ds_read2_b64 v[4:7], v0 offset1:1
	v_ashrrev_i32_e32 v41, 31, v40
	s_waitcnt lgkmcnt(0)
	v_add_co_u32_e32 v0, vcc, v4, v42
	v_addc_co_u32_e32 v9, vcc, v5, v43, vcc
	v_lshlrev_b64 v[4:5], 1, v[40:41]
	v_add_co_u32_e32 v8, vcc, v0, v4
	v_addc_co_u32_e32 v9, vcc, v9, v5, vcc
	ds_write_b64 v0, v[8:9]
	v_add_co_u32_e32 v0, vcc, v6, v42
	v_addc_co_u32_e32 v7, vcc, v7, v43, vcc
	v_add_co_u32_e32 v6, vcc, v0, v4
	v_addc_co_u32_e32 v7, vcc, v7, v5, vcc
	ds_write_b64 v0, v[6:7]
	ds_read_b64 v[6:7], v0
	s_waitcnt lgkmcnt(0)
	v_add_co_u32_e32 v0, vcc, v6, v42
	v_addc_co_u32_e32 v8, vcc, v7, v43, vcc
	v_add_co_u32_e32 v0, vcc, v0, v4
	v_addc_co_u32_e32 v4, vcc, v8, v5, vcc
	v_cmp_ne_u64_e32 vcc, 0, v[6:7]
	v_cndmask_b32_e32 v5, 0, v4, vcc
	v_cndmask_b32_e32 v4, 0, v0, vcc
	ds_write_b64 v0, v[4:5]
.LBB6_954:                              ;   in Loop: Header=BB6_952 Depth=2
	s_or_b64 exec, exec, s[28:29]
	v_sub_u32_e32 v0, v3, v40
	v_min_i32_e32 v54, v54, v0
	v_and_b32_e32 v0, 12, v30
	v_cmp_ne_u32_e32 vcc, 0, v0
	s_and_saveexec_b64 s[40:41], vcc
	s_cbranch_execz .LBB6_980
; %bb.955:                              ;   in Loop: Header=BB6_952 Depth=2
	v_and_b32_e32 v0, 8, v30
	s_waitcnt lgkmcnt(0)
	v_add_co_u32_e32 v4, vcc, v28, v0
	v_addc_co_u32_e32 v5, vcc, 0, v29, vcc
	v_add_co_u32_e32 v8, vcc, 2, v48
	v_addc_co_u32_e32 v9, vcc, 0, v49, vcc
	v_cmp_lt_u64_e32 vcc, v[4:5], v[8:9]
	s_and_saveexec_b64 s[42:43], vcc
	s_cbranch_execz .LBB6_967
; %bb.956:                              ;   in Loop: Header=BB6_952 Depth=2
	v_and_b32_e32 v4, 64, v30
	s_mov_b32 s84, 0
	v_cmp_eq_u32_e32 vcc, 0, v4
	s_mov_b64 s[90:91], 0
                                        ; implicit-def: $sgpr92_sgpr93
                                        ; implicit-def: $sgpr94_sgpr95
                                        ; implicit-def: $sgpr30_sgpr31
	s_branch .LBB6_960
.LBB6_957:                              ;   in Loop: Header=BB6_960 Depth=3
	s_waitcnt vmcnt(0) lgkmcnt(0)
	v_add_co_u32_e64 v5, s[28:29], v28, v0
	v_addc_co_u32_e64 v6, s[28:29], 0, v29, s[28:29]
	v_cmp_ge_u64_e64 s[28:29], v[5:6], v[8:9]
	s_or_b64 s[38:39], s[38:39], exec
	s_orn2_b64 s[36:37], s[28:29], exec
.LBB6_958:                              ;   in Loop: Header=BB6_960 Depth=3
	s_or_b64 exec, exec, s[50:51]
	s_andn2_b64 s[28:29], s[30:31], exec
	s_and_b64 s[30:31], s[38:39], exec
	s_or_b64 s[30:31], s[28:29], s[30:31]
	s_andn2_b64 s[28:29], s[94:95], exec
	s_and_b64 s[94:95], s[36:37], exec
	s_or_b64 s[94:95], s[28:29], s[94:95]
.LBB6_959:                              ;   in Loop: Header=BB6_960 Depth=3
	s_or_b64 exec, exec, s[34:35]
	s_and_b64 s[28:29], exec, s[94:95]
	s_or_b64 s[90:91], s[28:29], s[90:91]
	s_andn2_b64 s[28:29], s[92:93], exec
	s_and_b64 s[92:93], s[30:31], exec
	s_or_b64 s[92:93], s[28:29], s[92:93]
	s_andn2_b64 exec, exec, s[90:91]
	s_cbranch_execz .LBB6_964
.LBB6_960:                              ;   Parent Loop BB6_47 Depth=1
                                        ;     Parent Loop BB6_952 Depth=2
                                        ; =>    This Inner Loop Header: Depth=3
	s_sleep 1
	s_waitcnt vmcnt(0) lgkmcnt(0)
	flat_load_dwordx2 v[28:29], v[22:23] glc
	s_or_b64 s[30:31], s[30:31], exec
	s_or_b64 s[94:95], s[94:95], exec
                                        ; implicit-def: $vgpr4
	s_and_saveexec_b64 s[34:35], vcc
	s_cbranch_execz .LBB6_959
; %bb.961:                              ;   in Loop: Header=BB6_960 Depth=3
	s_cmpk_lt_i32 s84, 0x270f
	s_cselect_b64 s[48:49], -1, 0
	s_cmpk_gt_i32 s84, 0x270e
	s_mov_b64 s[36:37], -1
	s_cbranch_scc0 .LBB6_963
; %bb.962:                              ;   in Loop: Header=BB6_960 Depth=3
	s_trap 2
	ds_read_b64 v[4:5], v0
	s_andn2_b64 s[48:49], s[48:49], exec
	s_mov_b32 s84, 0
	s_mov_b64 s[38:39], 0
	s_waitcnt vmcnt(0) lgkmcnt(0)
	flat_load_dword v4, v[4:5] glc
	s_waitcnt vmcnt(0) lgkmcnt(0)
	buffer_wbinvl1_vol
	v_cmp_eq_u32_e64 s[28:29], 0, v4
	s_and_b64 s[28:29], s[28:29], exec
	s_or_b64 s[48:49], s[48:49], s[28:29]
	s_and_saveexec_b64 s[50:51], s[48:49]
	s_cbranch_execz .LBB6_958
	s_branch .LBB6_957
.LBB6_963:                              ;   in Loop: Header=BB6_960 Depth=3
	s_add_i32 s84, s84, 1
	s_mov_b64 s[38:39], -1
                                        ; implicit-def: $vgpr4
	s_and_saveexec_b64 s[50:51], s[48:49]
	s_cbranch_execz .LBB6_958
	s_branch .LBB6_957
.LBB6_964:                              ;   in Loop: Header=BB6_952 Depth=2
	s_or_b64 exec, exec, s[90:91]
	s_xor_b64 s[28:29], s[92:93], -1
	s_and_saveexec_b64 s[90:91], s[28:29]
	s_xor_b64 s[28:29], exec, s[90:91]
	s_cbranch_execz .LBB6_966
; %bb.965:                              ;   in Loop: Header=BB6_952 Depth=2
	v_or_b32_e32 v30, 64, v30
	s_waitcnt lgkmcnt(0)
	ds_write_b32 v0, v4
	s_trap 2
.LBB6_966:                              ;   in Loop: Header=BB6_952 Depth=2
	s_or_b64 exec, exec, s[28:29]
.LBB6_967:                              ;   in Loop: Header=BB6_952 Depth=2
	s_or_b64 exec, exec, s[42:43]
	v_and_b32_e32 v4, 0x108, v30
	v_cmp_ne_u32_e32 vcc, s66, v4
	;;#ASMSTART
	s_wakeup
	;;#ASMEND
                                        ; implicit-def: $vgpr10_vgpr11
	s_and_saveexec_b64 s[28:29], vcc
	s_xor_b64 s[28:29], exec, s[28:29]
; %bb.968:                              ;   in Loop: Header=BB6_952 Depth=2
	v_and_b32_e32 v10, 7, v48
	v_mov_b32_e32 v11, v2
                                        ; implicit-def: $vgpr48_vgpr49
; %bb.969:                              ;   in Loop: Header=BB6_952 Depth=2
	s_andn2_saveexec_b64 s[28:29], s[28:29]
	s_cbranch_execz .LBB6_971
; %bb.970:                              ;   in Loop: Header=BB6_952 Depth=2
	v_and_b32_e32 v10, 7, v48
	s_waitcnt vmcnt(0)
	v_mad_u64_u32 v[4:5], s[42:43], v10, 24, v[58:59]
	v_ashrrev_i32_e32 v55, 31, v54
	v_lshlrev_b64 v[6:7], 1, v[54:55]
	v_mov_b32_e32 v11, v2
	flat_store_dwordx2 v[4:5], v[6:7] offset:8
.LBB6_971:                              ;   in Loop: Header=BB6_952 Depth=2
	s_or_b64 exec, exec, s[28:29]
	v_and_b32_e32 v4, 0x100, v30
	v_cmp_ne_u32_e32 vcc, 0, v4
	s_mov_b64 s[28:29], -1
                                        ; implicit-def: $vgpr12_vgpr13
	s_and_saveexec_b64 s[42:43], vcc
	s_cbranch_execz .LBB6_975
; %bb.972:                              ;   in Loop: Header=BB6_952 Depth=2
	s_waitcnt vmcnt(0)
	v_mad_u64_u32 v[14:15], s[28:29], v10, 24, v[58:59]
                                        ; implicit-def: $vgpr12_vgpr13
	v_mov_b32_e32 v4, v15
	v_mad_u64_u32 v[4:5], s[28:29], v11, 24, v[4:5]
	v_mov_b32_e32 v15, v4
	flat_load_dword v4, v[14:15]
	s_waitcnt vmcnt(0) lgkmcnt(0)
	v_cmp_ne_u32_e32 vcc, 1, v4
	v_cmp_eq_u32_e64 s[28:29], 1, v4
	s_and_saveexec_b64 s[90:91], s[28:29]
	s_cbranch_execz .LBB6_974
; %bb.973:                              ;   in Loop: Header=BB6_952 Depth=2
	flat_load_dword v4, v[14:15] offset:4 glc
	s_waitcnt vmcnt(0) lgkmcnt(0)
	v_ashrrev_i32_e32 v5, 31, v4
	v_lshrrev_b64 v[12:13], 1, v[4:5]
.LBB6_974:                              ;   in Loop: Header=BB6_952 Depth=2
	s_or_b64 exec, exec, s[90:91]
	s_orn2_b64 s[28:29], vcc, exec
.LBB6_975:                              ;   in Loop: Header=BB6_952 Depth=2
	s_or_b64 exec, exec, s[42:43]
	s_and_saveexec_b64 s[42:43], s[28:29]
	s_cbranch_execz .LBB6_977
; %bb.976:                              ;   in Loop: Header=BB6_952 Depth=2
	buffer_load_dword v6, off, s[0:3], s33 offset:76 ; 4-byte Folded Reload
	buffer_load_dword v5, off, s[0:3], s33 offset:92 ; 4-byte Folded Reload
	s_waitcnt vmcnt(0)
	v_mul_lo_u32 v4, v11, v6
	v_mul_lo_u32 v5, v10, v5
	v_mad_u64_u32 v[12:13], s[28:29], v10, v6, 0
	v_add3_u32 v13, v13, v5, v4
.LBB6_977:                              ;   in Loop: Header=BB6_952 Depth=2
	s_or_b64 exec, exec, s[42:43]
	buffer_load_dword v6, off, s[0:3], s33 offset:60 ; 4-byte Folded Reload
	buffer_load_dword v7, off, s[0:3], s33 offset:64 ; 4-byte Folded Reload
	v_cmp_eq_u32_e32 vcc, 0, v0
	v_mov_b32_e32 v0, 0x90
	v_mov_b32_e32 v4, 0xd0
	v_cndmask_b32_e32 v0, v4, v0, vcc
	v_lshlrev_b64 v[4:5], 1, v[12:13]
	v_add_u32_e32 v0, v0, v0
	s_waitcnt vmcnt(0)
	v_add_co_u32_e32 v4, vcc, v6, v4
	v_addc_co_u32_e32 v5, vcc, v7, v5, vcc
	ds_write_b64 v0, v[4:5] offset:584
	v_and_b32_e32 v0, 0x2000, v30
	v_cmp_ne_u32_e32 vcc, 0, v0
	s_and_saveexec_b64 s[28:29], vcc
	s_cbranch_execz .LBB6_979
; %bb.978:                              ;   in Loop: Header=BB6_952 Depth=2
	ds_read_b64 v[4:5], v0 offset:872
	s_waitcnt lgkmcnt(0)
	v_add_co_u32_e32 v4, vcc, 1, v4
	v_addc_co_u32_e32 v5, vcc, 0, v5, vcc
	ds_write_b64 v0, v[4:5] offset:872
.LBB6_979:                              ;   in Loop: Header=BB6_952 Depth=2
	s_or_b64 exec, exec, s[28:29]
	v_mov_b32_e32 v49, v9
	v_mov_b32_e32 v48, v8
.LBB6_980:                              ;   in Loop: Header=BB6_952 Depth=2
	s_or_b64 exec, exec, s[40:41]
	s_and_saveexec_b64 s[28:29], s[10:11]
	s_cbranch_execz .LBB6_999
; %bb.981:                              ;   in Loop: Header=BB6_952 Depth=2
	s_and_saveexec_b64 s[40:41], s[56:57]
	s_xor_b64 s[40:41], exec, s[40:41]
	s_cbranch_execz .LBB6_996
; %bb.982:                              ;   in Loop: Header=BB6_952 Depth=2
	s_and_saveexec_b64 s[42:43], s[16:17]
	s_cbranch_execz .LBB6_995
; %bb.983:                              ;   in Loop: Header=BB6_952 Depth=2
	s_mov_b64 s[92:93], exec
	v_mbcnt_lo_u32_b32 v0, s92, 0
	v_mbcnt_hi_u32_b32 v0, s93, v0
	v_cmp_eq_u32_e32 vcc, 0, v0
	s_waitcnt vmcnt(0) lgkmcnt(0)
	buffer_wbinvl1_vol
	s_and_saveexec_b64 s[90:91], vcc
	s_cbranch_execz .LBB6_985
; %bb.984:                              ;   in Loop: Header=BB6_952 Depth=2
	s_bcnt1_i32_b64 s92, s[92:93]
	v_mov_b32_e32 v4, s92
	v_mov_b32_e32 v5, v2
	ds_add_u64 v0, v[4:5]
	s_trap 2
.LBB6_985:                              ;   in Loop: Header=BB6_952 Depth=2
	s_or_b64 exec, exec, s[90:91]
	s_trap 2
	ds_read_b64 v[4:5], v0
	s_waitcnt lgkmcnt(0)
	v_add_co_u32_e32 v32, vcc, v32, v16
	v_addc_co_u32_e32 v33, vcc, 0, v33, vcc
	v_cmp_lt_u64_e32 vcc, v[4:5], v[32:33]
	s_and_saveexec_b64 s[90:91], vcc
	s_cbranch_execz .LBB6_994
; %bb.986:                              ;   in Loop: Header=BB6_952 Depth=2
	s_mov_b32 s38, 0
	s_mov_b64 s[92:93], 0
                                        ; implicit-def: $sgpr94_sgpr95
                                        ; implicit-def: $sgpr30_sgpr31
	s_branch .LBB6_988
.LBB6_987:                              ;   in Loop: Header=BB6_988 Depth=3
	s_or_b64 exec, exec, s[36:37]
	s_and_b64 vcc, exec, vcc
	s_or_b64 s[92:93], vcc, s[92:93]
	s_andn2_b64 s[94:95], s[94:95], exec
	s_and_b64 vcc, s[30:31], exec
	s_or_b64 s[94:95], s[94:95], vcc
	s_andn2_b64 exec, exec, s[92:93]
	s_cbranch_execz .LBB6_992
.LBB6_988:                              ;   Parent Loop BB6_47 Depth=1
                                        ;     Parent Loop BB6_952 Depth=2
                                        ; =>    This Inner Loop Header: Depth=3
	s_add_i32 s38, s38, 1
	s_cmpk_lg_i32 s38, 0x2710
	s_cselect_b64 s[34:35], -1, 0
	s_and_b64 vcc, exec, s[34:35]
	s_cbranch_vccz .LBB6_990
; %bb.989:                              ;   in Loop: Header=BB6_988 Depth=3
	s_mov_b64 vcc, -1
	s_or_b64 s[30:31], s[30:31], exec
	s_and_saveexec_b64 s[36:37], s[34:35]
	s_cbranch_execz .LBB6_987
	s_branch .LBB6_991
.LBB6_990:                              ;   in Loop: Header=BB6_988 Depth=3
	s_trap 2
	ds_read_b64 v[4:5], v0
	s_andn2_b64 s[34:35], s[34:35], exec
	s_mov_b32 s38, 0
	s_waitcnt lgkmcnt(0)
	flat_load_dword v0, v[4:5] glc
	s_waitcnt vmcnt(0) lgkmcnt(0)
	buffer_wbinvl1_vol
	v_cmp_eq_u32_e32 vcc, 0, v0
	s_and_b64 vcc, vcc, exec
	s_or_b64 s[34:35], s[34:35], vcc
	s_mov_b64 vcc, -1
	s_or_b64 s[30:31], s[30:31], exec
	s_and_saveexec_b64 s[36:37], s[34:35]
	s_cbranch_execz .LBB6_987
.LBB6_991:                              ;   in Loop: Header=BB6_988 Depth=3
	s_sleep 1
	s_trap 2
	ds_read_b64 v[4:5], v0
	s_waitcnt lgkmcnt(0)
	s_andn2_b64 s[30:31], s[30:31], exec
	v_cmp_ge_u64_e32 vcc, v[4:5], v[32:33]
	s_orn2_b64 vcc, vcc, exec
	s_branch .LBB6_987
.LBB6_992:                              ;   in Loop: Header=BB6_952 Depth=2
	s_or_b64 exec, exec, s[92:93]
	s_and_saveexec_b64 s[92:93], s[94:95]
	s_xor_b64 s[92:93], exec, s[92:93]
	s_cbranch_execz .LBB6_994
; %bb.993:                              ;   in Loop: Header=BB6_952 Depth=2
	v_mov_b32_e32 v0, 1
	ds_write_b32 v0, v0
	s_trap 2
.LBB6_994:                              ;   in Loop: Header=BB6_952 Depth=2
	s_or_b64 exec, exec, s[90:91]
	;;#ASMSTART
	s_wakeup
	;;#ASMEND
.LBB6_995:                              ;   in Loop: Header=BB6_952 Depth=2
	s_or_b64 exec, exec, s[42:43]
.LBB6_996:                              ;   in Loop: Header=BB6_952 Depth=2
	s_andn2_saveexec_b64 s[40:41], s[40:41]
	s_cbranch_execz .LBB6_998
; %bb.997:                              ;   in Loop: Header=BB6_952 Depth=2
	s_waitcnt vmcnt(0) lgkmcnt(0)
	buffer_wbinvl1_vol
	s_barrier
.LBB6_998:                              ;   in Loop: Header=BB6_952 Depth=2
	s_or_b64 exec, exec, s[40:41]
.LBB6_999:                              ;   in Loop: Header=BB6_952 Depth=2
	s_or_b64 exec, exec, s[28:29]
	s_trap 2
	ds_read_b32 v0, v0
	v_and_b32_e32 v4, 0x4000, v30
	v_cmp_ne_u32_e32 vcc, 0, v4
	s_xor_b64 s[28:29], s[6:7], -1
	s_and_b64 s[40:41], s[28:29], vcc
	s_and_saveexec_b64 s[28:29], s[40:41]
	s_cbranch_execz .LBB6_1018
; %bb.1000:                             ;   in Loop: Header=BB6_952 Depth=2
	s_and_saveexec_b64 s[40:41], s[56:57]
	s_xor_b64 s[40:41], exec, s[40:41]
	s_cbranch_execz .LBB6_1015
; %bb.1001:                             ;   in Loop: Header=BB6_952 Depth=2
	s_and_saveexec_b64 s[42:43], s[16:17]
	s_cbranch_execz .LBB6_1014
; %bb.1002:                             ;   in Loop: Header=BB6_952 Depth=2
	s_mov_b64 s[92:93], exec
	v_mbcnt_lo_u32_b32 v4, s92, 0
	v_mbcnt_hi_u32_b32 v4, s93, v4
	v_cmp_eq_u32_e32 vcc, 0, v4
	s_waitcnt vmcnt(0) lgkmcnt(0)
	buffer_wbinvl1_vol
	s_and_saveexec_b64 s[90:91], vcc
	s_cbranch_execz .LBB6_1004
; %bb.1003:                             ;   in Loop: Header=BB6_952 Depth=2
	s_bcnt1_i32_b64 s92, s[92:93]
	v_mov_b32_e32 v4, s92
	v_mov_b32_e32 v5, v2
	ds_add_u64 v0, v[4:5]
	s_trap 2
.LBB6_1004:                             ;   in Loop: Header=BB6_952 Depth=2
	s_or_b64 exec, exec, s[90:91]
	s_trap 2
	ds_read_b64 v[4:5], v0
	s_waitcnt lgkmcnt(0)
	v_add_co_u32_e32 v32, vcc, v32, v16
	v_addc_co_u32_e32 v33, vcc, 0, v33, vcc
	v_cmp_lt_u64_e32 vcc, v[4:5], v[32:33]
	s_and_saveexec_b64 s[90:91], vcc
	s_cbranch_execz .LBB6_1013
; %bb.1005:                             ;   in Loop: Header=BB6_952 Depth=2
	s_mov_b32 s38, 0
	s_mov_b64 s[92:93], 0
                                        ; implicit-def: $sgpr94_sgpr95
                                        ; implicit-def: $sgpr30_sgpr31
	s_branch .LBB6_1007
.LBB6_1006:                             ;   in Loop: Header=BB6_1007 Depth=3
	s_or_b64 exec, exec, s[36:37]
	s_and_b64 vcc, exec, vcc
	s_or_b64 s[92:93], vcc, s[92:93]
	s_andn2_b64 s[94:95], s[94:95], exec
	s_and_b64 vcc, s[30:31], exec
	s_or_b64 s[94:95], s[94:95], vcc
	s_andn2_b64 exec, exec, s[92:93]
	s_cbranch_execz .LBB6_1011
.LBB6_1007:                             ;   Parent Loop BB6_47 Depth=1
                                        ;     Parent Loop BB6_952 Depth=2
                                        ; =>    This Inner Loop Header: Depth=3
	s_add_i32 s38, s38, 1
	s_cmpk_lg_i32 s38, 0x2710
	s_cselect_b64 s[34:35], -1, 0
	s_and_b64 vcc, exec, s[34:35]
	s_cbranch_vccz .LBB6_1009
; %bb.1008:                             ;   in Loop: Header=BB6_1007 Depth=3
	s_mov_b64 vcc, -1
	s_or_b64 s[30:31], s[30:31], exec
	s_and_saveexec_b64 s[36:37], s[34:35]
	s_cbranch_execz .LBB6_1006
	s_branch .LBB6_1010
.LBB6_1009:                             ;   in Loop: Header=BB6_1007 Depth=3
	s_trap 2
	ds_read_b64 v[4:5], v0
	s_andn2_b64 s[34:35], s[34:35], exec
	s_mov_b32 s38, 0
	s_waitcnt lgkmcnt(0)
	flat_load_dword v4, v[4:5] glc
	s_waitcnt vmcnt(0) lgkmcnt(0)
	buffer_wbinvl1_vol
	v_cmp_eq_u32_e32 vcc, 0, v4
	s_and_b64 vcc, vcc, exec
	s_or_b64 s[34:35], s[34:35], vcc
	s_mov_b64 vcc, -1
	s_or_b64 s[30:31], s[30:31], exec
	s_and_saveexec_b64 s[36:37], s[34:35]
	s_cbranch_execz .LBB6_1006
.LBB6_1010:                             ;   in Loop: Header=BB6_1007 Depth=3
	s_sleep 1
	s_trap 2
	ds_read_b64 v[4:5], v0
	s_waitcnt lgkmcnt(0)
	s_andn2_b64 s[30:31], s[30:31], exec
	v_cmp_ge_u64_e32 vcc, v[4:5], v[32:33]
	s_orn2_b64 vcc, vcc, exec
	s_branch .LBB6_1006
.LBB6_1011:                             ;   in Loop: Header=BB6_952 Depth=2
	s_or_b64 exec, exec, s[92:93]
	s_and_saveexec_b64 s[92:93], s[94:95]
	s_xor_b64 s[92:93], exec, s[92:93]
	s_cbranch_execz .LBB6_1013
; %bb.1012:                             ;   in Loop: Header=BB6_952 Depth=2
	v_mov_b32_e32 v4, 1
	ds_write_b32 v0, v4
	s_trap 2
.LBB6_1013:                             ;   in Loop: Header=BB6_952 Depth=2
	s_or_b64 exec, exec, s[90:91]
	;;#ASMSTART
	s_wakeup
	;;#ASMEND
.LBB6_1014:                             ;   in Loop: Header=BB6_952 Depth=2
	s_or_b64 exec, exec, s[42:43]
.LBB6_1015:                             ;   in Loop: Header=BB6_952 Depth=2
	s_andn2_saveexec_b64 s[40:41], s[40:41]
	s_cbranch_execz .LBB6_1017
; %bb.1016:                             ;   in Loop: Header=BB6_952 Depth=2
	s_waitcnt vmcnt(0) lgkmcnt(0)
	buffer_wbinvl1_vol
	s_barrier
.LBB6_1017:                             ;   in Loop: Header=BB6_952 Depth=2
	s_or_b64 exec, exec, s[40:41]
.LBB6_1018:                             ;   in Loop: Header=BB6_952 Depth=2
	s_or_b64 exec, exec, s[28:29]
	s_trap 2
	s_waitcnt lgkmcnt(0)
	ds_read_b64 v[46:47], v0
	s_waitcnt lgkmcnt(0)
	v_cmp_eq_u64_e32 vcc, 0, v[46:47]
	s_cbranch_vccnz .LBB6_1027
; %bb.1019:                             ;   in Loop: Header=BB6_952 Depth=2
	s_trap 2
	ds_read_b64 v[4:5], v0
	s_waitcnt lgkmcnt(0)
	buffer_store_dword v4, off, s[0:3], s33 offset:176 ; 4-byte Folded Spill
	s_nop 0
	buffer_store_dword v5, off, s[0:3], s33 offset:180 ; 4-byte Folded Spill
	v_cmp_eq_u64_e32 vcc, 0, v[4:5]
	s_cbranch_vccnz .LBB6_1027
; %bb.1020:                             ;   in Loop: Header=BB6_952 Depth=2
	s_trap 2
	ds_read_b64 v[4:5], v0
	v_cmp_eq_u32_e32 vcc, 0, v0
	v_cndmask_b32_e32 v62, 0, v54, vcc
	v_lshlrev_b32_e32 v57, 1, v62
	s_waitcnt lgkmcnt(0)
	v_cmp_ne_u64_e32 vcc, 0, v[4:5]
	s_cbranch_vccz .LBB6_1032
; %bb.1021:                             ;   in Loop: Header=BB6_952 Depth=2
	s_mov_b64 s[40:41], -1
	s_and_saveexec_b64 s[28:29], s[22:23]
	s_cbranch_execz .LBB6_1023
; %bb.1022:                             ;   in Loop: Header=BB6_952 Depth=2
	ds_read_b32 v0, v0 offset:720
	s_waitcnt lgkmcnt(0)
	v_and_b32_e32 v0, 15, v0
	v_cmp_eq_u32_e32 vcc, 0, v0
	s_orn2_b64 s[40:41], vcc, exec
.LBB6_1023:                             ;   in Loop: Header=BB6_952 Depth=2
	s_or_b64 exec, exec, s[28:29]
	buffer_store_dword v4, off, s[0:3], s33 offset:184 ; 4-byte Folded Spill
	s_nop 0
	buffer_store_dword v5, off, s[0:3], s33 offset:188 ; 4-byte Folded Spill
	s_and_saveexec_b64 s[28:29], s[22:23]
	s_cbranch_execz .LBB6_1025
; %bb.1024:                             ;   in Loop: Header=BB6_952 Depth=2
	ds_read_b32 v0, v0 offset:784
	s_waitcnt lgkmcnt(0)
	v_and_b32_e32 v0, 15, v0
	v_cmp_eq_u32_e32 vcc, 0, v0
	s_and_b64 s[42:43], s[40:41], vcc
	s_andn2_b64 s[40:41], s[40:41], exec
	s_and_b64 s[42:43], s[42:43], exec
	s_or_b64 s[40:41], s[40:41], s[42:43]
.LBB6_1025:                             ;   in Loop: Header=BB6_952 Depth=2
	s_or_b64 exec, exec, s[28:29]
	s_xor_b64 s[40:41], s[40:41], -1
	v_cndmask_b32_e64 v0, 0, 1, s[40:41]
	s_mov_b64 s[28:29], -1
	v_mov_b32_e32 v18, 0
	v_cmp_ne_u32_e32 vcc, 0, v0
	v_mov_b32_e32 v19, v57
	s_waitcnt vmcnt(0)
	v_mov_b32_e32 v50, v56
	s_cbranch_vccz .LBB6_1034
; %bb.1026:                             ;   in Loop: Header=BB6_952 Depth=2
	s_and_saveexec_b64 s[42:43], s[28:29]
	s_cbranch_execnz .LBB6_1239
	s_branch .LBB6_1321
.LBB6_1027:                             ;   in Loop: Header=BB6_952 Depth=2
	s_mov_b64 s[28:29], 0
	s_and_saveexec_b64 s[40:41], s[10:11]
	s_cbranch_execnz .LBB6_1612
.LBB6_1028:                             ;   in Loop: Header=BB6_952 Depth=2
	s_or_b64 exec, exec, s[40:41]
                                        ; implicit-def: $vgpr0
	s_and_saveexec_b64 s[40:41], s[24:25]
	s_xor_b64 s[40:41], exec, s[40:41]
	s_cbranch_execz .LBB6_1630
.LBB6_1029:                             ;   in Loop: Header=BB6_952 Depth=2
	v_and_b32_e32 v4, 16, v30
	v_cmp_ne_u32_e32 vcc, 0, v4
	v_and_b32_e32 v0, 16, v30
	s_and_b64 s[42:43], vcc, s[28:29]
	s_and_saveexec_b64 s[28:29], s[42:43]
	s_cbranch_execz .LBB6_1031
; %bb.1030:                             ;   in Loop: Header=BB6_952 Depth=2
	v_mov_b32_e32 v0, 1
	s_waitcnt vmcnt(0) lgkmcnt(0)
	buffer_wbinvl1_vol
.LBB6_1031:                             ;   in Loop: Header=BB6_952 Depth=2
	s_or_b64 exec, exec, s[28:29]
	s_andn2_saveexec_b64 s[28:29], s[40:41]
	s_cbranch_execz .LBB6_1649
	s_branch .LBB6_1631
.LBB6_1032:                             ;   in Loop: Header=BB6_952 Depth=2
	s_cbranch_execnz .LBB6_1322
.LBB6_1033:                             ;   in Loop: Header=BB6_952 Depth=2
	v_cmp_lt_i32_e64 s[28:29], 0, v62
	s_and_saveexec_b64 s[40:41], s[10:11]
	s_cbranch_execnz .LBB6_1612
	s_branch .LBB6_1028
.LBB6_1034:                             ;   in Loop: Header=BB6_952 Depth=2
	v_ashrrev_i32_e32 v0, 31, v57
	v_lshrrev_b32_e32 v0, 21, v0
	v_add_u32_e32 v0, v57, v0
	v_ashrrev_i32_e32 v4, 11, v0
	buffer_load_dword v0, off, s[0:3], s33 offset:132 ; 4-byte Folded Reload
	s_waitcnt vmcnt(0)
	v_sub_u32_e32 v41, v4, v0
	v_cmp_lt_i32_e32 vcc, 0, v41
	s_and_saveexec_b64 s[28:29], vcc
	s_cbranch_execz .LBB6_1166
; %bb.1035:                             ;   in Loop: Header=BB6_952 Depth=2
	buffer_store_dword v4, off, s[0:3], s33 offset:192 ; 4-byte Folded Spill
	buffer_load_dword v4, off, s[0:3], s33 offset:176 ; 4-byte Folded Reload
	s_nop 0
	buffer_load_dword v5, off, s[0:3], s33 offset:180 ; 4-byte Folded Reload
	buffer_load_dword v6, off, s[0:3], s33 offset:168 ; 4-byte Folded Reload
	v_mov_b32_e32 v25, v57
	v_mov_b32_e32 v24, v62
	s_mov_b64 s[40:41], 0
	s_waitcnt vmcnt(0)
	v_add_co_u32_e32 v57, vcc, v4, v6
	v_addc_co_u32_e32 v58, vcc, 0, v5, vcc
	buffer_load_dword v4, off, s[0:3], s33 offset:184 ; 4-byte Folded Reload
	buffer_load_dword v5, off, s[0:3], s33 offset:188 ; 4-byte Folded Reload
	s_trap 2
	s_waitcnt vmcnt(1)
	v_add_co_u32_e32 v59, vcc, v4, v6
	s_waitcnt vmcnt(0)
	v_addc_co_u32_e32 v60, vcc, 0, v5, vcc
	ds_read_b64 v[4:5], v0
	ds_read_b32 v0, v0
	v_add_co_u32_e32 v61, vcc, v46, v6
	v_addc_co_u32_e32 v62, vcc, 0, v47, vcc
	s_waitcnt lgkmcnt(1)
	v_add_co_u32_e32 v18, vcc, v4, v6
	v_addc_co_u32_e32 v19, vcc, 0, v5, vcc
	s_waitcnt lgkmcnt(0)
	v_lshlrev_b32_e32 v44, 16, v0
	s_branch .LBB6_1037
.LBB6_1036:                             ;   in Loop: Header=BB6_1037 Depth=3
	s_or_b64 exec, exec, s[42:43]
	v_lshrrev_b32_e32 v7, 16, v7
	v_and_or_b32 v11, v12, s65, v7
	v_lshrrev_b32_e32 v7, 16, v35
	v_and_or_b32 v10, v6, s65, v7
	;; [unrolled: 2-line block ×4, first 2 shown]
	v_lshrrev_b32_e32 v6, 16, v27
	v_add_co_u32_e32 v61, vcc, v61, v36
	v_and_or_b32 v7, v9, s65, v6
	v_lshrrev_b32_e32 v6, 16, v26
	v_addc_co_u32_e32 v62, vcc, 0, v62, vcc
	v_and_or_b32 v6, v8, s65, v6
	v_lshrrev_b32_e32 v8, 16, v34
	v_add_co_u32_e32 v18, vcc, v18, v36
	v_and_or_b32 v8, v4, s65, v8
	v_lshrrev_b32_e32 v4, 16, v5
	v_addc_co_u32_e32 v19, vcc, 0, v19, vcc
	v_and_or_b32 v9, v0, s65, v4
	global_store_dwordx4 v[57:58], v[10:13], off glc slc
	global_store_dwordx4 v[57:58], v[6:9], off offset:1024 glc slc
	global_store_dwordx4 v[59:60], v[10:13], off glc slc
	global_store_dwordx4 v[59:60], v[6:9], off offset:1024 glc slc
	v_add_co_u32_e32 v57, vcc, v57, v36
	v_addc_co_u32_e32 v58, vcc, 0, v58, vcc
	v_sub_u32_e32 v41, v41, v16
	v_cmp_gt_i32_e32 vcc, 1, v41
	s_or_b64 s[40:41], vcc, s[40:41]
	v_add_co_u32_e32 v59, vcc, v59, v36
	v_addc_co_u32_e32 v60, vcc, 0, v60, vcc
	s_andn2_b64 exec, exec, s[40:41]
	s_cbranch_execz .LBB6_1165
.LBB6_1037:                             ;   Parent Loop BB6_47 Depth=1
                                        ;     Parent Loop BB6_952 Depth=2
                                        ; =>    This Inner Loop Header: Depth=3
	global_load_dwordx4 v[8:11], v[61:62], off glc slc
                                        ; implicit-def: $vgpr6
	s_waitcnt vmcnt(0)
	v_lshlrev_b32_e32 v0, 16, v8
	v_mul_f32_e32 v0, v44, v0
	v_and_b32_e32 v4, 0x7f800000, v0
	v_cmp_ne_u32_e32 vcc, s55, v4
	s_and_saveexec_b64 s[42:43], vcc
	s_xor_b64 s[42:43], exec, s[42:43]
; %bb.1038:                             ;   in Loop: Header=BB6_1037 Depth=3
	v_bfe_u32 v4, v0, 16, 1
	v_add3_u32 v6, v0, v4, s64
                                        ; implicit-def: $vgpr0
; %bb.1039:                             ;   in Loop: Header=BB6_1037 Depth=3
	s_andn2_saveexec_b64 s[42:43], s[42:43]
; %bb.1040:                             ;   in Loop: Header=BB6_1037 Depth=3
	v_or_b32_e32 v4, 0x10000, v0
	v_cmp_eq_u32_sdwa vcc, v0, v2 src0_sel:WORD_0 src1_sel:DWORD
	v_cndmask_b32_e32 v6, v4, v0, vcc
; %bb.1041:                             ;   in Loop: Header=BB6_1037 Depth=3
	s_or_b64 exec, exec, s[42:43]
	v_and_b32_e32 v0, 0xffff0000, v8
	v_mul_f32_e32 v0, v44, v0
	v_and_b32_e32 v4, 0x7f800000, v0
	v_cmp_ne_u32_e32 vcc, s55, v4
                                        ; implicit-def: $vgpr17
	s_and_saveexec_b64 s[42:43], vcc
	s_xor_b64 s[42:43], exec, s[42:43]
; %bb.1042:                             ;   in Loop: Header=BB6_1037 Depth=3
	v_bfe_u32 v4, v0, 16, 1
	v_add3_u32 v17, v0, v4, s64
                                        ; implicit-def: $vgpr0
; %bb.1043:                             ;   in Loop: Header=BB6_1037 Depth=3
	s_andn2_saveexec_b64 s[42:43], s[42:43]
; %bb.1044:                             ;   in Loop: Header=BB6_1037 Depth=3
	v_or_b32_e32 v4, 0x10000, v0
	v_cmp_eq_u32_sdwa vcc, v0, v2 src0_sel:WORD_0 src1_sel:DWORD
	v_cndmask_b32_e32 v17, v4, v0, vcc
; %bb.1045:                             ;   in Loop: Header=BB6_1037 Depth=3
	s_or_b64 exec, exec, s[42:43]
	v_lshlrev_b32_e32 v0, 16, v9
	v_mul_f32_e32 v0, v44, v0
	v_and_b32_e32 v4, 0x7f800000, v0
	v_cmp_ne_u32_e32 vcc, s55, v4
                                        ; implicit-def: $vgpr26
	s_and_saveexec_b64 s[42:43], vcc
	s_xor_b64 s[42:43], exec, s[42:43]
; %bb.1046:                             ;   in Loop: Header=BB6_1037 Depth=3
	v_bfe_u32 v4, v0, 16, 1
	v_add3_u32 v26, v0, v4, s64
                                        ; implicit-def: $vgpr0
; %bb.1047:                             ;   in Loop: Header=BB6_1037 Depth=3
	s_andn2_saveexec_b64 s[42:43], s[42:43]
; %bb.1048:                             ;   in Loop: Header=BB6_1037 Depth=3
	v_or_b32_e32 v4, 0x10000, v0
	v_cmp_eq_u32_sdwa vcc, v0, v2 src0_sel:WORD_0 src1_sel:DWORD
	v_cndmask_b32_e32 v26, v4, v0, vcc
; %bb.1049:                             ;   in Loop: Header=BB6_1037 Depth=3
	s_or_b64 exec, exec, s[42:43]
	v_and_b32_e32 v0, 0xffff0000, v9
	v_mul_f32_e32 v0, v44, v0
	v_and_b32_e32 v4, 0x7f800000, v0
	v_cmp_ne_u32_e32 vcc, s55, v4
                                        ; implicit-def: $vgpr37
	s_and_saveexec_b64 s[42:43], vcc
	s_xor_b64 s[42:43], exec, s[42:43]
; %bb.1050:                             ;   in Loop: Header=BB6_1037 Depth=3
	v_bfe_u32 v4, v0, 16, 1
	v_add3_u32 v37, v0, v4, s64
                                        ; implicit-def: $vgpr0
; %bb.1051:                             ;   in Loop: Header=BB6_1037 Depth=3
	s_andn2_saveexec_b64 s[42:43], s[42:43]
; %bb.1052:                             ;   in Loop: Header=BB6_1037 Depth=3
	v_or_b32_e32 v4, 0x10000, v0
	v_cmp_eq_u32_sdwa vcc, v0, v2 src0_sel:WORD_0 src1_sel:DWORD
	v_cndmask_b32_e32 v37, v4, v0, vcc
; %bb.1053:                             ;   in Loop: Header=BB6_1037 Depth=3
	s_or_b64 exec, exec, s[42:43]
	v_lshlrev_b32_e32 v0, 16, v10
	v_mul_f32_e32 v0, v44, v0
	v_and_b32_e32 v4, 0x7f800000, v0
	v_cmp_ne_u32_e32 vcc, s55, v4
                                        ; implicit-def: $vgpr39
	s_and_saveexec_b64 s[42:43], vcc
	s_xor_b64 s[42:43], exec, s[42:43]
; %bb.1054:                             ;   in Loop: Header=BB6_1037 Depth=3
	v_bfe_u32 v4, v0, 16, 1
	v_add3_u32 v39, v0, v4, s64
                                        ; implicit-def: $vgpr0
; %bb.1055:                             ;   in Loop: Header=BB6_1037 Depth=3
	s_andn2_saveexec_b64 s[42:43], s[42:43]
; %bb.1056:                             ;   in Loop: Header=BB6_1037 Depth=3
	v_or_b32_e32 v4, 0x10000, v0
	v_cmp_eq_u32_sdwa vcc, v0, v2 src0_sel:WORD_0 src1_sel:DWORD
	v_cndmask_b32_e32 v39, v4, v0, vcc
; %bb.1057:                             ;   in Loop: Header=BB6_1037 Depth=3
	s_or_b64 exec, exec, s[42:43]
	v_and_b32_e32 v0, 0xffff0000, v10
	v_mul_f32_e32 v0, v44, v0
	v_and_b32_e32 v4, 0x7f800000, v0
	v_cmp_ne_u32_e32 vcc, s55, v4
                                        ; implicit-def: $vgpr38
	s_and_saveexec_b64 s[42:43], vcc
	s_xor_b64 s[42:43], exec, s[42:43]
; %bb.1058:                             ;   in Loop: Header=BB6_1037 Depth=3
	v_bfe_u32 v4, v0, 16, 1
	v_add3_u32 v38, v0, v4, s64
                                        ; implicit-def: $vgpr0
; %bb.1059:                             ;   in Loop: Header=BB6_1037 Depth=3
	s_andn2_saveexec_b64 s[42:43], s[42:43]
; %bb.1060:                             ;   in Loop: Header=BB6_1037 Depth=3
	v_or_b32_e32 v4, 0x10000, v0
	v_cmp_eq_u32_sdwa vcc, v0, v2 src0_sel:WORD_0 src1_sel:DWORD
	v_cndmask_b32_e32 v38, v4, v0, vcc
; %bb.1061:                             ;   in Loop: Header=BB6_1037 Depth=3
	s_or_b64 exec, exec, s[42:43]
	v_lshlrev_b32_e32 v0, 16, v11
	v_mul_f32_e32 v0, v44, v0
	v_and_b32_e32 v4, 0x7f800000, v0
	v_cmp_ne_u32_e32 vcc, s55, v4
                                        ; implicit-def: $vgpr55
	s_and_saveexec_b64 s[42:43], vcc
	s_xor_b64 s[42:43], exec, s[42:43]
; %bb.1062:                             ;   in Loop: Header=BB6_1037 Depth=3
	v_bfe_u32 v4, v0, 16, 1
	v_add3_u32 v55, v0, v4, s64
                                        ; implicit-def: $vgpr0
; %bb.1063:                             ;   in Loop: Header=BB6_1037 Depth=3
	s_andn2_saveexec_b64 s[42:43], s[42:43]
; %bb.1064:                             ;   in Loop: Header=BB6_1037 Depth=3
	v_or_b32_e32 v4, 0x10000, v0
	v_cmp_eq_u32_sdwa vcc, v0, v2 src0_sel:WORD_0 src1_sel:DWORD
	v_cndmask_b32_e32 v55, v4, v0, vcc
; %bb.1065:                             ;   in Loop: Header=BB6_1037 Depth=3
	s_or_b64 exec, exec, s[42:43]
	v_and_b32_e32 v0, 0xffff0000, v11
	v_mul_f32_e32 v0, v44, v0
	v_and_b32_e32 v4, 0x7f800000, v0
	v_cmp_ne_u32_e32 vcc, s55, v4
                                        ; implicit-def: $vgpr45
	s_and_saveexec_b64 s[42:43], vcc
	s_xor_b64 s[42:43], exec, s[42:43]
; %bb.1066:                             ;   in Loop: Header=BB6_1037 Depth=3
	v_bfe_u32 v4, v0, 16, 1
	v_add3_u32 v45, v0, v4, s64
                                        ; implicit-def: $vgpr0
; %bb.1067:                             ;   in Loop: Header=BB6_1037 Depth=3
	s_andn2_saveexec_b64 s[42:43], s[42:43]
; %bb.1068:                             ;   in Loop: Header=BB6_1037 Depth=3
	v_or_b32_e32 v4, 0x10000, v0
	v_cmp_eq_u32_sdwa vcc, v0, v2 src0_sel:WORD_0 src1_sel:DWORD
	v_cndmask_b32_e32 v45, v4, v0, vcc
; %bb.1069:                             ;   in Loop: Header=BB6_1037 Depth=3
	s_or_b64 exec, exec, s[42:43]
	global_load_dwordx4 v[8:11], v[61:62], off offset:1024 glc slc
                                        ; implicit-def: $vgpr34
	s_waitcnt vmcnt(0)
	v_lshlrev_b32_e32 v0, 16, v8
	v_mul_f32_e32 v0, v44, v0
	v_and_b32_e32 v4, 0x7f800000, v0
	v_cmp_ne_u32_e32 vcc, s55, v4
	s_and_saveexec_b64 s[42:43], vcc
	s_xor_b64 s[42:43], exec, s[42:43]
; %bb.1070:                             ;   in Loop: Header=BB6_1037 Depth=3
	v_bfe_u32 v4, v0, 16, 1
	v_add3_u32 v34, v0, v4, s64
                                        ; implicit-def: $vgpr0
; %bb.1071:                             ;   in Loop: Header=BB6_1037 Depth=3
	s_andn2_saveexec_b64 s[42:43], s[42:43]
; %bb.1072:                             ;   in Loop: Header=BB6_1037 Depth=3
	v_or_b32_e32 v4, 0x10000, v0
	v_cmp_eq_u32_sdwa vcc, v0, v2 src0_sel:WORD_0 src1_sel:DWORD
	v_cndmask_b32_e32 v34, v4, v0, vcc
; %bb.1073:                             ;   in Loop: Header=BB6_1037 Depth=3
	s_or_b64 exec, exec, s[42:43]
	v_and_b32_e32 v0, 0xffff0000, v8
	v_mul_f32_e32 v0, v44, v0
	v_and_b32_e32 v4, 0x7f800000, v0
	v_cmp_ne_u32_e32 vcc, s55, v4
                                        ; implicit-def: $vgpr52
	s_and_saveexec_b64 s[42:43], vcc
	s_xor_b64 s[42:43], exec, s[42:43]
; %bb.1074:                             ;   in Loop: Header=BB6_1037 Depth=3
	v_bfe_u32 v4, v0, 16, 1
	v_add3_u32 v52, v0, v4, s64
                                        ; implicit-def: $vgpr0
; %bb.1075:                             ;   in Loop: Header=BB6_1037 Depth=3
	s_andn2_saveexec_b64 s[42:43], s[42:43]
; %bb.1076:                             ;   in Loop: Header=BB6_1037 Depth=3
	v_or_b32_e32 v4, 0x10000, v0
	v_cmp_eq_u32_sdwa vcc, v0, v2 src0_sel:WORD_0 src1_sel:DWORD
	v_cndmask_b32_e32 v52, v4, v0, vcc
; %bb.1077:                             ;   in Loop: Header=BB6_1037 Depth=3
	s_or_b64 exec, exec, s[42:43]
	v_lshlrev_b32_e32 v0, 16, v9
	v_mul_f32_e32 v0, v44, v0
	v_and_b32_e32 v4, 0x7f800000, v0
	v_cmp_ne_u32_e32 vcc, s55, v4
                                        ; implicit-def: $vgpr53
	s_and_saveexec_b64 s[42:43], vcc
	s_xor_b64 s[42:43], exec, s[42:43]
; %bb.1078:                             ;   in Loop: Header=BB6_1037 Depth=3
	v_bfe_u32 v4, v0, 16, 1
	v_add3_u32 v53, v0, v4, s64
                                        ; implicit-def: $vgpr0
; %bb.1079:                             ;   in Loop: Header=BB6_1037 Depth=3
	s_andn2_saveexec_b64 s[42:43], s[42:43]
; %bb.1080:                             ;   in Loop: Header=BB6_1037 Depth=3
	v_or_b32_e32 v4, 0x10000, v0
	v_cmp_eq_u32_sdwa vcc, v0, v2 src0_sel:WORD_0 src1_sel:DWORD
	v_cndmask_b32_e32 v53, v4, v0, vcc
; %bb.1081:                             ;   in Loop: Header=BB6_1037 Depth=3
	s_or_b64 exec, exec, s[42:43]
	v_and_b32_e32 v0, 0xffff0000, v9
	v_mul_f32_e32 v0, v44, v0
	v_and_b32_e32 v4, 0x7f800000, v0
	v_cmp_ne_u32_e32 vcc, s55, v4
                                        ; implicit-def: $vgpr50
	s_and_saveexec_b64 s[42:43], vcc
	s_xor_b64 s[42:43], exec, s[42:43]
; %bb.1082:                             ;   in Loop: Header=BB6_1037 Depth=3
	v_bfe_u32 v4, v0, 16, 1
	v_add3_u32 v50, v0, v4, s64
                                        ; implicit-def: $vgpr0
; %bb.1083:                             ;   in Loop: Header=BB6_1037 Depth=3
	s_andn2_saveexec_b64 s[42:43], s[42:43]
; %bb.1084:                             ;   in Loop: Header=BB6_1037 Depth=3
	v_or_b32_e32 v4, 0x10000, v0
	v_cmp_eq_u32_sdwa vcc, v0, v2 src0_sel:WORD_0 src1_sel:DWORD
	v_cndmask_b32_e32 v50, v4, v0, vcc
; %bb.1085:                             ;   in Loop: Header=BB6_1037 Depth=3
	s_or_b64 exec, exec, s[42:43]
	v_lshlrev_b32_e32 v0, 16, v10
	v_mul_f32_e32 v0, v44, v0
	v_and_b32_e32 v4, 0x7f800000, v0
	v_cmp_ne_u32_e32 vcc, s55, v4
                                        ; implicit-def: $vgpr51
	s_and_saveexec_b64 s[42:43], vcc
	s_xor_b64 s[42:43], exec, s[42:43]
; %bb.1086:                             ;   in Loop: Header=BB6_1037 Depth=3
	v_bfe_u32 v4, v0, 16, 1
	v_add3_u32 v51, v0, v4, s64
                                        ; implicit-def: $vgpr0
; %bb.1087:                             ;   in Loop: Header=BB6_1037 Depth=3
	s_andn2_saveexec_b64 s[42:43], s[42:43]
; %bb.1088:                             ;   in Loop: Header=BB6_1037 Depth=3
	v_or_b32_e32 v4, 0x10000, v0
	v_cmp_eq_u32_sdwa vcc, v0, v2 src0_sel:WORD_0 src1_sel:DWORD
	v_cndmask_b32_e32 v51, v4, v0, vcc
; %bb.1089:                             ;   in Loop: Header=BB6_1037 Depth=3
	s_or_b64 exec, exec, s[42:43]
	v_and_b32_e32 v0, 0xffff0000, v10
	v_mul_f32_e32 v0, v44, v0
	v_and_b32_e32 v4, 0x7f800000, v0
	v_cmp_ne_u32_e32 vcc, s55, v4
                                        ; implicit-def: $vgpr4
	s_and_saveexec_b64 s[42:43], vcc
	s_xor_b64 s[42:43], exec, s[42:43]
; %bb.1090:                             ;   in Loop: Header=BB6_1037 Depth=3
	v_bfe_u32 v4, v0, 16, 1
	v_add3_u32 v4, v0, v4, s64
                                        ; implicit-def: $vgpr0
; %bb.1091:                             ;   in Loop: Header=BB6_1037 Depth=3
	s_andn2_saveexec_b64 s[42:43], s[42:43]
; %bb.1092:                             ;   in Loop: Header=BB6_1037 Depth=3
	v_or_b32_e32 v4, 0x10000, v0
	v_cmp_eq_u32_sdwa vcc, v0, v2 src0_sel:WORD_0 src1_sel:DWORD
	v_cndmask_b32_e32 v4, v4, v0, vcc
; %bb.1093:                             ;   in Loop: Header=BB6_1037 Depth=3
	s_or_b64 exec, exec, s[42:43]
	v_lshlrev_b32_e32 v0, 16, v11
	v_mul_f32_e32 v0, v44, v0
	v_and_b32_e32 v5, 0x7f800000, v0
	v_cmp_ne_u32_e32 vcc, s55, v5
                                        ; implicit-def: $vgpr5
	s_and_saveexec_b64 s[42:43], vcc
	s_xor_b64 s[42:43], exec, s[42:43]
; %bb.1094:                             ;   in Loop: Header=BB6_1037 Depth=3
	v_bfe_u32 v5, v0, 16, 1
	v_add3_u32 v5, v0, v5, s64
                                        ; implicit-def: $vgpr0
; %bb.1095:                             ;   in Loop: Header=BB6_1037 Depth=3
	s_andn2_saveexec_b64 s[42:43], s[42:43]
; %bb.1096:                             ;   in Loop: Header=BB6_1037 Depth=3
	v_or_b32_e32 v5, 0x10000, v0
	v_cmp_eq_u32_sdwa vcc, v0, v2 src0_sel:WORD_0 src1_sel:DWORD
	v_cndmask_b32_e32 v5, v5, v0, vcc
; %bb.1097:                             ;   in Loop: Header=BB6_1037 Depth=3
	s_or_b64 exec, exec, s[42:43]
	v_and_b32_e32 v0, 0xffff0000, v11
	v_mul_f32_e32 v7, v44, v0
	v_and_b32_e32 v0, 0x7f800000, v7
	v_cmp_ne_u32_e32 vcc, s55, v0
                                        ; implicit-def: $vgpr0
	s_and_saveexec_b64 s[42:43], vcc
	s_xor_b64 s[42:43], exec, s[42:43]
; %bb.1098:                             ;   in Loop: Header=BB6_1037 Depth=3
	v_bfe_u32 v0, v7, 16, 1
	v_add3_u32 v0, v7, v0, s64
                                        ; implicit-def: $vgpr7
; %bb.1099:                             ;   in Loop: Header=BB6_1037 Depth=3
	s_andn2_saveexec_b64 s[42:43], s[42:43]
; %bb.1100:                             ;   in Loop: Header=BB6_1037 Depth=3
	v_or_b32_e32 v0, 0x10000, v7
	v_cmp_eq_u32_sdwa vcc, v7, v2 src0_sel:WORD_0 src1_sel:DWORD
	v_cndmask_b32_e32 v0, v0, v7, vcc
; %bb.1101:                             ;   in Loop: Header=BB6_1037 Depth=3
	s_or_b64 exec, exec, s[42:43]
	global_load_dwordx4 v[12:15], v[18:19], off glc slc
	global_load_dwordx4 v[8:11], v[18:19], off offset:1024 glc slc
	v_and_b32_e32 v6, 0xffff0000, v6
                                        ; implicit-def: $vgpr35
	s_waitcnt vmcnt(1)
	v_lshlrev_b32_e32 v7, 16, v12
	v_add_f32_e32 v6, v6, v7
	v_and_b32_e32 v7, 0x7f800000, v6
	v_cmp_ne_u32_e32 vcc, s55, v7
	s_and_saveexec_b64 s[42:43], vcc
	s_xor_b64 s[42:43], exec, s[42:43]
; %bb.1102:                             ;   in Loop: Header=BB6_1037 Depth=3
	v_bfe_u32 v7, v6, 16, 1
	v_add3_u32 v35, v6, v7, s64
                                        ; implicit-def: $vgpr6
; %bb.1103:                             ;   in Loop: Header=BB6_1037 Depth=3
	s_andn2_saveexec_b64 s[42:43], s[42:43]
; %bb.1104:                             ;   in Loop: Header=BB6_1037 Depth=3
	v_or_b32_e32 v7, 0x10000, v6
	v_cmp_eq_u32_sdwa vcc, v6, v2 src0_sel:WORD_0 src1_sel:DWORD
	v_cndmask_b32_e32 v35, v7, v6, vcc
; %bb.1105:                             ;   in Loop: Header=BB6_1037 Depth=3
	s_or_b64 exec, exec, s[42:43]
	v_and_b32_e32 v6, 0xffff0000, v12
	v_and_b32_e32 v7, 0xffff0000, v17
	v_add_f32_e32 v7, v7, v6
	v_and_b32_e32 v6, 0x7f800000, v7
	v_cmp_ne_u32_e32 vcc, s55, v6
                                        ; implicit-def: $vgpr6
	s_and_saveexec_b64 s[42:43], vcc
	s_xor_b64 s[42:43], exec, s[42:43]
; %bb.1106:                             ;   in Loop: Header=BB6_1037 Depth=3
	v_bfe_u32 v6, v7, 16, 1
	v_add3_u32 v6, v7, v6, s64
                                        ; implicit-def: $vgpr7
; %bb.1107:                             ;   in Loop: Header=BB6_1037 Depth=3
	s_andn2_saveexec_b64 s[42:43], s[42:43]
; %bb.1108:                             ;   in Loop: Header=BB6_1037 Depth=3
	v_or_b32_e32 v6, 0x10000, v7
	v_cmp_eq_u32_sdwa vcc, v7, v2 src0_sel:WORD_0 src1_sel:DWORD
	v_cndmask_b32_e32 v6, v6, v7, vcc
; %bb.1109:                             ;   in Loop: Header=BB6_1037 Depth=3
	s_or_b64 exec, exec, s[42:43]
	v_and_b32_e32 v7, 0xffff0000, v26
	v_lshlrev_b32_e32 v12, 16, v13
	v_add_f32_e32 v12, v7, v12
	v_and_b32_e32 v7, 0x7f800000, v12
	v_cmp_ne_u32_e32 vcc, s55, v7
                                        ; implicit-def: $vgpr7
	s_and_saveexec_b64 s[42:43], vcc
	s_xor_b64 s[42:43], exec, s[42:43]
; %bb.1110:                             ;   in Loop: Header=BB6_1037 Depth=3
	v_bfe_u32 v7, v12, 16, 1
	v_add3_u32 v7, v12, v7, s64
                                        ; implicit-def: $vgpr12
; %bb.1111:                             ;   in Loop: Header=BB6_1037 Depth=3
	s_andn2_saveexec_b64 s[42:43], s[42:43]
; %bb.1112:                             ;   in Loop: Header=BB6_1037 Depth=3
	v_or_b32_e32 v7, 0x10000, v12
	v_cmp_eq_u32_sdwa vcc, v12, v2 src0_sel:WORD_0 src1_sel:DWORD
	v_cndmask_b32_e32 v7, v7, v12, vcc
; %bb.1113:                             ;   in Loop: Header=BB6_1037 Depth=3
	s_or_b64 exec, exec, s[42:43]
	v_and_b32_e32 v12, 0xffff0000, v13
	v_and_b32_e32 v13, 0xffff0000, v37
	v_add_f32_e32 v13, v13, v12
	v_and_b32_e32 v12, 0x7f800000, v13
	v_cmp_ne_u32_e32 vcc, s55, v12
                                        ; implicit-def: $vgpr12
	s_and_saveexec_b64 s[42:43], vcc
	s_xor_b64 s[42:43], exec, s[42:43]
; %bb.1114:                             ;   in Loop: Header=BB6_1037 Depth=3
	v_bfe_u32 v12, v13, 16, 1
	v_add3_u32 v12, v13, v12, s64
                                        ; implicit-def: $vgpr13
; %bb.1115:                             ;   in Loop: Header=BB6_1037 Depth=3
	s_andn2_saveexec_b64 s[42:43], s[42:43]
; %bb.1116:                             ;   in Loop: Header=BB6_1037 Depth=3
	v_or_b32_e32 v12, 0x10000, v13
	v_cmp_eq_u32_sdwa vcc, v13, v2 src0_sel:WORD_0 src1_sel:DWORD
	v_cndmask_b32_e32 v12, v12, v13, vcc
; %bb.1117:                             ;   in Loop: Header=BB6_1037 Depth=3
	s_or_b64 exec, exec, s[42:43]
	v_and_b32_e32 v13, 0xffff0000, v39
	v_lshlrev_b32_e32 v17, 16, v14
	v_add_f32_e32 v17, v13, v17
	v_and_b32_e32 v13, 0x7f800000, v17
	v_cmp_ne_u32_e32 vcc, s55, v13
                                        ; implicit-def: $vgpr13
	s_and_saveexec_b64 s[42:43], vcc
	s_xor_b64 s[42:43], exec, s[42:43]
; %bb.1118:                             ;   in Loop: Header=BB6_1037 Depth=3
	v_bfe_u32 v13, v17, 16, 1
	v_add3_u32 v13, v17, v13, s64
                                        ; implicit-def: $vgpr17
; %bb.1119:                             ;   in Loop: Header=BB6_1037 Depth=3
	s_andn2_saveexec_b64 s[42:43], s[42:43]
; %bb.1120:                             ;   in Loop: Header=BB6_1037 Depth=3
	v_or_b32_e32 v13, 0x10000, v17
	v_cmp_eq_u32_sdwa vcc, v17, v2 src0_sel:WORD_0 src1_sel:DWORD
	v_cndmask_b32_e32 v13, v13, v17, vcc
; %bb.1121:                             ;   in Loop: Header=BB6_1037 Depth=3
	s_or_b64 exec, exec, s[42:43]
	v_and_b32_e32 v14, 0xffff0000, v14
	v_and_b32_e32 v17, 0xffff0000, v38
	v_add_f32_e32 v17, v17, v14
	v_and_b32_e32 v14, 0x7f800000, v17
	v_cmp_ne_u32_e32 vcc, s55, v14
                                        ; implicit-def: $vgpr14
	s_and_saveexec_b64 s[42:43], vcc
	s_xor_b64 s[42:43], exec, s[42:43]
; %bb.1122:                             ;   in Loop: Header=BB6_1037 Depth=3
	v_bfe_u32 v14, v17, 16, 1
	v_add3_u32 v14, v17, v14, s64
                                        ; implicit-def: $vgpr17
; %bb.1123:                             ;   in Loop: Header=BB6_1037 Depth=3
	s_andn2_saveexec_b64 s[42:43], s[42:43]
; %bb.1124:                             ;   in Loop: Header=BB6_1037 Depth=3
	v_or_b32_e32 v14, 0x10000, v17
	v_cmp_eq_u32_sdwa vcc, v17, v2 src0_sel:WORD_0 src1_sel:DWORD
	v_cndmask_b32_e32 v14, v14, v17, vcc
; %bb.1125:                             ;   in Loop: Header=BB6_1037 Depth=3
	s_or_b64 exec, exec, s[42:43]
	v_and_b32_e32 v17, 0xffff0000, v55
	v_lshlrev_b32_e32 v20, 16, v15
	v_add_f32_e32 v26, v17, v20
	v_and_b32_e32 v17, 0x7f800000, v26
	v_cmp_ne_u32_e32 vcc, s55, v17
                                        ; implicit-def: $vgpr17
	s_and_saveexec_b64 s[42:43], vcc
	s_xor_b64 s[42:43], exec, s[42:43]
; %bb.1126:                             ;   in Loop: Header=BB6_1037 Depth=3
	v_bfe_u32 v17, v26, 16, 1
	v_add3_u32 v17, v26, v17, s64
                                        ; implicit-def: $vgpr26
; %bb.1127:                             ;   in Loop: Header=BB6_1037 Depth=3
	s_andn2_saveexec_b64 s[42:43], s[42:43]
; %bb.1128:                             ;   in Loop: Header=BB6_1037 Depth=3
	v_or_b32_e32 v17, 0x10000, v26
	v_cmp_eq_u32_sdwa vcc, v26, v2 src0_sel:WORD_0 src1_sel:DWORD
	v_cndmask_b32_e32 v17, v17, v26, vcc
; %bb.1129:                             ;   in Loop: Header=BB6_1037 Depth=3
	s_or_b64 exec, exec, s[42:43]
	v_and_b32_e32 v15, 0xffff0000, v15
	v_and_b32_e32 v20, 0xffff0000, v45
	v_add_f32_e32 v26, v20, v15
	v_and_b32_e32 v15, 0x7f800000, v26
	v_cmp_ne_u32_e32 vcc, s55, v15
                                        ; implicit-def: $vgpr15
	s_and_saveexec_b64 s[42:43], vcc
	s_xor_b64 s[42:43], exec, s[42:43]
; %bb.1130:                             ;   in Loop: Header=BB6_1037 Depth=3
	v_bfe_u32 v15, v26, 16, 1
	v_add3_u32 v15, v26, v15, s64
                                        ; implicit-def: $vgpr26
; %bb.1131:                             ;   in Loop: Header=BB6_1037 Depth=3
	s_andn2_saveexec_b64 s[42:43], s[42:43]
; %bb.1132:                             ;   in Loop: Header=BB6_1037 Depth=3
	v_or_b32_e32 v15, 0x10000, v26
	v_cmp_eq_u32_sdwa vcc, v26, v2 src0_sel:WORD_0 src1_sel:DWORD
	v_cndmask_b32_e32 v15, v15, v26, vcc
; %bb.1133:                             ;   in Loop: Header=BB6_1037 Depth=3
	s_or_b64 exec, exec, s[42:43]
	v_and_b32_e32 v20, 0xffff0000, v34
	s_waitcnt vmcnt(0)
	v_lshlrev_b32_e32 v21, 16, v8
	v_add_f32_e32 v27, v20, v21
	v_and_b32_e32 v20, 0x7f800000, v27
	v_cmp_ne_u32_e32 vcc, s55, v20
                                        ; implicit-def: $vgpr26
	s_and_saveexec_b64 s[42:43], vcc
	s_xor_b64 s[42:43], exec, s[42:43]
; %bb.1134:                             ;   in Loop: Header=BB6_1037 Depth=3
	v_bfe_u32 v20, v27, 16, 1
	v_add3_u32 v26, v27, v20, s64
                                        ; implicit-def: $vgpr27
; %bb.1135:                             ;   in Loop: Header=BB6_1037 Depth=3
	s_andn2_saveexec_b64 s[42:43], s[42:43]
; %bb.1136:                             ;   in Loop: Header=BB6_1037 Depth=3
	v_or_b32_e32 v20, 0x10000, v27
	v_cmp_eq_u32_sdwa vcc, v27, v2 src0_sel:WORD_0 src1_sel:DWORD
	v_cndmask_b32_e32 v26, v20, v27, vcc
; %bb.1137:                             ;   in Loop: Header=BB6_1037 Depth=3
	s_or_b64 exec, exec, s[42:43]
	v_and_b32_e32 v8, 0xffff0000, v8
	v_and_b32_e32 v20, 0xffff0000, v52
	v_add_f32_e32 v27, v20, v8
	v_and_b32_e32 v8, 0x7f800000, v27
	v_cmp_ne_u32_e32 vcc, s55, v8
                                        ; implicit-def: $vgpr8
	s_and_saveexec_b64 s[42:43], vcc
	s_xor_b64 s[42:43], exec, s[42:43]
; %bb.1138:                             ;   in Loop: Header=BB6_1037 Depth=3
	v_bfe_u32 v8, v27, 16, 1
	v_add3_u32 v8, v27, v8, s64
                                        ; implicit-def: $vgpr27
; %bb.1139:                             ;   in Loop: Header=BB6_1037 Depth=3
	s_andn2_saveexec_b64 s[42:43], s[42:43]
; %bb.1140:                             ;   in Loop: Header=BB6_1037 Depth=3
	v_or_b32_e32 v8, 0x10000, v27
	v_cmp_eq_u32_sdwa vcc, v27, v2 src0_sel:WORD_0 src1_sel:DWORD
	v_cndmask_b32_e32 v8, v8, v27, vcc
; %bb.1141:                             ;   in Loop: Header=BB6_1037 Depth=3
	s_or_b64 exec, exec, s[42:43]
	v_and_b32_e32 v20, 0xffff0000, v53
	v_lshlrev_b32_e32 v21, 16, v9
	v_add_f32_e32 v34, v20, v21
	v_and_b32_e32 v20, 0x7f800000, v34
	v_cmp_ne_u32_e32 vcc, s55, v20
                                        ; implicit-def: $vgpr27
	s_and_saveexec_b64 s[42:43], vcc
	s_xor_b64 s[42:43], exec, s[42:43]
; %bb.1142:                             ;   in Loop: Header=BB6_1037 Depth=3
	v_bfe_u32 v20, v34, 16, 1
	v_add3_u32 v27, v34, v20, s64
                                        ; implicit-def: $vgpr34
; %bb.1143:                             ;   in Loop: Header=BB6_1037 Depth=3
	s_andn2_saveexec_b64 s[42:43], s[42:43]
; %bb.1144:                             ;   in Loop: Header=BB6_1037 Depth=3
	v_or_b32_e32 v20, 0x10000, v34
	v_cmp_eq_u32_sdwa vcc, v34, v2 src0_sel:WORD_0 src1_sel:DWORD
	v_cndmask_b32_e32 v27, v20, v34, vcc
; %bb.1145:                             ;   in Loop: Header=BB6_1037 Depth=3
	s_or_b64 exec, exec, s[42:43]
	v_and_b32_e32 v9, 0xffff0000, v9
	v_and_b32_e32 v20, 0xffff0000, v50
	v_add_f32_e32 v34, v20, v9
	v_and_b32_e32 v9, 0x7f800000, v34
	v_cmp_ne_u32_e32 vcc, s55, v9
                                        ; implicit-def: $vgpr9
	s_and_saveexec_b64 s[42:43], vcc
	s_xor_b64 s[42:43], exec, s[42:43]
; %bb.1146:                             ;   in Loop: Header=BB6_1037 Depth=3
	v_bfe_u32 v9, v34, 16, 1
	v_add3_u32 v9, v34, v9, s64
                                        ; implicit-def: $vgpr34
; %bb.1147:                             ;   in Loop: Header=BB6_1037 Depth=3
	s_andn2_saveexec_b64 s[42:43], s[42:43]
; %bb.1148:                             ;   in Loop: Header=BB6_1037 Depth=3
	v_or_b32_e32 v9, 0x10000, v34
	v_cmp_eq_u32_sdwa vcc, v34, v2 src0_sel:WORD_0 src1_sel:DWORD
	v_cndmask_b32_e32 v9, v9, v34, vcc
; %bb.1149:                             ;   in Loop: Header=BB6_1037 Depth=3
	s_or_b64 exec, exec, s[42:43]
	v_and_b32_e32 v20, 0xffff0000, v51
	v_lshlrev_b32_e32 v21, 16, v10
	v_add_f32_e32 v37, v20, v21
	v_and_b32_e32 v20, 0x7f800000, v37
	v_cmp_ne_u32_e32 vcc, s55, v20
                                        ; implicit-def: $vgpr34
	s_and_saveexec_b64 s[42:43], vcc
	s_xor_b64 s[42:43], exec, s[42:43]
; %bb.1150:                             ;   in Loop: Header=BB6_1037 Depth=3
	v_bfe_u32 v20, v37, 16, 1
	v_add3_u32 v34, v37, v20, s64
                                        ; implicit-def: $vgpr37
; %bb.1151:                             ;   in Loop: Header=BB6_1037 Depth=3
	s_andn2_saveexec_b64 s[42:43], s[42:43]
; %bb.1152:                             ;   in Loop: Header=BB6_1037 Depth=3
	v_or_b32_e32 v20, 0x10000, v37
	v_cmp_eq_u32_sdwa vcc, v37, v2 src0_sel:WORD_0 src1_sel:DWORD
	v_cndmask_b32_e32 v34, v20, v37, vcc
; %bb.1153:                             ;   in Loop: Header=BB6_1037 Depth=3
	s_or_b64 exec, exec, s[42:43]
	v_and_b32_e32 v10, 0xffff0000, v10
	v_and_b32_e32 v4, 0xffff0000, v4
	v_add_f32_e32 v10, v4, v10
	v_and_b32_e32 v4, 0x7f800000, v10
	v_cmp_ne_u32_e32 vcc, s55, v4
                                        ; implicit-def: $vgpr4
	s_and_saveexec_b64 s[42:43], vcc
	s_xor_b64 s[42:43], exec, s[42:43]
; %bb.1154:                             ;   in Loop: Header=BB6_1037 Depth=3
	v_bfe_u32 v4, v10, 16, 1
	v_add3_u32 v4, v10, v4, s64
                                        ; implicit-def: $vgpr10
; %bb.1155:                             ;   in Loop: Header=BB6_1037 Depth=3
	s_andn2_saveexec_b64 s[42:43], s[42:43]
; %bb.1156:                             ;   in Loop: Header=BB6_1037 Depth=3
	v_or_b32_e32 v4, 0x10000, v10
	v_cmp_eq_u32_sdwa vcc, v10, v2 src0_sel:WORD_0 src1_sel:DWORD
	v_cndmask_b32_e32 v4, v4, v10, vcc
; %bb.1157:                             ;   in Loop: Header=BB6_1037 Depth=3
	s_or_b64 exec, exec, s[42:43]
	v_and_b32_e32 v5, 0xffff0000, v5
	v_lshlrev_b32_e32 v10, 16, v11
	v_add_f32_e32 v10, v5, v10
	v_and_b32_e32 v5, 0x7f800000, v10
	v_cmp_ne_u32_e32 vcc, s55, v5
                                        ; implicit-def: $vgpr5
	s_and_saveexec_b64 s[42:43], vcc
	s_xor_b64 s[42:43], exec, s[42:43]
; %bb.1158:                             ;   in Loop: Header=BB6_1037 Depth=3
	v_bfe_u32 v5, v10, 16, 1
	v_add3_u32 v5, v10, v5, s64
                                        ; implicit-def: $vgpr10
; %bb.1159:                             ;   in Loop: Header=BB6_1037 Depth=3
	s_andn2_saveexec_b64 s[42:43], s[42:43]
; %bb.1160:                             ;   in Loop: Header=BB6_1037 Depth=3
	v_or_b32_e32 v5, 0x10000, v10
	v_cmp_eq_u32_sdwa vcc, v10, v2 src0_sel:WORD_0 src1_sel:DWORD
	v_cndmask_b32_e32 v5, v5, v10, vcc
; %bb.1161:                             ;   in Loop: Header=BB6_1037 Depth=3
	s_or_b64 exec, exec, s[42:43]
	v_and_b32_e32 v10, 0xffff0000, v11
	v_and_b32_e32 v0, 0xffff0000, v0
	v_add_f32_e32 v10, v0, v10
	v_and_b32_e32 v0, 0x7f800000, v10
	v_cmp_ne_u32_e32 vcc, s55, v0
                                        ; implicit-def: $vgpr0
	s_and_saveexec_b64 s[42:43], vcc
	s_xor_b64 s[42:43], exec, s[42:43]
; %bb.1162:                             ;   in Loop: Header=BB6_1037 Depth=3
	v_bfe_u32 v0, v10, 16, 1
	v_add3_u32 v0, v10, v0, s64
                                        ; implicit-def: $vgpr10
; %bb.1163:                             ;   in Loop: Header=BB6_1037 Depth=3
	s_andn2_saveexec_b64 s[42:43], s[42:43]
	s_cbranch_execz .LBB6_1036
; %bb.1164:                             ;   in Loop: Header=BB6_1037 Depth=3
	v_or_b32_e32 v0, 0x10000, v10
	v_cmp_eq_u32_sdwa vcc, v10, v2 src0_sel:WORD_0 src1_sel:DWORD
	v_cndmask_b32_e32 v0, v0, v10, vcc
	s_branch .LBB6_1036
.LBB6_1165:                             ;   in Loop: Header=BB6_952 Depth=2
	s_or_b64 exec, exec, s[40:41]
	buffer_load_dword v56, off, s[0:3], s33 offset:172 ; 4-byte Folded Reload
	buffer_load_dword v58, off, s[0:3], s33 offset:96 ; 4-byte Folded Reload
	;; [unrolled: 1-line block ×6, first 2 shown]
	v_mov_b32_e32 v62, v24
	v_mov_b32_e32 v57, v25
.LBB6_1166:                             ;   in Loop: Header=BB6_952 Depth=2
	s_or_b64 exec, exec, s[28:29]
	s_waitcnt vmcnt(0)
	v_lshlrev_b32_e32 v4, 11, v4
	v_cmp_ne_u32_e32 vcc, v57, v4
	s_mov_b64 s[28:29], 0
	v_mov_b32_e32 v18, 0
                                        ; implicit-def: $vgpr19
                                        ; implicit-def: $vgpr50
	s_and_saveexec_b64 s[90:91], vcc
	s_cbranch_execz .LBB6_1238
; %bb.1167:                             ;   in Loop: Header=BB6_952 Depth=2
	buffer_load_dword v5, off, s[0:3], s33 offset:140 ; 4-byte Folded Reload
	v_lshlrev_b32_e32 v0, 6, v41
	v_sub_u32_e32 v6, v57, v4
	s_waitcnt vmcnt(0)
	v_sub_u32_e32 v0, v5, v0
	v_ashrrev_i32_e32 v5, 31, v0
	v_lshrrev_b32_e32 v5, 26, v5
	v_add_u32_e32 v5, v0, v5
	v_ashrrev_i32_e32 v7, 6, v5
	v_and_b32_e32 v5, 0xffffffc0, v5
	v_sub_u32_e32 v50, v0, v5
	v_lshlrev_b32_e32 v0, 4, v50
	v_lshl_add_u32 v5, v7, 10, v0
	v_ashrrev_i32_e32 v0, 31, v6
	v_lshrrev_b32_e32 v0, 22, v0
	v_add_u32_e32 v0, v6, v0
	v_ashrrev_i32_e32 v8, 10, v0
	v_and_b32_e32 v0, 0xfffffc00, v0
	v_sub_u32_e32 v19, v6, v0
	v_cmp_lt_i32_e64 s[28:29], 15, v19
	v_sub_u32_e32 v18, v6, v5
	v_addc_co_u32_e64 v6, vcc, 0, v8, s[28:29]
	v_sub_u32_e32 v51, v6, v7
	v_cmp_lt_i32_e32 vcc, 15, v18
	s_and_saveexec_b64 s[92:93], vcc
	s_cbranch_execz .LBB6_1237
; %bb.1168:                             ;   in Loop: Header=BB6_952 Depth=2
	v_add_u32_e32 v7, v5, v4
	buffer_load_dword v5, off, s[0:3], s33 offset:176 ; 4-byte Folded Reload
	buffer_load_dword v6, off, s[0:3], s33 offset:180 ; 4-byte Folded Reload
	v_ashrrev_i32_e32 v8, 31, v7
	v_mov_b32_e32 v24, v57
	s_mov_b64 s[94:95], 0
	s_waitcnt vmcnt(1)
	v_add_co_u32_e32 v41, vcc, v7, v5
	s_waitcnt vmcnt(0)
	v_addc_co_u32_e32 v44, vcc, v8, v6, vcc
	buffer_load_dword v5, off, s[0:3], s33 offset:184 ; 4-byte Folded Reload
	buffer_load_dword v6, off, s[0:3], s33 offset:188 ; 4-byte Folded Reload
	s_trap 2
	s_waitcnt vmcnt(1)
	v_add_co_u32_e32 v45, vcc, v7, v5
	s_waitcnt vmcnt(0)
	v_addc_co_u32_e32 v57, vcc, v8, v6, vcc
	ds_read_b64 v[5:6], v0
	v_add_co_u32_e32 v12, vcc, v7, v46
	v_addc_co_u32_e32 v13, vcc, v8, v47, vcc
	s_waitcnt lgkmcnt(0)
	v_add_co_u32_e32 v14, vcc, v5, v7
	ds_read_b32 v5, v0
	v_addc_co_u32_e32 v15, vcc, v6, v8, vcc
	s_waitcnt lgkmcnt(0)
	v_lshlrev_b32_e32 v5, 16, v5
.LBB6_1169:                             ;   Parent Loop BB6_47 Depth=1
                                        ;     Parent Loop BB6_952 Depth=2
                                        ; =>    This Loop Header: Depth=3
                                        ;         Child Loop BB6_1234 Depth 4
	global_load_dwordx4 v[8:11], v[12:13], off glc slc
	s_waitcnt vmcnt(0)
	v_lshlrev_b32_e32 v6, 16, v8
	v_mul_f32_e32 v6, v5, v6
	v_and_b32_e32 v7, 0x7f800000, v6
	v_cmp_ne_u32_e32 vcc, s55, v7
                                        ; implicit-def: $vgpr7
	s_and_saveexec_b64 s[40:41], vcc
	s_xor_b64 s[40:41], exec, s[40:41]
; %bb.1170:                             ;   in Loop: Header=BB6_1169 Depth=3
	v_bfe_u32 v7, v6, 16, 1
	v_add3_u32 v7, v6, v7, s64
                                        ; implicit-def: $vgpr6
; %bb.1171:                             ;   in Loop: Header=BB6_1169 Depth=3
	s_andn2_saveexec_b64 s[40:41], s[40:41]
; %bb.1172:                             ;   in Loop: Header=BB6_1169 Depth=3
	v_or_b32_e32 v7, 0x10000, v6
	v_cmp_eq_u32_sdwa vcc, v6, v2 src0_sel:WORD_0 src1_sel:DWORD
	v_cndmask_b32_e32 v7, v7, v6, vcc
; %bb.1173:                             ;   in Loop: Header=BB6_1169 Depth=3
	s_or_b64 exec, exec, s[40:41]
	v_and_b32_e32 v6, 0xffff0000, v8
	v_mul_f32_e32 v6, v5, v6
	v_and_b32_e32 v8, 0x7f800000, v6
	v_cmp_ne_u32_e32 vcc, s55, v8
                                        ; implicit-def: $vgpr37
	s_and_saveexec_b64 s[40:41], vcc
	s_xor_b64 s[40:41], exec, s[40:41]
; %bb.1174:                             ;   in Loop: Header=BB6_1169 Depth=3
	v_bfe_u32 v8, v6, 16, 1
	v_add3_u32 v37, v6, v8, s64
                                        ; implicit-def: $vgpr6
; %bb.1175:                             ;   in Loop: Header=BB6_1169 Depth=3
	s_andn2_saveexec_b64 s[40:41], s[40:41]
; %bb.1176:                             ;   in Loop: Header=BB6_1169 Depth=3
	v_or_b32_e32 v8, 0x10000, v6
	v_cmp_eq_u32_sdwa vcc, v6, v2 src0_sel:WORD_0 src1_sel:DWORD
	v_cndmask_b32_e32 v37, v8, v6, vcc
; %bb.1177:                             ;   in Loop: Header=BB6_1169 Depth=3
	s_or_b64 exec, exec, s[40:41]
	v_lshlrev_b32_e32 v6, 16, v9
	v_mul_f32_e32 v6, v5, v6
	v_and_b32_e32 v8, 0x7f800000, v6
	v_cmp_ne_u32_e32 vcc, s55, v8
                                        ; implicit-def: $vgpr35
	s_and_saveexec_b64 s[40:41], vcc
	s_xor_b64 s[40:41], exec, s[40:41]
; %bb.1178:                             ;   in Loop: Header=BB6_1169 Depth=3
	v_bfe_u32 v8, v6, 16, 1
	v_add3_u32 v35, v6, v8, s64
                                        ; implicit-def: $vgpr6
; %bb.1179:                             ;   in Loop: Header=BB6_1169 Depth=3
	s_andn2_saveexec_b64 s[40:41], s[40:41]
; %bb.1180:                             ;   in Loop: Header=BB6_1169 Depth=3
	v_or_b32_e32 v8, 0x10000, v6
	v_cmp_eq_u32_sdwa vcc, v6, v2 src0_sel:WORD_0 src1_sel:DWORD
	v_cndmask_b32_e32 v35, v8, v6, vcc
; %bb.1181:                             ;   in Loop: Header=BB6_1169 Depth=3
	s_or_b64 exec, exec, s[40:41]
	v_and_b32_e32 v6, 0xffff0000, v9
	v_mul_f32_e32 v6, v5, v6
	v_and_b32_e32 v8, 0x7f800000, v6
	v_cmp_ne_u32_e32 vcc, s55, v8
                                        ; implicit-def: $vgpr34
	s_and_saveexec_b64 s[40:41], vcc
	s_xor_b64 s[40:41], exec, s[40:41]
; %bb.1182:                             ;   in Loop: Header=BB6_1169 Depth=3
	v_bfe_u32 v8, v6, 16, 1
	v_add3_u32 v34, v6, v8, s64
                                        ; implicit-def: $vgpr6
; %bb.1183:                             ;   in Loop: Header=BB6_1169 Depth=3
	s_andn2_saveexec_b64 s[40:41], s[40:41]
; %bb.1184:                             ;   in Loop: Header=BB6_1169 Depth=3
	v_or_b32_e32 v8, 0x10000, v6
	v_cmp_eq_u32_sdwa vcc, v6, v2 src0_sel:WORD_0 src1_sel:DWORD
	v_cndmask_b32_e32 v34, v8, v6, vcc
; %bb.1185:                             ;   in Loop: Header=BB6_1169 Depth=3
	s_or_b64 exec, exec, s[40:41]
	v_lshlrev_b32_e32 v6, 16, v10
	v_mul_f32_e32 v6, v5, v6
	v_and_b32_e32 v8, 0x7f800000, v6
	v_cmp_ne_u32_e32 vcc, s55, v8
                                        ; implicit-def: $vgpr27
	s_and_saveexec_b64 s[40:41], vcc
	s_xor_b64 s[40:41], exec, s[40:41]
; %bb.1186:                             ;   in Loop: Header=BB6_1169 Depth=3
	v_bfe_u32 v8, v6, 16, 1
	v_add3_u32 v27, v6, v8, s64
                                        ; implicit-def: $vgpr6
; %bb.1187:                             ;   in Loop: Header=BB6_1169 Depth=3
	s_andn2_saveexec_b64 s[40:41], s[40:41]
; %bb.1188:                             ;   in Loop: Header=BB6_1169 Depth=3
	v_or_b32_e32 v8, 0x10000, v6
	v_cmp_eq_u32_sdwa vcc, v6, v2 src0_sel:WORD_0 src1_sel:DWORD
	v_cndmask_b32_e32 v27, v8, v6, vcc
; %bb.1189:                             ;   in Loop: Header=BB6_1169 Depth=3
	s_or_b64 exec, exec, s[40:41]
	v_and_b32_e32 v6, 0xffff0000, v10
	v_mul_f32_e32 v6, v5, v6
	v_and_b32_e32 v8, 0x7f800000, v6
	v_cmp_ne_u32_e32 vcc, s55, v8
                                        ; implicit-def: $vgpr26
	s_and_saveexec_b64 s[40:41], vcc
	s_xor_b64 s[40:41], exec, s[40:41]
; %bb.1190:                             ;   in Loop: Header=BB6_1169 Depth=3
	v_bfe_u32 v8, v6, 16, 1
	v_add3_u32 v26, v6, v8, s64
                                        ; implicit-def: $vgpr6
; %bb.1191:                             ;   in Loop: Header=BB6_1169 Depth=3
	s_andn2_saveexec_b64 s[40:41], s[40:41]
; %bb.1192:                             ;   in Loop: Header=BB6_1169 Depth=3
	v_or_b32_e32 v8, 0x10000, v6
	v_cmp_eq_u32_sdwa vcc, v6, v2 src0_sel:WORD_0 src1_sel:DWORD
	v_cndmask_b32_e32 v26, v8, v6, vcc
; %bb.1193:                             ;   in Loop: Header=BB6_1169 Depth=3
	s_or_b64 exec, exec, s[40:41]
	v_lshlrev_b32_e32 v6, 16, v11
	v_mul_f32_e32 v6, v5, v6
	v_and_b32_e32 v8, 0x7f800000, v6
	v_cmp_ne_u32_e32 vcc, s55, v8
                                        ; implicit-def: $vgpr17
	s_and_saveexec_b64 s[40:41], vcc
	s_xor_b64 s[40:41], exec, s[40:41]
; %bb.1194:                             ;   in Loop: Header=BB6_1169 Depth=3
	v_bfe_u32 v8, v6, 16, 1
	v_add3_u32 v17, v6, v8, s64
                                        ; implicit-def: $vgpr6
; %bb.1195:                             ;   in Loop: Header=BB6_1169 Depth=3
	s_andn2_saveexec_b64 s[40:41], s[40:41]
; %bb.1196:                             ;   in Loop: Header=BB6_1169 Depth=3
	v_or_b32_e32 v8, 0x10000, v6
	v_cmp_eq_u32_sdwa vcc, v6, v2 src0_sel:WORD_0 src1_sel:DWORD
	v_cndmask_b32_e32 v17, v8, v6, vcc
; %bb.1197:                             ;   in Loop: Header=BB6_1169 Depth=3
	s_or_b64 exec, exec, s[40:41]
	v_and_b32_e32 v6, 0xffff0000, v11
	v_mul_f32_e32 v8, v5, v6
	v_and_b32_e32 v6, 0x7f800000, v8
	v_cmp_ne_u32_e32 vcc, s55, v6
                                        ; implicit-def: $vgpr6
	s_and_saveexec_b64 s[40:41], vcc
	s_xor_b64 s[40:41], exec, s[40:41]
; %bb.1198:                             ;   in Loop: Header=BB6_1169 Depth=3
	v_bfe_u32 v6, v8, 16, 1
	v_add3_u32 v6, v8, v6, s64
                                        ; implicit-def: $vgpr8
; %bb.1199:                             ;   in Loop: Header=BB6_1169 Depth=3
	s_andn2_saveexec_b64 s[40:41], s[40:41]
; %bb.1200:                             ;   in Loop: Header=BB6_1169 Depth=3
	v_or_b32_e32 v6, 0x10000, v8
	v_cmp_eq_u32_sdwa vcc, v8, v2 src0_sel:WORD_0 src1_sel:DWORD
	v_cndmask_b32_e32 v6, v6, v8, vcc
; %bb.1201:                             ;   in Loop: Header=BB6_1169 Depth=3
	s_or_b64 exec, exec, s[40:41]
	global_load_dwordx4 v[8:11], v[14:15], off glc slc
	v_and_b32_e32 v7, 0xffff0000, v7
	s_waitcnt vmcnt(0)
	v_lshlrev_b32_e32 v20, 16, v8
	v_add_f32_e32 v38, v7, v20
	v_and_b32_e32 v7, 0x7f800000, v38
	v_cmp_ne_u32_e32 vcc, s55, v7
                                        ; implicit-def: $vgpr7
	s_and_saveexec_b64 s[40:41], vcc
	s_xor_b64 s[40:41], exec, s[40:41]
; %bb.1202:                             ;   in Loop: Header=BB6_1169 Depth=3
	v_bfe_u32 v7, v38, 16, 1
	v_add3_u32 v7, v38, v7, s64
                                        ; implicit-def: $vgpr38
; %bb.1203:                             ;   in Loop: Header=BB6_1169 Depth=3
	s_andn2_saveexec_b64 s[40:41], s[40:41]
; %bb.1204:                             ;   in Loop: Header=BB6_1169 Depth=3
	v_or_b32_e32 v7, 0x10000, v38
	v_cmp_eq_u32_sdwa vcc, v38, v2 src0_sel:WORD_0 src1_sel:DWORD
	v_cndmask_b32_e32 v7, v7, v38, vcc
; %bb.1205:                             ;   in Loop: Header=BB6_1169 Depth=3
	s_or_b64 exec, exec, s[40:41]
	v_and_b32_e32 v20, 0xffff0000, v37
	v_and_b32_e32 v8, 0xffff0000, v8
	v_add_f32_e32 v37, v20, v8
	v_and_b32_e32 v8, 0x7f800000, v37
	v_cmp_ne_u32_e32 vcc, s55, v8
                                        ; implicit-def: $vgpr8
	s_and_saveexec_b64 s[40:41], vcc
	s_xor_b64 s[40:41], exec, s[40:41]
; %bb.1206:                             ;   in Loop: Header=BB6_1169 Depth=3
	v_bfe_u32 v8, v37, 16, 1
	v_add3_u32 v8, v37, v8, s64
                                        ; implicit-def: $vgpr37
; %bb.1207:                             ;   in Loop: Header=BB6_1169 Depth=3
	s_andn2_saveexec_b64 s[40:41], s[40:41]
; %bb.1208:                             ;   in Loop: Header=BB6_1169 Depth=3
	v_or_b32_e32 v8, 0x10000, v37
	v_cmp_eq_u32_sdwa vcc, v37, v2 src0_sel:WORD_0 src1_sel:DWORD
	v_cndmask_b32_e32 v8, v8, v37, vcc
; %bb.1209:                             ;   in Loop: Header=BB6_1169 Depth=3
	s_or_b64 exec, exec, s[40:41]
	v_and_b32_e32 v20, 0xffff0000, v35
	v_lshlrev_b32_e32 v21, 16, v9
	v_add_f32_e32 v37, v20, v21
	v_and_b32_e32 v20, 0x7f800000, v37
	v_cmp_ne_u32_e32 vcc, s55, v20
                                        ; implicit-def: $vgpr35
	s_and_saveexec_b64 s[40:41], vcc
	s_xor_b64 s[40:41], exec, s[40:41]
; %bb.1210:                             ;   in Loop: Header=BB6_1169 Depth=3
	v_bfe_u32 v20, v37, 16, 1
	v_add3_u32 v35, v37, v20, s64
                                        ; implicit-def: $vgpr37
; %bb.1211:                             ;   in Loop: Header=BB6_1169 Depth=3
	s_andn2_saveexec_b64 s[40:41], s[40:41]
; %bb.1212:                             ;   in Loop: Header=BB6_1169 Depth=3
	v_or_b32_e32 v20, 0x10000, v37
	v_cmp_eq_u32_sdwa vcc, v37, v2 src0_sel:WORD_0 src1_sel:DWORD
	v_cndmask_b32_e32 v35, v20, v37, vcc
; %bb.1213:                             ;   in Loop: Header=BB6_1169 Depth=3
	s_or_b64 exec, exec, s[40:41]
	v_and_b32_e32 v20, 0xffff0000, v34
	v_and_b32_e32 v9, 0xffff0000, v9
	v_add_f32_e32 v34, v20, v9
	v_and_b32_e32 v9, 0x7f800000, v34
	v_cmp_ne_u32_e32 vcc, s55, v9
                                        ; implicit-def: $vgpr9
	s_and_saveexec_b64 s[40:41], vcc
	s_xor_b64 s[40:41], exec, s[40:41]
; %bb.1214:                             ;   in Loop: Header=BB6_1169 Depth=3
	v_bfe_u32 v9, v34, 16, 1
	v_add3_u32 v9, v34, v9, s64
                                        ; implicit-def: $vgpr34
; %bb.1215:                             ;   in Loop: Header=BB6_1169 Depth=3
	s_andn2_saveexec_b64 s[40:41], s[40:41]
; %bb.1216:                             ;   in Loop: Header=BB6_1169 Depth=3
	v_or_b32_e32 v9, 0x10000, v34
	v_cmp_eq_u32_sdwa vcc, v34, v2 src0_sel:WORD_0 src1_sel:DWORD
	v_cndmask_b32_e32 v9, v9, v34, vcc
; %bb.1217:                             ;   in Loop: Header=BB6_1169 Depth=3
	s_or_b64 exec, exec, s[40:41]
	v_and_b32_e32 v20, 0xffff0000, v27
	v_lshlrev_b32_e32 v21, 16, v10
	v_add_f32_e32 v34, v20, v21
	v_and_b32_e32 v20, 0x7f800000, v34
	v_cmp_ne_u32_e32 vcc, s55, v20
                                        ; implicit-def: $vgpr27
	s_and_saveexec_b64 s[40:41], vcc
	s_xor_b64 s[40:41], exec, s[40:41]
; %bb.1218:                             ;   in Loop: Header=BB6_1169 Depth=3
	v_bfe_u32 v20, v34, 16, 1
	v_add3_u32 v27, v34, v20, s64
                                        ; implicit-def: $vgpr34
; %bb.1219:                             ;   in Loop: Header=BB6_1169 Depth=3
	s_andn2_saveexec_b64 s[40:41], s[40:41]
; %bb.1220:                             ;   in Loop: Header=BB6_1169 Depth=3
	v_or_b32_e32 v20, 0x10000, v34
	v_cmp_eq_u32_sdwa vcc, v34, v2 src0_sel:WORD_0 src1_sel:DWORD
	v_cndmask_b32_e32 v27, v20, v34, vcc
; %bb.1221:                             ;   in Loop: Header=BB6_1169 Depth=3
	s_or_b64 exec, exec, s[40:41]
	v_and_b32_e32 v20, 0xffff0000, v26
	v_and_b32_e32 v10, 0xffff0000, v10
	v_add_f32_e32 v26, v20, v10
	v_and_b32_e32 v10, 0x7f800000, v26
	v_cmp_ne_u32_e32 vcc, s55, v10
                                        ; implicit-def: $vgpr10
	s_and_saveexec_b64 s[40:41], vcc
	s_xor_b64 s[40:41], exec, s[40:41]
; %bb.1222:                             ;   in Loop: Header=BB6_1169 Depth=3
	v_bfe_u32 v10, v26, 16, 1
	v_add3_u32 v10, v26, v10, s64
                                        ; implicit-def: $vgpr26
; %bb.1223:                             ;   in Loop: Header=BB6_1169 Depth=3
	s_andn2_saveexec_b64 s[40:41], s[40:41]
; %bb.1224:                             ;   in Loop: Header=BB6_1169 Depth=3
	v_or_b32_e32 v10, 0x10000, v26
	v_cmp_eq_u32_sdwa vcc, v26, v2 src0_sel:WORD_0 src1_sel:DWORD
	v_cndmask_b32_e32 v10, v10, v26, vcc
; %bb.1225:                             ;   in Loop: Header=BB6_1169 Depth=3
	s_or_b64 exec, exec, s[40:41]
	v_and_b32_e32 v17, 0xffff0000, v17
	v_lshlrev_b32_e32 v20, 16, v11
	v_add_f32_e32 v26, v17, v20
	v_and_b32_e32 v17, 0x7f800000, v26
	v_cmp_ne_u32_e32 vcc, s55, v17
                                        ; implicit-def: $vgpr17
	s_and_saveexec_b64 s[40:41], vcc
	s_xor_b64 s[40:41], exec, s[40:41]
; %bb.1226:                             ;   in Loop: Header=BB6_1169 Depth=3
	v_bfe_u32 v17, v26, 16, 1
	v_add3_u32 v17, v26, v17, s64
                                        ; implicit-def: $vgpr26
; %bb.1227:                             ;   in Loop: Header=BB6_1169 Depth=3
	s_andn2_saveexec_b64 s[40:41], s[40:41]
; %bb.1228:                             ;   in Loop: Header=BB6_1169 Depth=3
	v_or_b32_e32 v17, 0x10000, v26
	v_cmp_eq_u32_sdwa vcc, v26, v2 src0_sel:WORD_0 src1_sel:DWORD
	v_cndmask_b32_e32 v17, v17, v26, vcc
; %bb.1229:                             ;   in Loop: Header=BB6_1169 Depth=3
	s_or_b64 exec, exec, s[40:41]
	v_and_b32_e32 v6, 0xffff0000, v6
	v_and_b32_e32 v11, 0xffff0000, v11
	v_add_f32_e32 v11, v6, v11
	v_and_b32_e32 v6, 0x7f800000, v11
	v_cmp_ne_u32_e32 vcc, s55, v6
                                        ; implicit-def: $vgpr6
	s_and_saveexec_b64 s[40:41], vcc
	s_xor_b64 s[40:41], exec, s[40:41]
; %bb.1230:                             ;   in Loop: Header=BB6_1169 Depth=3
	v_bfe_u32 v6, v11, 16, 1
	v_add3_u32 v6, v11, v6, s64
                                        ; implicit-def: $vgpr11
; %bb.1231:                             ;   in Loop: Header=BB6_1169 Depth=3
	s_andn2_saveexec_b64 s[40:41], s[40:41]
; %bb.1232:                             ;   in Loop: Header=BB6_1169 Depth=3
	v_or_b32_e32 v6, 0x10000, v11
	v_cmp_eq_u32_sdwa vcc, v11, v2 src0_sel:WORD_0 src1_sel:DWORD
	v_cndmask_b32_e32 v6, v6, v11, vcc
; %bb.1233:                             ;   in Loop: Header=BB6_1169 Depth=3
	s_or_b64 exec, exec, s[40:41]
	v_lshrrev_b32_e32 v7, 16, v7
	v_and_or_b32 v8, v8, s65, v7
	v_lshrrev_b32_e32 v7, 16, v27
	v_lshrrev_b32_e32 v11, 16, v35
	v_and_or_b32 v10, v10, s65, v7
	v_lshrrev_b32_e32 v7, 16, v17
	v_and_or_b32 v9, v9, s65, v11
	v_and_or_b32 v11, v6, s65, v7
	s_mov_b64 s[34:35], 0
	s_mov_b64 s[30:31], -1
.LBB6_1234:                             ;   Parent Loop BB6_47 Depth=1
                                        ;     Parent Loop BB6_952 Depth=2
                                        ;       Parent Loop BB6_1169 Depth=3
                                        ; =>      This Inner Loop Header: Depth=4
	s_cmp_eq_u32 s34, 1
	s_cselect_b64 s[40:41], -1, 0
	v_cndmask_b32_e64 v7, v44, v57, s[40:41]
	v_cndmask_b32_e64 v6, v41, v45, s[40:41]
	global_store_dwordx4 v[6:7], v[8:11], off glc slc
	v_add_co_u32_e32 v6, vcc, 0x400, v6
	s_cmp_eq_u32 s34, 0
	v_addc_co_u32_e32 v7, vcc, 0, v7, vcc
	s_cselect_b64 vcc, -1, 0
	s_and_b64 s[42:43], exec, s[30:31]
	s_mov_b64 s[34:35], 1
	v_cndmask_b32_e64 v45, v45, v6, s[40:41]
	s_mov_b64 s[30:31], 0
	v_cndmask_b32_e64 v57, v57, v7, s[40:41]
	v_cndmask_b32_e32 v44, v44, v7, vcc
	v_cndmask_b32_e32 v41, v41, v6, vcc
	s_mov_b64 vcc, s[42:43]
	s_cbranch_vccnz .LBB6_1234
; %bb.1235:                             ;   in Loop: Header=BB6_1169 Depth=3
	buffer_load_dword v6, off, s[0:3], s33 offset:116 ; 4-byte Folded Reload
	buffer_load_dword v7, off, s[0:3], s33 offset:120 ; 4-byte Folded Reload
	v_sub_u32_e32 v18, v18, v31
	v_sub_u32_e32 v51, v51, v16
	s_waitcnt vmcnt(1)
	v_add_co_u32_e32 v12, vcc, v12, v6
	s_waitcnt vmcnt(0)
	v_addc_co_u32_e32 v13, vcc, v13, v7, vcc
	v_add_co_u32_e32 v14, vcc, v14, v6
	v_addc_co_u32_e32 v15, vcc, v15, v7, vcc
	buffer_load_dword v7, off, s[0:3], s33 offset:112 ; 4-byte Folded Reload
	v_add_u32_e32 v6, 0xfffffc00, v31
	v_add_co_u32_e32 v41, vcc, v41, v6
	s_waitcnt vmcnt(0)
	v_addc_co_u32_e32 v44, vcc, v44, v7, vcc
	v_add_co_u32_e32 v45, vcc, v45, v6
	v_addc_co_u32_e32 v57, vcc, v57, v7, vcc
	v_cmp_gt_i32_e32 vcc, 16, v18
	s_or_b64 s[94:95], vcc, s[94:95]
	s_andn2_b64 exec, exec, s[94:95]
	s_cbranch_execnz .LBB6_1169
; %bb.1236:                             ;   in Loop: Header=BB6_952 Depth=2
	s_or_b64 exec, exec, s[94:95]
	v_mov_b32_e32 v57, v24
.LBB6_1237:                             ;   in Loop: Header=BB6_952 Depth=2
	s_or_b64 exec, exec, s[92:93]
	v_and_b32_e32 v5, 14, v57
	v_sub_u32_e32 v6, v19, v5
	v_cndmask_b32_e64 v6, 0, v6, s[28:29]
	v_cmp_lt_i32_e32 vcc, 0, v51
	v_add3_u32 v18, v0, v4, v6
	v_cndmask_b32_e64 v19, v19, v5, s[28:29]
	v_cndmask_b32_e32 v0, 0, v16, vcc
	v_sub_u32_e32 v0, v0, v51
	v_cmp_ne_u32_e32 vcc, 0, v19
	v_lshl_add_u32 v50, v0, 6, v50
	s_and_b64 s[28:29], vcc, exec
.LBB6_1238:                             ;   in Loop: Header=BB6_952 Depth=2
	s_or_b64 exec, exec, s[90:91]
	s_and_saveexec_b64 s[42:43], s[28:29]
	s_cbranch_execz .LBB6_1321
.LBB6_1239:                             ;   in Loop: Header=BB6_952 Depth=2
	v_ashrrev_i32_e32 v0, 31, v50
	v_ashrrev_i32_e32 v4, 31, v19
	v_lshrrev_b32_e32 v0, 26, v0
	v_lshrrev_b32_e32 v4, 22, v4
	v_add_u32_e32 v6, v50, v0
	v_add_u32_e32 v4, v19, v4
	v_ashrrev_i32_e32 v0, 6, v6
	v_ashrrev_i32_e32 v5, 10, v4
	v_sub_u32_e32 v4, v5, v0
	v_cmp_lt_i32_e32 vcc, 0, v4
	s_and_saveexec_b64 s[28:29], vcc
	s_cbranch_execz .LBB6_1307
; %bb.1240:                             ;   in Loop: Header=BB6_952 Depth=2
	v_and_b32_e32 v6, 0x7fffffc0, v6
	v_sub_u32_e32 v6, v50, v6
	v_lshlrev_b32_e32 v6, 1, v6
	v_lshlrev_b32_e32 v7, 10, v0
	v_add3_u32 v14, v6, v18, v7
	buffer_load_dword v6, off, s[0:3], s33 offset:176 ; 4-byte Folded Reload
	buffer_load_dword v7, off, s[0:3], s33 offset:180 ; 4-byte Folded Reload
	v_ashrrev_i32_e32 v15, 31, v14
	s_mov_b64 s[40:41], 0
	s_waitcnt vmcnt(1)
	v_add_co_u32_e32 v8, vcc, v14, v6
	s_waitcnt vmcnt(0)
	v_addc_co_u32_e32 v9, vcc, v15, v7, vcc
	buffer_load_dword v6, off, s[0:3], s33 offset:184 ; 4-byte Folded Reload
	buffer_load_dword v7, off, s[0:3], s33 offset:188 ; 4-byte Folded Reload
	s_trap 2
	s_waitcnt vmcnt(1)
	v_add_co_u32_e32 v10, vcc, v14, v6
	s_waitcnt vmcnt(0)
	v_addc_co_u32_e32 v11, vcc, v15, v7, vcc
	ds_read_b64 v[6:7], v0
	v_add_co_u32_e32 v12, vcc, v14, v46
	v_addc_co_u32_e32 v13, vcc, v15, v47, vcc
	s_waitcnt lgkmcnt(0)
	v_add_co_u32_e32 v14, vcc, v6, v14
	ds_read_b32 v6, v0
	v_addc_co_u32_e32 v15, vcc, v7, v15, vcc
	s_waitcnt lgkmcnt(0)
	v_lshlrev_b32_e32 v51, 16, v6
	s_branch .LBB6_1242
.LBB6_1241:                             ;   in Loop: Header=BB6_1242 Depth=3
	s_or_b64 exec, exec, s[90:91]
	v_add_co_u32_e32 v12, vcc, v12, v31
	v_addc_co_u32_e32 v13, vcc, 0, v13, vcc
	v_add_co_u32_e32 v14, vcc, v14, v31
	v_lshrrev_b32_e32 v6, 16, v6
	v_addc_co_u32_e32 v15, vcc, 0, v15, vcc
	v_lshrrev_b32_e32 v20, 16, v35
	v_lshrrev_b32_e32 v21, 16, v34
	;; [unrolled: 1-line block ×7, first 2 shown]
	flat_store_short v[8:9], v6 glc slc
	flat_store_short v[8:9], v7 offset:128 glc slc
	flat_store_short v[8:9], v17 offset:256 glc slc
	;; [unrolled: 1-line block ×7, first 2 shown]
	flat_store_short v[10:11], v6 glc slc
	flat_store_short v[10:11], v7 offset:128 glc slc
	flat_store_short v[10:11], v17 offset:256 glc slc
	;; [unrolled: 1-line block ×7, first 2 shown]
	v_add_co_u32_e32 v8, vcc, v8, v31
	v_addc_co_u32_e32 v9, vcc, 0, v9, vcc
	v_sub_u32_e32 v4, v4, v16
	v_cmp_gt_i32_e32 vcc, 1, v4
	s_or_b64 s[40:41], vcc, s[40:41]
	v_add_co_u32_e32 v10, vcc, v10, v31
	v_addc_co_u32_e32 v11, vcc, 0, v11, vcc
	s_andn2_b64 exec, exec, s[40:41]
	s_cbranch_execz .LBB6_1306
.LBB6_1242:                             ;   Parent Loop BB6_47 Depth=1
                                        ;     Parent Loop BB6_952 Depth=2
                                        ; =>    This Inner Loop Header: Depth=3
	flat_load_ushort v6, v[12:13] glc slc
	s_waitcnt vmcnt(0) lgkmcnt(0)
	v_lshlrev_b32_e32 v6, 16, v6
	v_mul_f32_e32 v7, v51, v6
	v_and_b32_e32 v6, 0x7f800000, v7
	v_cmp_ne_u32_e32 vcc, s55, v6
                                        ; implicit-def: $vgpr6
	s_and_saveexec_b64 s[90:91], vcc
	s_xor_b64 s[90:91], exec, s[90:91]
; %bb.1243:                             ;   in Loop: Header=BB6_1242 Depth=3
	v_bfe_u32 v6, v7, 16, 1
	v_add3_u32 v6, v7, v6, s64
                                        ; implicit-def: $vgpr7
; %bb.1244:                             ;   in Loop: Header=BB6_1242 Depth=3
	s_andn2_saveexec_b64 s[90:91], s[90:91]
; %bb.1245:                             ;   in Loop: Header=BB6_1242 Depth=3
	v_or_b32_e32 v6, 0x10000, v7
	v_cmp_eq_u32_sdwa vcc, v7, v2 src0_sel:WORD_0 src1_sel:DWORD
	v_cndmask_b32_e32 v6, v6, v7, vcc
; %bb.1246:                             ;   in Loop: Header=BB6_1242 Depth=3
	s_or_b64 exec, exec, s[90:91]
	flat_load_ushort v7, v[12:13] offset:128 glc slc
	s_waitcnt vmcnt(0) lgkmcnt(0)
	v_lshlrev_b32_e32 v7, 16, v7
	v_mul_f32_e32 v17, v51, v7
	v_and_b32_e32 v7, 0x7f800000, v17
	v_cmp_ne_u32_e32 vcc, s55, v7
                                        ; implicit-def: $vgpr7
	s_and_saveexec_b64 s[90:91], vcc
	s_xor_b64 s[90:91], exec, s[90:91]
; %bb.1247:                             ;   in Loop: Header=BB6_1242 Depth=3
	v_bfe_u32 v7, v17, 16, 1
	v_add3_u32 v7, v17, v7, s64
                                        ; implicit-def: $vgpr17
; %bb.1248:                             ;   in Loop: Header=BB6_1242 Depth=3
	s_andn2_saveexec_b64 s[90:91], s[90:91]
; %bb.1249:                             ;   in Loop: Header=BB6_1242 Depth=3
	v_or_b32_e32 v7, 0x10000, v17
	v_cmp_eq_u32_sdwa vcc, v17, v2 src0_sel:WORD_0 src1_sel:DWORD
	v_cndmask_b32_e32 v7, v7, v17, vcc
; %bb.1250:                             ;   in Loop: Header=BB6_1242 Depth=3
	s_or_b64 exec, exec, s[90:91]
	flat_load_ushort v17, v[12:13] offset:256 glc slc
	s_waitcnt vmcnt(0) lgkmcnt(0)
	v_lshlrev_b32_e32 v17, 16, v17
	v_mul_f32_e32 v26, v51, v17
	v_and_b32_e32 v17, 0x7f800000, v26
	v_cmp_ne_u32_e32 vcc, s55, v17
                                        ; implicit-def: $vgpr17
	s_and_saveexec_b64 s[90:91], vcc
	s_xor_b64 s[90:91], exec, s[90:91]
; %bb.1251:                             ;   in Loop: Header=BB6_1242 Depth=3
	v_bfe_u32 v17, v26, 16, 1
	v_add3_u32 v17, v26, v17, s64
                                        ; implicit-def: $vgpr26
; %bb.1252:                             ;   in Loop: Header=BB6_1242 Depth=3
	s_andn2_saveexec_b64 s[90:91], s[90:91]
; %bb.1253:                             ;   in Loop: Header=BB6_1242 Depth=3
	v_or_b32_e32 v17, 0x10000, v26
	v_cmp_eq_u32_sdwa vcc, v26, v2 src0_sel:WORD_0 src1_sel:DWORD
	v_cndmask_b32_e32 v17, v17, v26, vcc
; %bb.1254:                             ;   in Loop: Header=BB6_1242 Depth=3
	s_or_b64 exec, exec, s[90:91]
	flat_load_ushort v20, v[12:13] offset:384 glc slc
                                        ; implicit-def: $vgpr26
	s_waitcnt vmcnt(0) lgkmcnt(0)
	v_lshlrev_b32_e32 v20, 16, v20
	v_mul_f32_e32 v27, v51, v20
	v_and_b32_e32 v20, 0x7f800000, v27
	v_cmp_ne_u32_e32 vcc, s55, v20
	s_and_saveexec_b64 s[90:91], vcc
	s_xor_b64 s[90:91], exec, s[90:91]
; %bb.1255:                             ;   in Loop: Header=BB6_1242 Depth=3
	v_bfe_u32 v20, v27, 16, 1
	v_add3_u32 v26, v27, v20, s64
                                        ; implicit-def: $vgpr27
; %bb.1256:                             ;   in Loop: Header=BB6_1242 Depth=3
	s_andn2_saveexec_b64 s[90:91], s[90:91]
; %bb.1257:                             ;   in Loop: Header=BB6_1242 Depth=3
	v_or_b32_e32 v20, 0x10000, v27
	v_cmp_eq_u32_sdwa vcc, v27, v2 src0_sel:WORD_0 src1_sel:DWORD
	v_cndmask_b32_e32 v26, v20, v27, vcc
; %bb.1258:                             ;   in Loop: Header=BB6_1242 Depth=3
	s_or_b64 exec, exec, s[90:91]
	flat_load_ushort v20, v[12:13] offset:512 glc slc
                                        ; implicit-def: $vgpr27
	s_waitcnt vmcnt(0) lgkmcnt(0)
	v_lshlrev_b32_e32 v20, 16, v20
	v_mul_f32_e32 v34, v51, v20
	v_and_b32_e32 v20, 0x7f800000, v34
	v_cmp_ne_u32_e32 vcc, s55, v20
	s_and_saveexec_b64 s[90:91], vcc
	s_xor_b64 s[90:91], exec, s[90:91]
; %bb.1259:                             ;   in Loop: Header=BB6_1242 Depth=3
	v_bfe_u32 v20, v34, 16, 1
	v_add3_u32 v27, v34, v20, s64
                                        ; implicit-def: $vgpr34
; %bb.1260:                             ;   in Loop: Header=BB6_1242 Depth=3
	s_andn2_saveexec_b64 s[90:91], s[90:91]
; %bb.1261:                             ;   in Loop: Header=BB6_1242 Depth=3
	v_or_b32_e32 v20, 0x10000, v34
	v_cmp_eq_u32_sdwa vcc, v34, v2 src0_sel:WORD_0 src1_sel:DWORD
	v_cndmask_b32_e32 v27, v20, v34, vcc
; %bb.1262:                             ;   in Loop: Header=BB6_1242 Depth=3
	s_or_b64 exec, exec, s[90:91]
	flat_load_ushort v20, v[12:13] offset:640 glc slc
                                        ; implicit-def: $vgpr34
	s_waitcnt vmcnt(0) lgkmcnt(0)
	v_lshlrev_b32_e32 v20, 16, v20
	v_mul_f32_e32 v35, v51, v20
	v_and_b32_e32 v20, 0x7f800000, v35
	v_cmp_ne_u32_e32 vcc, s55, v20
	s_and_saveexec_b64 s[90:91], vcc
	s_xor_b64 s[90:91], exec, s[90:91]
; %bb.1263:                             ;   in Loop: Header=BB6_1242 Depth=3
	v_bfe_u32 v20, v35, 16, 1
	v_add3_u32 v34, v35, v20, s64
                                        ; implicit-def: $vgpr35
; %bb.1264:                             ;   in Loop: Header=BB6_1242 Depth=3
	s_andn2_saveexec_b64 s[90:91], s[90:91]
; %bb.1265:                             ;   in Loop: Header=BB6_1242 Depth=3
	v_or_b32_e32 v20, 0x10000, v35
	v_cmp_eq_u32_sdwa vcc, v35, v2 src0_sel:WORD_0 src1_sel:DWORD
	v_cndmask_b32_e32 v34, v20, v35, vcc
; %bb.1266:                             ;   in Loop: Header=BB6_1242 Depth=3
	s_or_b64 exec, exec, s[90:91]
	flat_load_ushort v20, v[12:13] offset:768 glc slc
                                        ; implicit-def: $vgpr35
	s_waitcnt vmcnt(0) lgkmcnt(0)
	v_lshlrev_b32_e32 v20, 16, v20
	v_mul_f32_e32 v37, v51, v20
	v_and_b32_e32 v20, 0x7f800000, v37
	v_cmp_ne_u32_e32 vcc, s55, v20
	s_and_saveexec_b64 s[90:91], vcc
	s_xor_b64 s[90:91], exec, s[90:91]
; %bb.1267:                             ;   in Loop: Header=BB6_1242 Depth=3
	v_bfe_u32 v20, v37, 16, 1
	v_add3_u32 v35, v37, v20, s64
                                        ; implicit-def: $vgpr37
; %bb.1268:                             ;   in Loop: Header=BB6_1242 Depth=3
	s_andn2_saveexec_b64 s[90:91], s[90:91]
; %bb.1269:                             ;   in Loop: Header=BB6_1242 Depth=3
	v_or_b32_e32 v20, 0x10000, v37
	v_cmp_eq_u32_sdwa vcc, v37, v2 src0_sel:WORD_0 src1_sel:DWORD
	v_cndmask_b32_e32 v35, v20, v37, vcc
; %bb.1270:                             ;   in Loop: Header=BB6_1242 Depth=3
	s_or_b64 exec, exec, s[90:91]
	flat_load_ushort v20, v[12:13] offset:896 glc slc
                                        ; implicit-def: $vgpr37
	s_waitcnt vmcnt(0) lgkmcnt(0)
	v_lshlrev_b32_e32 v20, 16, v20
	v_mul_f32_e32 v38, v51, v20
	v_and_b32_e32 v20, 0x7f800000, v38
	v_cmp_ne_u32_e32 vcc, s55, v20
	s_and_saveexec_b64 s[90:91], vcc
	s_xor_b64 s[90:91], exec, s[90:91]
; %bb.1271:                             ;   in Loop: Header=BB6_1242 Depth=3
	v_bfe_u32 v20, v38, 16, 1
	v_add3_u32 v37, v38, v20, s64
                                        ; implicit-def: $vgpr38
; %bb.1272:                             ;   in Loop: Header=BB6_1242 Depth=3
	s_andn2_saveexec_b64 s[90:91], s[90:91]
; %bb.1273:                             ;   in Loop: Header=BB6_1242 Depth=3
	v_or_b32_e32 v20, 0x10000, v38
	v_cmp_eq_u32_sdwa vcc, v38, v2 src0_sel:WORD_0 src1_sel:DWORD
	v_cndmask_b32_e32 v37, v20, v38, vcc
; %bb.1274:                             ;   in Loop: Header=BB6_1242 Depth=3
	s_or_b64 exec, exec, s[90:91]
	flat_load_ushort v41, v[14:15] offset:256 glc slc
	flat_load_ushort v55, v[14:15] offset:384 glc slc
	;; [unrolled: 1-line block ×3, first 2 shown]
	flat_load_ushort v20, v[14:15] glc slc
	flat_load_ushort v52, v[14:15] offset:640 glc slc
	flat_load_ushort v39, v[14:15] offset:768 glc slc
	;; [unrolled: 1-line block ×4, first 2 shown]
	v_and_b32_e32 v6, 0xffff0000, v6
	s_waitcnt vmcnt(0) lgkmcnt(0)
	v_lshlrev_b32_e32 v20, 16, v20
	v_add_f32_e32 v45, v6, v20
	v_and_b32_e32 v6, 0x7f800000, v45
	v_cmp_ne_u32_e32 vcc, s55, v6
                                        ; implicit-def: $vgpr6
	s_and_saveexec_b64 s[90:91], vcc
	s_xor_b64 s[90:91], exec, s[90:91]
; %bb.1275:                             ;   in Loop: Header=BB6_1242 Depth=3
	v_bfe_u32 v6, v45, 16, 1
	v_add3_u32 v6, v45, v6, s64
                                        ; implicit-def: $vgpr45
; %bb.1276:                             ;   in Loop: Header=BB6_1242 Depth=3
	s_andn2_saveexec_b64 s[90:91], s[90:91]
; %bb.1277:                             ;   in Loop: Header=BB6_1242 Depth=3
	v_or_b32_e32 v6, 0x10000, v45
	v_cmp_eq_u32_sdwa vcc, v45, v2 src0_sel:WORD_0 src1_sel:DWORD
	v_cndmask_b32_e32 v6, v6, v45, vcc
; %bb.1278:                             ;   in Loop: Header=BB6_1242 Depth=3
	s_or_b64 exec, exec, s[90:91]
	v_and_b32_e32 v7, 0xffff0000, v7
	v_lshlrev_b32_e32 v20, 16, v44
	v_add_f32_e32 v44, v7, v20
	v_and_b32_e32 v7, 0x7f800000, v44
	v_cmp_ne_u32_e32 vcc, s55, v7
                                        ; implicit-def: $vgpr7
	s_and_saveexec_b64 s[90:91], vcc
	s_xor_b64 s[90:91], exec, s[90:91]
; %bb.1279:                             ;   in Loop: Header=BB6_1242 Depth=3
	v_bfe_u32 v7, v44, 16, 1
	v_add3_u32 v7, v44, v7, s64
                                        ; implicit-def: $vgpr44
; %bb.1280:                             ;   in Loop: Header=BB6_1242 Depth=3
	s_andn2_saveexec_b64 s[90:91], s[90:91]
; %bb.1281:                             ;   in Loop: Header=BB6_1242 Depth=3
	v_or_b32_e32 v7, 0x10000, v44
	v_cmp_eq_u32_sdwa vcc, v44, v2 src0_sel:WORD_0 src1_sel:DWORD
	v_cndmask_b32_e32 v7, v7, v44, vcc
; %bb.1282:                             ;   in Loop: Header=BB6_1242 Depth=3
	s_or_b64 exec, exec, s[90:91]
	v_and_b32_e32 v17, 0xffff0000, v17
	v_lshlrev_b32_e32 v20, 16, v41
	v_add_f32_e32 v41, v17, v20
	v_and_b32_e32 v17, 0x7f800000, v41
	v_cmp_ne_u32_e32 vcc, s55, v17
                                        ; implicit-def: $vgpr17
	s_and_saveexec_b64 s[90:91], vcc
	s_xor_b64 s[90:91], exec, s[90:91]
; %bb.1283:                             ;   in Loop: Header=BB6_1242 Depth=3
	v_bfe_u32 v17, v41, 16, 1
	v_add3_u32 v17, v41, v17, s64
                                        ; implicit-def: $vgpr41
; %bb.1284:                             ;   in Loop: Header=BB6_1242 Depth=3
	s_andn2_saveexec_b64 s[90:91], s[90:91]
; %bb.1285:                             ;   in Loop: Header=BB6_1242 Depth=3
	v_or_b32_e32 v17, 0x10000, v41
	v_cmp_eq_u32_sdwa vcc, v41, v2 src0_sel:WORD_0 src1_sel:DWORD
	v_cndmask_b32_e32 v17, v17, v41, vcc
; %bb.1286:                             ;   in Loop: Header=BB6_1242 Depth=3
	s_or_b64 exec, exec, s[90:91]
	v_and_b32_e32 v20, 0xffff0000, v26
	v_lshlrev_b32_e32 v21, 16, v55
	v_add_f32_e32 v55, v20, v21
	v_and_b32_e32 v20, 0x7f800000, v55
	v_cmp_ne_u32_e32 vcc, s55, v20
                                        ; implicit-def: $vgpr26
	s_and_saveexec_b64 s[90:91], vcc
	s_xor_b64 s[90:91], exec, s[90:91]
; %bb.1287:                             ;   in Loop: Header=BB6_1242 Depth=3
	v_bfe_u32 v20, v55, 16, 1
	v_add3_u32 v26, v55, v20, s64
                                        ; implicit-def: $vgpr55
; %bb.1288:                             ;   in Loop: Header=BB6_1242 Depth=3
	s_andn2_saveexec_b64 s[90:91], s[90:91]
; %bb.1289:                             ;   in Loop: Header=BB6_1242 Depth=3
	v_or_b32_e32 v20, 0x10000, v55
	v_cmp_eq_u32_sdwa vcc, v55, v2 src0_sel:WORD_0 src1_sel:DWORD
	v_cndmask_b32_e32 v26, v20, v55, vcc
; %bb.1290:                             ;   in Loop: Header=BB6_1242 Depth=3
	s_or_b64 exec, exec, s[90:91]
	v_and_b32_e32 v20, 0xffff0000, v27
	v_lshlrev_b32_e32 v21, 16, v53
	v_add_f32_e32 v53, v20, v21
	v_and_b32_e32 v20, 0x7f800000, v53
	v_cmp_ne_u32_e32 vcc, s55, v20
                                        ; implicit-def: $vgpr27
	s_and_saveexec_b64 s[90:91], vcc
	s_xor_b64 s[90:91], exec, s[90:91]
; %bb.1291:                             ;   in Loop: Header=BB6_1242 Depth=3
	v_bfe_u32 v20, v53, 16, 1
	v_add3_u32 v27, v53, v20, s64
                                        ; implicit-def: $vgpr53
; %bb.1292:                             ;   in Loop: Header=BB6_1242 Depth=3
	s_andn2_saveexec_b64 s[90:91], s[90:91]
; %bb.1293:                             ;   in Loop: Header=BB6_1242 Depth=3
	v_or_b32_e32 v20, 0x10000, v53
	v_cmp_eq_u32_sdwa vcc, v53, v2 src0_sel:WORD_0 src1_sel:DWORD
	v_cndmask_b32_e32 v27, v20, v53, vcc
; %bb.1294:                             ;   in Loop: Header=BB6_1242 Depth=3
	s_or_b64 exec, exec, s[90:91]
	v_and_b32_e32 v20, 0xffff0000, v34
	v_lshlrev_b32_e32 v21, 16, v52
	v_add_f32_e32 v52, v20, v21
	v_and_b32_e32 v20, 0x7f800000, v52
	v_cmp_ne_u32_e32 vcc, s55, v20
                                        ; implicit-def: $vgpr34
	s_and_saveexec_b64 s[90:91], vcc
	s_xor_b64 s[90:91], exec, s[90:91]
; %bb.1295:                             ;   in Loop: Header=BB6_1242 Depth=3
	v_bfe_u32 v20, v52, 16, 1
	v_add3_u32 v34, v52, v20, s64
                                        ; implicit-def: $vgpr52
; %bb.1296:                             ;   in Loop: Header=BB6_1242 Depth=3
	s_andn2_saveexec_b64 s[90:91], s[90:91]
; %bb.1297:                             ;   in Loop: Header=BB6_1242 Depth=3
	v_or_b32_e32 v20, 0x10000, v52
	v_cmp_eq_u32_sdwa vcc, v52, v2 src0_sel:WORD_0 src1_sel:DWORD
	v_cndmask_b32_e32 v34, v20, v52, vcc
; %bb.1298:                             ;   in Loop: Header=BB6_1242 Depth=3
	s_or_b64 exec, exec, s[90:91]
	v_and_b32_e32 v20, 0xffff0000, v35
	v_lshlrev_b32_e32 v21, 16, v39
	v_add_f32_e32 v39, v20, v21
	v_and_b32_e32 v20, 0x7f800000, v39
	v_cmp_ne_u32_e32 vcc, s55, v20
                                        ; implicit-def: $vgpr35
	s_and_saveexec_b64 s[90:91], vcc
	s_xor_b64 s[90:91], exec, s[90:91]
; %bb.1299:                             ;   in Loop: Header=BB6_1242 Depth=3
	v_bfe_u32 v20, v39, 16, 1
	v_add3_u32 v35, v39, v20, s64
                                        ; implicit-def: $vgpr39
; %bb.1300:                             ;   in Loop: Header=BB6_1242 Depth=3
	s_andn2_saveexec_b64 s[90:91], s[90:91]
; %bb.1301:                             ;   in Loop: Header=BB6_1242 Depth=3
	v_or_b32_e32 v20, 0x10000, v39
	v_cmp_eq_u32_sdwa vcc, v39, v2 src0_sel:WORD_0 src1_sel:DWORD
	v_cndmask_b32_e32 v35, v20, v39, vcc
; %bb.1302:                             ;   in Loop: Header=BB6_1242 Depth=3
	s_or_b64 exec, exec, s[90:91]
	v_and_b32_e32 v20, 0xffff0000, v37
	v_lshlrev_b32_e32 v21, 16, v38
	v_add_f32_e32 v38, v20, v21
	v_and_b32_e32 v20, 0x7f800000, v38
	v_cmp_ne_u32_e32 vcc, s55, v20
                                        ; implicit-def: $vgpr37
	s_and_saveexec_b64 s[90:91], vcc
	s_xor_b64 s[90:91], exec, s[90:91]
; %bb.1303:                             ;   in Loop: Header=BB6_1242 Depth=3
	v_bfe_u32 v20, v38, 16, 1
	v_add3_u32 v37, v38, v20, s64
                                        ; implicit-def: $vgpr38
; %bb.1304:                             ;   in Loop: Header=BB6_1242 Depth=3
	s_andn2_saveexec_b64 s[90:91], s[90:91]
	s_cbranch_execz .LBB6_1241
; %bb.1305:                             ;   in Loop: Header=BB6_1242 Depth=3
	v_or_b32_e32 v20, 0x10000, v38
	v_cmp_eq_u32_sdwa vcc, v38, v2 src0_sel:WORD_0 src1_sel:DWORD
	v_cndmask_b32_e32 v37, v20, v38, vcc
	s_branch .LBB6_1241
.LBB6_1306:                             ;   in Loop: Header=BB6_952 Depth=2
	s_or_b64 exec, exec, s[40:41]
.LBB6_1307:                             ;   in Loop: Header=BB6_952 Depth=2
	s_or_b64 exec, exec, s[28:29]
	v_lshlrev_b32_e32 v5, 10, v5
	v_cmp_ne_u32_e32 vcc, v19, v5
	s_and_b64 exec, exec, vcc
	s_cbranch_execz .LBB6_1321
; %bb.1308:                             ;   in Loop: Header=BB6_952 Depth=2
	v_lshlrev_b32_e32 v0, 6, v0
	v_sub_u32_e32 v0, v50, v0
	v_lshlrev_b32_e32 v4, 6, v4
	v_sub_u32_e32 v0, v0, v4
	v_ashrrev_i32_e32 v4, 31, v0
	v_lshrrev_b32_e32 v4, 26, v4
	v_add_u32_e32 v4, v0, v4
	v_and_b32_e32 v6, 0x7fffffc0, v4
	v_sub_u32_e32 v0, v0, v6
	v_lshlrev_b32_e32 v4, 1, v4
	v_and_b32_e32 v4, 0xffffff80, v4
	v_lshlrev_b32_e32 v0, 1, v0
	v_add3_u32 v4, v4, v0, v5
	v_sub_u32_e32 v0, v19, v4
	v_cmp_lt_i32_e32 vcc, 1, v0
	s_and_b64 exec, exec, vcc
	s_cbranch_execz .LBB6_1321
; %bb.1309:                             ;   in Loop: Header=BB6_952 Depth=2
	v_add_u32_e32 v12, v4, v18
	buffer_load_dword v4, off, s[0:3], s33 offset:176 ; 4-byte Folded Reload
	buffer_load_dword v5, off, s[0:3], s33 offset:180 ; 4-byte Folded Reload
	;; [unrolled: 1-line block ×4, first 2 shown]
	v_ashrrev_i32_e32 v13, 31, v12
	s_trap 2
	ds_read_b64 v[10:11], v0
	s_mov_b64 s[90:91], 0
	s_waitcnt vmcnt(0)
	v_add_co_u32_e32 v4, vcc, v12, v4
	v_addc_co_u32_e32 v5, vcc, v13, v5, vcc
	v_add_co_u32_e32 v6, vcc, v12, v6
	v_addc_co_u32_e32 v7, vcc, v13, v7, vcc
	;; [unrolled: 2-line block ×3, first 2 shown]
	s_waitcnt lgkmcnt(0)
	v_add_co_u32_e32 v10, vcc, v10, v12
	ds_read_b32 v12, v0
	v_addc_co_u32_e32 v11, vcc, v11, v13, vcc
	s_waitcnt lgkmcnt(0)
	v_lshlrev_b32_e32 v12, 16, v12
.LBB6_1310:                             ;   Parent Loop BB6_47 Depth=1
                                        ;     Parent Loop BB6_952 Depth=2
                                        ; =>    This Loop Header: Depth=3
                                        ;         Child Loop BB6_1319 Depth 4
	flat_load_ushort v13, v[8:9] glc slc
	s_waitcnt vmcnt(0) lgkmcnt(0)
	v_lshlrev_b32_e32 v13, 16, v13
	v_mul_f32_e32 v13, v12, v13
	v_and_b32_e32 v14, 0x7f800000, v13
	v_cmp_ne_u32_e32 vcc, s55, v14
                                        ; implicit-def: $vgpr14
	s_and_saveexec_b64 s[28:29], vcc
	s_xor_b64 s[28:29], exec, s[28:29]
; %bb.1311:                             ;   in Loop: Header=BB6_1310 Depth=3
	v_bfe_u32 v14, v13, 16, 1
	v_add3_u32 v14, v13, v14, s64
                                        ; implicit-def: $vgpr13
; %bb.1312:                             ;   in Loop: Header=BB6_1310 Depth=3
	s_andn2_saveexec_b64 s[28:29], s[28:29]
; %bb.1313:                             ;   in Loop: Header=BB6_1310 Depth=3
	v_or_b32_e32 v14, 0x10000, v13
	v_cmp_eq_u32_sdwa vcc, v13, v2 src0_sel:WORD_0 src1_sel:DWORD
	v_cndmask_b32_e32 v14, v14, v13, vcc
; %bb.1314:                             ;   in Loop: Header=BB6_1310 Depth=3
	s_or_b64 exec, exec, s[28:29]
	flat_load_ushort v13, v[10:11] glc slc
	v_and_b32_e32 v14, 0xffff0000, v14
	s_waitcnt vmcnt(0) lgkmcnt(0)
	v_lshlrev_b32_e32 v13, 16, v13
	v_add_f32_e32 v13, v14, v13
	v_and_b32_e32 v14, 0x7f800000, v13
	v_cmp_ne_u32_e32 vcc, s55, v14
                                        ; implicit-def: $vgpr14
	s_and_saveexec_b64 s[28:29], vcc
	s_xor_b64 s[28:29], exec, s[28:29]
; %bb.1315:                             ;   in Loop: Header=BB6_1310 Depth=3
	v_bfe_u32 v14, v13, 16, 1
	v_add3_u32 v14, v13, v14, s64
                                        ; implicit-def: $vgpr13
; %bb.1316:                             ;   in Loop: Header=BB6_1310 Depth=3
	s_andn2_saveexec_b64 s[28:29], s[28:29]
; %bb.1317:                             ;   in Loop: Header=BB6_1310 Depth=3
	v_or_b32_e32 v14, 0x10000, v13
	v_cmp_eq_u32_sdwa vcc, v13, v2 src0_sel:WORD_0 src1_sel:DWORD
	v_cndmask_b32_e32 v14, v14, v13, vcc
; %bb.1318:                             ;   in Loop: Header=BB6_1310 Depth=3
	s_or_b64 exec, exec, s[28:29]
	v_lshrrev_b32_e32 v13, 16, v14
	s_mov_b64 s[94:95], 0
	s_mov_b64 s[92:93], -1
.LBB6_1319:                             ;   Parent Loop BB6_47 Depth=1
                                        ;     Parent Loop BB6_952 Depth=2
                                        ;       Parent Loop BB6_1310 Depth=3
                                        ; =>      This Inner Loop Header: Depth=4
	s_cmp_eq_u32 s94, 1
	s_cselect_b64 s[28:29], -1, 0
	v_cndmask_b32_e64 v15, v5, v7, s[28:29]
	v_cndmask_b32_e64 v14, v4, v6, s[28:29]
	flat_store_short v[14:15], v13 glc slc
	v_add_co_u32_e32 v14, vcc, 0x80, v14
	s_cmp_eq_u32 s94, 0
	v_addc_co_u32_e32 v15, vcc, 0, v15, vcc
	s_cselect_b64 vcc, -1, 0
	s_and_b64 s[40:41], exec, s[92:93]
	s_mov_b64 s[94:95], 1
	v_cndmask_b32_e64 v6, v6, v14, s[28:29]
	s_mov_b64 s[92:93], 0
	v_cndmask_b32_e64 v7, v7, v15, s[28:29]
	v_cndmask_b32_e32 v5, v5, v15, vcc
	v_cndmask_b32_e32 v4, v4, v14, vcc
	s_mov_b64 vcc, s[40:41]
	s_cbranch_vccnz .LBB6_1319
; %bb.1320:                             ;   in Loop: Header=BB6_1310 Depth=3
	buffer_load_dword v13, off, s[0:3], s33 offset:84 ; 4-byte Folded Reload
	buffer_load_dword v14, off, s[0:3], s33 offset:88 ; 4-byte Folded Reload
	v_sub_u32_e32 v0, v0, v1
	s_waitcnt vmcnt(0)
	v_add_co_u32_e32 v8, vcc, v8, v13
	v_addc_co_u32_e32 v9, vcc, v9, v14, vcc
	v_add_co_u32_e32 v10, vcc, v10, v13
	v_addc_co_u32_e32 v11, vcc, v11, v14, vcc
	buffer_load_dword v14, off, s[0:3], s33 offset:80 ; 4-byte Folded Reload
	v_add_u32_e32 v13, 0xffffff80, v1
	v_add_co_u32_e32 v4, vcc, v4, v13
	s_waitcnt vmcnt(0)
	v_addc_co_u32_e32 v5, vcc, v5, v14, vcc
	v_cmp_gt_i32_e32 vcc, 2, v0
	s_or_b64 s[90:91], vcc, s[90:91]
	v_add_co_u32_e32 v6, vcc, v6, v13
	v_addc_co_u32_e32 v7, vcc, v7, v14, vcc
	s_andn2_b64 exec, exec, s[90:91]
	s_cbranch_execnz .LBB6_1310
.LBB6_1321:                             ;   in Loop: Header=BB6_952 Depth=2
	s_or_b64 exec, exec, s[42:43]
	s_branch .LBB6_1033
.LBB6_1322:                             ;   in Loop: Header=BB6_952 Depth=2
	s_mov_b64 s[28:29], -1
	s_and_saveexec_b64 s[40:41], s[22:23]
	s_cbranch_execz .LBB6_1324
; %bb.1323:                             ;   in Loop: Header=BB6_952 Depth=2
	ds_read_b32 v0, v0 offset:720
	s_waitcnt lgkmcnt(0)
	v_and_b32_e32 v0, 15, v0
	v_cmp_eq_u32_e32 vcc, 0, v0
	s_orn2_b64 s[28:29], vcc, exec
.LBB6_1324:                             ;   in Loop: Header=BB6_952 Depth=2
	s_or_b64 exec, exec, s[40:41]
	s_and_saveexec_b64 s[40:41], s[18:19]
	s_cbranch_execz .LBB6_1326
; %bb.1325:                             ;   in Loop: Header=BB6_952 Depth=2
	ds_read_b32 v0, v0 offset:784
	s_waitcnt lgkmcnt(0)
	v_and_b32_e32 v0, 15, v0
	v_cmp_eq_u32_e32 vcc, 0, v0
	s_and_b64 s[42:43], s[28:29], vcc
	s_andn2_b64 s[28:29], s[28:29], exec
	s_and_b64 s[42:43], s[42:43], exec
	s_or_b64 s[28:29], s[28:29], s[42:43]
.LBB6_1326:                             ;   in Loop: Header=BB6_952 Depth=2
	s_or_b64 exec, exec, s[40:41]
	s_xor_b64 s[28:29], s[28:29], -1
	v_cndmask_b32_e64 v0, 0, 1, s[28:29]
	s_mov_b64 s[42:43], -1
	v_mov_b32_e32 v14, 0
	v_cmp_ne_u32_e32 vcc, 0, v0
	s_cbranch_vccz .LBB6_1328
; %bb.1327:                             ;   in Loop: Header=BB6_952 Depth=2
	s_waitcnt vmcnt(0)
	v_mov_b32_e32 v4, v56
	s_and_saveexec_b64 s[28:29], s[42:43]
	s_cbranch_execnz .LBB6_1531
	s_branch .LBB6_1611
.LBB6_1328:                             ;   in Loop: Header=BB6_952 Depth=2
	v_ashrrev_i32_e32 v0, 31, v57
	v_lshrrev_b32_e32 v0, 21, v0
	v_add_u32_e32 v0, v57, v0
	s_waitcnt vmcnt(0)
	v_ashrrev_i32_e32 v59, 11, v0
	buffer_load_dword v0, off, s[0:3], s33 offset:132 ; 4-byte Folded Reload
	s_waitcnt vmcnt(0)
	v_sub_u32_e32 v41, v59, v0
	v_cmp_lt_i32_e32 vcc, 0, v41
	s_and_saveexec_b64 s[28:29], vcc
	s_cbranch_execz .LBB6_1460
; %bb.1329:                             ;   in Loop: Header=BB6_952 Depth=2
	s_trap 2
	buffer_load_dword v6, off, s[0:3], s33 offset:168 ; 4-byte Folded Reload
	ds_read_b64 v[4:5], v0
	ds_read_b32 v0, v0
	v_mov_b32_e32 v24, v57
	s_mov_b64 s[40:41], 0
	s_waitcnt lgkmcnt(0)
	v_lshlrev_b32_e32 v44, 16, v0
	s_waitcnt vmcnt(0)
	v_add_co_u32_e32 v55, vcc, v46, v6
	v_addc_co_u32_e32 v56, vcc, 0, v47, vcc
	v_add_co_u32_e32 v18, vcc, v4, v6
	v_addc_co_u32_e32 v19, vcc, 0, v5, vcc
	buffer_load_dword v4, off, s[0:3], s33 offset:176 ; 4-byte Folded Reload
	buffer_load_dword v5, off, s[0:3], s33 offset:180 ; 4-byte Folded Reload
	s_waitcnt vmcnt(1)
	v_add_co_u32_e32 v57, vcc, v4, v6
	s_waitcnt vmcnt(0)
	v_addc_co_u32_e32 v58, vcc, 0, v5, vcc
	s_branch .LBB6_1331
.LBB6_1330:                             ;   in Loop: Header=BB6_1331 Depth=3
	s_or_b64 exec, exec, s[42:43]
	v_lshrrev_b32_e32 v7, 16, v7
	v_and_or_b32 v11, v12, s65, v7
	v_lshrrev_b32_e32 v7, 16, v35
	v_and_or_b32 v10, v6, s65, v7
	;; [unrolled: 2-line block ×3, first 2 shown]
	v_lshrrev_b32_e32 v6, 16, v17
	v_add_co_u32_e32 v55, vcc, v55, v36
	v_and_or_b32 v13, v15, s65, v6
	v_lshrrev_b32_e32 v6, 16, v27
	v_addc_co_u32_e32 v56, vcc, 0, v56, vcc
	v_and_or_b32 v7, v9, s65, v6
	v_lshrrev_b32_e32 v6, 16, v26
	v_add_co_u32_e32 v18, vcc, v18, v36
	v_and_or_b32 v6, v8, s65, v6
	v_lshrrev_b32_e32 v8, 16, v34
	v_addc_co_u32_e32 v19, vcc, 0, v19, vcc
	v_sub_u32_e32 v41, v41, v16
	v_and_or_b32 v8, v4, s65, v8
	v_lshrrev_b32_e32 v4, 16, v5
	v_cmp_gt_i32_e32 vcc, 1, v41
	v_and_or_b32 v9, v0, s65, v4
	global_store_dwordx4 v[57:58], v[10:13], off glc slc
	global_store_dwordx4 v[57:58], v[6:9], off offset:1024 glc slc
	s_or_b64 s[40:41], vcc, s[40:41]
	v_add_co_u32_e32 v57, vcc, v57, v36
	v_addc_co_u32_e32 v58, vcc, 0, v58, vcc
	s_andn2_b64 exec, exec, s[40:41]
	s_cbranch_execz .LBB6_1459
.LBB6_1331:                             ;   Parent Loop BB6_47 Depth=1
                                        ;     Parent Loop BB6_952 Depth=2
                                        ; =>    This Inner Loop Header: Depth=3
	global_load_dwordx4 v[8:11], v[55:56], off glc slc
                                        ; implicit-def: $vgpr6
	s_waitcnt vmcnt(0)
	v_lshlrev_b32_e32 v0, 16, v8
	v_mul_f32_e32 v0, v44, v0
	v_and_b32_e32 v4, 0x7f800000, v0
	v_cmp_ne_u32_e32 vcc, s55, v4
	s_and_saveexec_b64 s[42:43], vcc
	s_xor_b64 s[42:43], exec, s[42:43]
; %bb.1332:                             ;   in Loop: Header=BB6_1331 Depth=3
	v_bfe_u32 v4, v0, 16, 1
	v_add3_u32 v6, v0, v4, s64
                                        ; implicit-def: $vgpr0
; %bb.1333:                             ;   in Loop: Header=BB6_1331 Depth=3
	s_andn2_saveexec_b64 s[42:43], s[42:43]
; %bb.1334:                             ;   in Loop: Header=BB6_1331 Depth=3
	v_or_b32_e32 v4, 0x10000, v0
	v_cmp_eq_u32_sdwa vcc, v0, v2 src0_sel:WORD_0 src1_sel:DWORD
	v_cndmask_b32_e32 v6, v4, v0, vcc
; %bb.1335:                             ;   in Loop: Header=BB6_1331 Depth=3
	s_or_b64 exec, exec, s[42:43]
	v_and_b32_e32 v0, 0xffff0000, v8
	v_mul_f32_e32 v0, v44, v0
	v_and_b32_e32 v4, 0x7f800000, v0
	v_cmp_ne_u32_e32 vcc, s55, v4
                                        ; implicit-def: $vgpr17
	s_and_saveexec_b64 s[42:43], vcc
	s_xor_b64 s[42:43], exec, s[42:43]
; %bb.1336:                             ;   in Loop: Header=BB6_1331 Depth=3
	v_bfe_u32 v4, v0, 16, 1
	v_add3_u32 v17, v0, v4, s64
                                        ; implicit-def: $vgpr0
; %bb.1337:                             ;   in Loop: Header=BB6_1331 Depth=3
	s_andn2_saveexec_b64 s[42:43], s[42:43]
; %bb.1338:                             ;   in Loop: Header=BB6_1331 Depth=3
	v_or_b32_e32 v4, 0x10000, v0
	v_cmp_eq_u32_sdwa vcc, v0, v2 src0_sel:WORD_0 src1_sel:DWORD
	v_cndmask_b32_e32 v17, v4, v0, vcc
; %bb.1339:                             ;   in Loop: Header=BB6_1331 Depth=3
	s_or_b64 exec, exec, s[42:43]
	v_lshlrev_b32_e32 v0, 16, v9
	v_mul_f32_e32 v0, v44, v0
	v_and_b32_e32 v4, 0x7f800000, v0
	v_cmp_ne_u32_e32 vcc, s55, v4
                                        ; implicit-def: $vgpr26
	s_and_saveexec_b64 s[42:43], vcc
	s_xor_b64 s[42:43], exec, s[42:43]
; %bb.1340:                             ;   in Loop: Header=BB6_1331 Depth=3
	v_bfe_u32 v4, v0, 16, 1
	v_add3_u32 v26, v0, v4, s64
                                        ; implicit-def: $vgpr0
; %bb.1341:                             ;   in Loop: Header=BB6_1331 Depth=3
	s_andn2_saveexec_b64 s[42:43], s[42:43]
; %bb.1342:                             ;   in Loop: Header=BB6_1331 Depth=3
	v_or_b32_e32 v4, 0x10000, v0
	v_cmp_eq_u32_sdwa vcc, v0, v2 src0_sel:WORD_0 src1_sel:DWORD
	v_cndmask_b32_e32 v26, v4, v0, vcc
; %bb.1343:                             ;   in Loop: Header=BB6_1331 Depth=3
	s_or_b64 exec, exec, s[42:43]
	v_and_b32_e32 v0, 0xffff0000, v9
	v_mul_f32_e32 v0, v44, v0
	v_and_b32_e32 v4, 0x7f800000, v0
	v_cmp_ne_u32_e32 vcc, s55, v4
                                        ; implicit-def: $vgpr37
	s_and_saveexec_b64 s[42:43], vcc
	s_xor_b64 s[42:43], exec, s[42:43]
; %bb.1344:                             ;   in Loop: Header=BB6_1331 Depth=3
	v_bfe_u32 v4, v0, 16, 1
	v_add3_u32 v37, v0, v4, s64
                                        ; implicit-def: $vgpr0
; %bb.1345:                             ;   in Loop: Header=BB6_1331 Depth=3
	s_andn2_saveexec_b64 s[42:43], s[42:43]
; %bb.1346:                             ;   in Loop: Header=BB6_1331 Depth=3
	v_or_b32_e32 v4, 0x10000, v0
	v_cmp_eq_u32_sdwa vcc, v0, v2 src0_sel:WORD_0 src1_sel:DWORD
	v_cndmask_b32_e32 v37, v4, v0, vcc
; %bb.1347:                             ;   in Loop: Header=BB6_1331 Depth=3
	s_or_b64 exec, exec, s[42:43]
	v_lshlrev_b32_e32 v0, 16, v10
	v_mul_f32_e32 v0, v44, v0
	v_and_b32_e32 v4, 0x7f800000, v0
	v_cmp_ne_u32_e32 vcc, s55, v4
                                        ; implicit-def: $vgpr39
	s_and_saveexec_b64 s[42:43], vcc
	s_xor_b64 s[42:43], exec, s[42:43]
; %bb.1348:                             ;   in Loop: Header=BB6_1331 Depth=3
	v_bfe_u32 v4, v0, 16, 1
	v_add3_u32 v39, v0, v4, s64
                                        ; implicit-def: $vgpr0
; %bb.1349:                             ;   in Loop: Header=BB6_1331 Depth=3
	s_andn2_saveexec_b64 s[42:43], s[42:43]
; %bb.1350:                             ;   in Loop: Header=BB6_1331 Depth=3
	v_or_b32_e32 v4, 0x10000, v0
	v_cmp_eq_u32_sdwa vcc, v0, v2 src0_sel:WORD_0 src1_sel:DWORD
	v_cndmask_b32_e32 v39, v4, v0, vcc
; %bb.1351:                             ;   in Loop: Header=BB6_1331 Depth=3
	s_or_b64 exec, exec, s[42:43]
	v_and_b32_e32 v0, 0xffff0000, v10
	v_mul_f32_e32 v0, v44, v0
	v_and_b32_e32 v4, 0x7f800000, v0
	v_cmp_ne_u32_e32 vcc, s55, v4
                                        ; implicit-def: $vgpr38
	s_and_saveexec_b64 s[42:43], vcc
	s_xor_b64 s[42:43], exec, s[42:43]
; %bb.1352:                             ;   in Loop: Header=BB6_1331 Depth=3
	v_bfe_u32 v4, v0, 16, 1
	v_add3_u32 v38, v0, v4, s64
                                        ; implicit-def: $vgpr0
; %bb.1353:                             ;   in Loop: Header=BB6_1331 Depth=3
	s_andn2_saveexec_b64 s[42:43], s[42:43]
; %bb.1354:                             ;   in Loop: Header=BB6_1331 Depth=3
	v_or_b32_e32 v4, 0x10000, v0
	v_cmp_eq_u32_sdwa vcc, v0, v2 src0_sel:WORD_0 src1_sel:DWORD
	v_cndmask_b32_e32 v38, v4, v0, vcc
; %bb.1355:                             ;   in Loop: Header=BB6_1331 Depth=3
	s_or_b64 exec, exec, s[42:43]
	v_lshlrev_b32_e32 v0, 16, v11
	v_mul_f32_e32 v0, v44, v0
	v_and_b32_e32 v4, 0x7f800000, v0
	v_cmp_ne_u32_e32 vcc, s55, v4
                                        ; implicit-def: $vgpr60
	s_and_saveexec_b64 s[42:43], vcc
	s_xor_b64 s[42:43], exec, s[42:43]
; %bb.1356:                             ;   in Loop: Header=BB6_1331 Depth=3
	v_bfe_u32 v4, v0, 16, 1
	v_add3_u32 v60, v0, v4, s64
                                        ; implicit-def: $vgpr0
; %bb.1357:                             ;   in Loop: Header=BB6_1331 Depth=3
	s_andn2_saveexec_b64 s[42:43], s[42:43]
; %bb.1358:                             ;   in Loop: Header=BB6_1331 Depth=3
	v_or_b32_e32 v4, 0x10000, v0
	v_cmp_eq_u32_sdwa vcc, v0, v2 src0_sel:WORD_0 src1_sel:DWORD
	v_cndmask_b32_e32 v60, v4, v0, vcc
; %bb.1359:                             ;   in Loop: Header=BB6_1331 Depth=3
	s_or_b64 exec, exec, s[42:43]
	v_and_b32_e32 v0, 0xffff0000, v11
	v_mul_f32_e32 v0, v44, v0
	v_and_b32_e32 v4, 0x7f800000, v0
	v_cmp_ne_u32_e32 vcc, s55, v4
                                        ; implicit-def: $vgpr45
	s_and_saveexec_b64 s[42:43], vcc
	s_xor_b64 s[42:43], exec, s[42:43]
; %bb.1360:                             ;   in Loop: Header=BB6_1331 Depth=3
	v_bfe_u32 v4, v0, 16, 1
	v_add3_u32 v45, v0, v4, s64
                                        ; implicit-def: $vgpr0
; %bb.1361:                             ;   in Loop: Header=BB6_1331 Depth=3
	s_andn2_saveexec_b64 s[42:43], s[42:43]
; %bb.1362:                             ;   in Loop: Header=BB6_1331 Depth=3
	v_or_b32_e32 v4, 0x10000, v0
	v_cmp_eq_u32_sdwa vcc, v0, v2 src0_sel:WORD_0 src1_sel:DWORD
	v_cndmask_b32_e32 v45, v4, v0, vcc
; %bb.1363:                             ;   in Loop: Header=BB6_1331 Depth=3
	s_or_b64 exec, exec, s[42:43]
	global_load_dwordx4 v[8:11], v[55:56], off offset:1024 glc slc
                                        ; implicit-def: $vgpr34
	s_waitcnt vmcnt(0)
	v_lshlrev_b32_e32 v0, 16, v8
	v_mul_f32_e32 v0, v44, v0
	v_and_b32_e32 v4, 0x7f800000, v0
	v_cmp_ne_u32_e32 vcc, s55, v4
	s_and_saveexec_b64 s[42:43], vcc
	s_xor_b64 s[42:43], exec, s[42:43]
; %bb.1364:                             ;   in Loop: Header=BB6_1331 Depth=3
	v_bfe_u32 v4, v0, 16, 1
	v_add3_u32 v34, v0, v4, s64
                                        ; implicit-def: $vgpr0
; %bb.1365:                             ;   in Loop: Header=BB6_1331 Depth=3
	s_andn2_saveexec_b64 s[42:43], s[42:43]
; %bb.1366:                             ;   in Loop: Header=BB6_1331 Depth=3
	v_or_b32_e32 v4, 0x10000, v0
	v_cmp_eq_u32_sdwa vcc, v0, v2 src0_sel:WORD_0 src1_sel:DWORD
	v_cndmask_b32_e32 v34, v4, v0, vcc
; %bb.1367:                             ;   in Loop: Header=BB6_1331 Depth=3
	s_or_b64 exec, exec, s[42:43]
	v_and_b32_e32 v0, 0xffff0000, v8
	v_mul_f32_e32 v0, v44, v0
	v_and_b32_e32 v4, 0x7f800000, v0
	v_cmp_ne_u32_e32 vcc, s55, v4
                                        ; implicit-def: $vgpr52
	s_and_saveexec_b64 s[42:43], vcc
	s_xor_b64 s[42:43], exec, s[42:43]
; %bb.1368:                             ;   in Loop: Header=BB6_1331 Depth=3
	v_bfe_u32 v4, v0, 16, 1
	v_add3_u32 v52, v0, v4, s64
                                        ; implicit-def: $vgpr0
; %bb.1369:                             ;   in Loop: Header=BB6_1331 Depth=3
	s_andn2_saveexec_b64 s[42:43], s[42:43]
; %bb.1370:                             ;   in Loop: Header=BB6_1331 Depth=3
	v_or_b32_e32 v4, 0x10000, v0
	v_cmp_eq_u32_sdwa vcc, v0, v2 src0_sel:WORD_0 src1_sel:DWORD
	v_cndmask_b32_e32 v52, v4, v0, vcc
; %bb.1371:                             ;   in Loop: Header=BB6_1331 Depth=3
	s_or_b64 exec, exec, s[42:43]
	v_lshlrev_b32_e32 v0, 16, v9
	v_mul_f32_e32 v0, v44, v0
	v_and_b32_e32 v4, 0x7f800000, v0
	v_cmp_ne_u32_e32 vcc, s55, v4
                                        ; implicit-def: $vgpr53
	s_and_saveexec_b64 s[42:43], vcc
	s_xor_b64 s[42:43], exec, s[42:43]
; %bb.1372:                             ;   in Loop: Header=BB6_1331 Depth=3
	v_bfe_u32 v4, v0, 16, 1
	v_add3_u32 v53, v0, v4, s64
                                        ; implicit-def: $vgpr0
; %bb.1373:                             ;   in Loop: Header=BB6_1331 Depth=3
	s_andn2_saveexec_b64 s[42:43], s[42:43]
; %bb.1374:                             ;   in Loop: Header=BB6_1331 Depth=3
	v_or_b32_e32 v4, 0x10000, v0
	v_cmp_eq_u32_sdwa vcc, v0, v2 src0_sel:WORD_0 src1_sel:DWORD
	v_cndmask_b32_e32 v53, v4, v0, vcc
; %bb.1375:                             ;   in Loop: Header=BB6_1331 Depth=3
	s_or_b64 exec, exec, s[42:43]
	v_and_b32_e32 v0, 0xffff0000, v9
	v_mul_f32_e32 v0, v44, v0
	v_and_b32_e32 v4, 0x7f800000, v0
	v_cmp_ne_u32_e32 vcc, s55, v4
                                        ; implicit-def: $vgpr50
	s_and_saveexec_b64 s[42:43], vcc
	s_xor_b64 s[42:43], exec, s[42:43]
; %bb.1376:                             ;   in Loop: Header=BB6_1331 Depth=3
	v_bfe_u32 v4, v0, 16, 1
	v_add3_u32 v50, v0, v4, s64
                                        ; implicit-def: $vgpr0
; %bb.1377:                             ;   in Loop: Header=BB6_1331 Depth=3
	s_andn2_saveexec_b64 s[42:43], s[42:43]
; %bb.1378:                             ;   in Loop: Header=BB6_1331 Depth=3
	v_or_b32_e32 v4, 0x10000, v0
	v_cmp_eq_u32_sdwa vcc, v0, v2 src0_sel:WORD_0 src1_sel:DWORD
	v_cndmask_b32_e32 v50, v4, v0, vcc
; %bb.1379:                             ;   in Loop: Header=BB6_1331 Depth=3
	s_or_b64 exec, exec, s[42:43]
	v_lshlrev_b32_e32 v0, 16, v10
	v_mul_f32_e32 v0, v44, v0
	v_and_b32_e32 v4, 0x7f800000, v0
	v_cmp_ne_u32_e32 vcc, s55, v4
                                        ; implicit-def: $vgpr51
	s_and_saveexec_b64 s[42:43], vcc
	s_xor_b64 s[42:43], exec, s[42:43]
; %bb.1380:                             ;   in Loop: Header=BB6_1331 Depth=3
	v_bfe_u32 v4, v0, 16, 1
	v_add3_u32 v51, v0, v4, s64
                                        ; implicit-def: $vgpr0
; %bb.1381:                             ;   in Loop: Header=BB6_1331 Depth=3
	s_andn2_saveexec_b64 s[42:43], s[42:43]
; %bb.1382:                             ;   in Loop: Header=BB6_1331 Depth=3
	v_or_b32_e32 v4, 0x10000, v0
	v_cmp_eq_u32_sdwa vcc, v0, v2 src0_sel:WORD_0 src1_sel:DWORD
	v_cndmask_b32_e32 v51, v4, v0, vcc
; %bb.1383:                             ;   in Loop: Header=BB6_1331 Depth=3
	s_or_b64 exec, exec, s[42:43]
	v_and_b32_e32 v0, 0xffff0000, v10
	v_mul_f32_e32 v0, v44, v0
	v_and_b32_e32 v4, 0x7f800000, v0
	v_cmp_ne_u32_e32 vcc, s55, v4
                                        ; implicit-def: $vgpr4
	s_and_saveexec_b64 s[42:43], vcc
	s_xor_b64 s[42:43], exec, s[42:43]
; %bb.1384:                             ;   in Loop: Header=BB6_1331 Depth=3
	v_bfe_u32 v4, v0, 16, 1
	v_add3_u32 v4, v0, v4, s64
                                        ; implicit-def: $vgpr0
; %bb.1385:                             ;   in Loop: Header=BB6_1331 Depth=3
	s_andn2_saveexec_b64 s[42:43], s[42:43]
; %bb.1386:                             ;   in Loop: Header=BB6_1331 Depth=3
	v_or_b32_e32 v4, 0x10000, v0
	v_cmp_eq_u32_sdwa vcc, v0, v2 src0_sel:WORD_0 src1_sel:DWORD
	v_cndmask_b32_e32 v4, v4, v0, vcc
; %bb.1387:                             ;   in Loop: Header=BB6_1331 Depth=3
	s_or_b64 exec, exec, s[42:43]
	v_lshlrev_b32_e32 v0, 16, v11
	v_mul_f32_e32 v0, v44, v0
	v_and_b32_e32 v5, 0x7f800000, v0
	v_cmp_ne_u32_e32 vcc, s55, v5
                                        ; implicit-def: $vgpr5
	s_and_saveexec_b64 s[42:43], vcc
	s_xor_b64 s[42:43], exec, s[42:43]
; %bb.1388:                             ;   in Loop: Header=BB6_1331 Depth=3
	v_bfe_u32 v5, v0, 16, 1
	v_add3_u32 v5, v0, v5, s64
                                        ; implicit-def: $vgpr0
; %bb.1389:                             ;   in Loop: Header=BB6_1331 Depth=3
	s_andn2_saveexec_b64 s[42:43], s[42:43]
; %bb.1390:                             ;   in Loop: Header=BB6_1331 Depth=3
	v_or_b32_e32 v5, 0x10000, v0
	v_cmp_eq_u32_sdwa vcc, v0, v2 src0_sel:WORD_0 src1_sel:DWORD
	v_cndmask_b32_e32 v5, v5, v0, vcc
; %bb.1391:                             ;   in Loop: Header=BB6_1331 Depth=3
	s_or_b64 exec, exec, s[42:43]
	v_and_b32_e32 v0, 0xffff0000, v11
	v_mul_f32_e32 v7, v44, v0
	v_and_b32_e32 v0, 0x7f800000, v7
	v_cmp_ne_u32_e32 vcc, s55, v0
                                        ; implicit-def: $vgpr0
	s_and_saveexec_b64 s[42:43], vcc
	s_xor_b64 s[42:43], exec, s[42:43]
; %bb.1392:                             ;   in Loop: Header=BB6_1331 Depth=3
	v_bfe_u32 v0, v7, 16, 1
	v_add3_u32 v0, v7, v0, s64
                                        ; implicit-def: $vgpr7
; %bb.1393:                             ;   in Loop: Header=BB6_1331 Depth=3
	s_andn2_saveexec_b64 s[42:43], s[42:43]
; %bb.1394:                             ;   in Loop: Header=BB6_1331 Depth=3
	v_or_b32_e32 v0, 0x10000, v7
	v_cmp_eq_u32_sdwa vcc, v7, v2 src0_sel:WORD_0 src1_sel:DWORD
	v_cndmask_b32_e32 v0, v0, v7, vcc
; %bb.1395:                             ;   in Loop: Header=BB6_1331 Depth=3
	s_or_b64 exec, exec, s[42:43]
	global_load_dwordx4 v[12:15], v[18:19], off glc slc
	global_load_dwordx4 v[8:11], v[18:19], off offset:1024 glc slc
	v_and_b32_e32 v6, 0xffff0000, v6
                                        ; implicit-def: $vgpr35
	s_waitcnt vmcnt(1)
	v_lshlrev_b32_e32 v7, 16, v12
	v_add_f32_e32 v6, v6, v7
	v_and_b32_e32 v7, 0x7f800000, v6
	v_cmp_ne_u32_e32 vcc, s55, v7
	s_and_saveexec_b64 s[42:43], vcc
	s_xor_b64 s[42:43], exec, s[42:43]
; %bb.1396:                             ;   in Loop: Header=BB6_1331 Depth=3
	v_bfe_u32 v7, v6, 16, 1
	v_add3_u32 v35, v6, v7, s64
                                        ; implicit-def: $vgpr6
; %bb.1397:                             ;   in Loop: Header=BB6_1331 Depth=3
	s_andn2_saveexec_b64 s[42:43], s[42:43]
; %bb.1398:                             ;   in Loop: Header=BB6_1331 Depth=3
	v_or_b32_e32 v7, 0x10000, v6
	v_cmp_eq_u32_sdwa vcc, v6, v2 src0_sel:WORD_0 src1_sel:DWORD
	v_cndmask_b32_e32 v35, v7, v6, vcc
; %bb.1399:                             ;   in Loop: Header=BB6_1331 Depth=3
	s_or_b64 exec, exec, s[42:43]
	v_and_b32_e32 v6, 0xffff0000, v12
	v_and_b32_e32 v7, 0xffff0000, v17
	v_add_f32_e32 v7, v7, v6
	v_and_b32_e32 v6, 0x7f800000, v7
	v_cmp_ne_u32_e32 vcc, s55, v6
                                        ; implicit-def: $vgpr6
	s_and_saveexec_b64 s[42:43], vcc
	s_xor_b64 s[42:43], exec, s[42:43]
; %bb.1400:                             ;   in Loop: Header=BB6_1331 Depth=3
	v_bfe_u32 v6, v7, 16, 1
	v_add3_u32 v6, v7, v6, s64
                                        ; implicit-def: $vgpr7
; %bb.1401:                             ;   in Loop: Header=BB6_1331 Depth=3
	s_andn2_saveexec_b64 s[42:43], s[42:43]
; %bb.1402:                             ;   in Loop: Header=BB6_1331 Depth=3
	v_or_b32_e32 v6, 0x10000, v7
	v_cmp_eq_u32_sdwa vcc, v7, v2 src0_sel:WORD_0 src1_sel:DWORD
	v_cndmask_b32_e32 v6, v6, v7, vcc
; %bb.1403:                             ;   in Loop: Header=BB6_1331 Depth=3
	s_or_b64 exec, exec, s[42:43]
	v_and_b32_e32 v7, 0xffff0000, v26
	v_lshlrev_b32_e32 v12, 16, v13
	v_add_f32_e32 v12, v7, v12
	v_and_b32_e32 v7, 0x7f800000, v12
	v_cmp_ne_u32_e32 vcc, s55, v7
                                        ; implicit-def: $vgpr7
	s_and_saveexec_b64 s[42:43], vcc
	s_xor_b64 s[42:43], exec, s[42:43]
; %bb.1404:                             ;   in Loop: Header=BB6_1331 Depth=3
	v_bfe_u32 v7, v12, 16, 1
	v_add3_u32 v7, v12, v7, s64
                                        ; implicit-def: $vgpr12
; %bb.1405:                             ;   in Loop: Header=BB6_1331 Depth=3
	s_andn2_saveexec_b64 s[42:43], s[42:43]
; %bb.1406:                             ;   in Loop: Header=BB6_1331 Depth=3
	v_or_b32_e32 v7, 0x10000, v12
	v_cmp_eq_u32_sdwa vcc, v12, v2 src0_sel:WORD_0 src1_sel:DWORD
	v_cndmask_b32_e32 v7, v7, v12, vcc
; %bb.1407:                             ;   in Loop: Header=BB6_1331 Depth=3
	s_or_b64 exec, exec, s[42:43]
	v_and_b32_e32 v12, 0xffff0000, v13
	v_and_b32_e32 v13, 0xffff0000, v37
	v_add_f32_e32 v13, v13, v12
	v_and_b32_e32 v12, 0x7f800000, v13
	v_cmp_ne_u32_e32 vcc, s55, v12
                                        ; implicit-def: $vgpr12
	s_and_saveexec_b64 s[42:43], vcc
	s_xor_b64 s[42:43], exec, s[42:43]
; %bb.1408:                             ;   in Loop: Header=BB6_1331 Depth=3
	v_bfe_u32 v12, v13, 16, 1
	v_add3_u32 v12, v13, v12, s64
                                        ; implicit-def: $vgpr13
; %bb.1409:                             ;   in Loop: Header=BB6_1331 Depth=3
	s_andn2_saveexec_b64 s[42:43], s[42:43]
; %bb.1410:                             ;   in Loop: Header=BB6_1331 Depth=3
	v_or_b32_e32 v12, 0x10000, v13
	v_cmp_eq_u32_sdwa vcc, v13, v2 src0_sel:WORD_0 src1_sel:DWORD
	v_cndmask_b32_e32 v12, v12, v13, vcc
; %bb.1411:                             ;   in Loop: Header=BB6_1331 Depth=3
	s_or_b64 exec, exec, s[42:43]
	v_and_b32_e32 v13, 0xffff0000, v39
	v_lshlrev_b32_e32 v17, 16, v14
	v_add_f32_e32 v17, v13, v17
	v_and_b32_e32 v13, 0x7f800000, v17
	v_cmp_ne_u32_e32 vcc, s55, v13
                                        ; implicit-def: $vgpr13
	s_and_saveexec_b64 s[42:43], vcc
	s_xor_b64 s[42:43], exec, s[42:43]
; %bb.1412:                             ;   in Loop: Header=BB6_1331 Depth=3
	v_bfe_u32 v13, v17, 16, 1
	v_add3_u32 v13, v17, v13, s64
                                        ; implicit-def: $vgpr17
; %bb.1413:                             ;   in Loop: Header=BB6_1331 Depth=3
	s_andn2_saveexec_b64 s[42:43], s[42:43]
; %bb.1414:                             ;   in Loop: Header=BB6_1331 Depth=3
	v_or_b32_e32 v13, 0x10000, v17
	v_cmp_eq_u32_sdwa vcc, v17, v2 src0_sel:WORD_0 src1_sel:DWORD
	v_cndmask_b32_e32 v13, v13, v17, vcc
; %bb.1415:                             ;   in Loop: Header=BB6_1331 Depth=3
	s_or_b64 exec, exec, s[42:43]
	v_and_b32_e32 v14, 0xffff0000, v14
	v_and_b32_e32 v17, 0xffff0000, v38
	v_add_f32_e32 v17, v17, v14
	v_and_b32_e32 v14, 0x7f800000, v17
	v_cmp_ne_u32_e32 vcc, s55, v14
                                        ; implicit-def: $vgpr14
	s_and_saveexec_b64 s[42:43], vcc
	s_xor_b64 s[42:43], exec, s[42:43]
; %bb.1416:                             ;   in Loop: Header=BB6_1331 Depth=3
	v_bfe_u32 v14, v17, 16, 1
	v_add3_u32 v14, v17, v14, s64
                                        ; implicit-def: $vgpr17
; %bb.1417:                             ;   in Loop: Header=BB6_1331 Depth=3
	s_andn2_saveexec_b64 s[42:43], s[42:43]
; %bb.1418:                             ;   in Loop: Header=BB6_1331 Depth=3
	v_or_b32_e32 v14, 0x10000, v17
	v_cmp_eq_u32_sdwa vcc, v17, v2 src0_sel:WORD_0 src1_sel:DWORD
	v_cndmask_b32_e32 v14, v14, v17, vcc
; %bb.1419:                             ;   in Loop: Header=BB6_1331 Depth=3
	s_or_b64 exec, exec, s[42:43]
	v_and_b32_e32 v17, 0xffff0000, v60
	v_lshlrev_b32_e32 v20, 16, v15
	v_add_f32_e32 v26, v17, v20
	v_and_b32_e32 v17, 0x7f800000, v26
	v_cmp_ne_u32_e32 vcc, s55, v17
                                        ; implicit-def: $vgpr17
	s_and_saveexec_b64 s[42:43], vcc
	s_xor_b64 s[42:43], exec, s[42:43]
; %bb.1420:                             ;   in Loop: Header=BB6_1331 Depth=3
	v_bfe_u32 v17, v26, 16, 1
	v_add3_u32 v17, v26, v17, s64
                                        ; implicit-def: $vgpr26
; %bb.1421:                             ;   in Loop: Header=BB6_1331 Depth=3
	s_andn2_saveexec_b64 s[42:43], s[42:43]
; %bb.1422:                             ;   in Loop: Header=BB6_1331 Depth=3
	v_or_b32_e32 v17, 0x10000, v26
	v_cmp_eq_u32_sdwa vcc, v26, v2 src0_sel:WORD_0 src1_sel:DWORD
	v_cndmask_b32_e32 v17, v17, v26, vcc
; %bb.1423:                             ;   in Loop: Header=BB6_1331 Depth=3
	s_or_b64 exec, exec, s[42:43]
	v_and_b32_e32 v15, 0xffff0000, v15
	v_and_b32_e32 v20, 0xffff0000, v45
	v_add_f32_e32 v26, v20, v15
	v_and_b32_e32 v15, 0x7f800000, v26
	v_cmp_ne_u32_e32 vcc, s55, v15
                                        ; implicit-def: $vgpr15
	s_and_saveexec_b64 s[42:43], vcc
	s_xor_b64 s[42:43], exec, s[42:43]
; %bb.1424:                             ;   in Loop: Header=BB6_1331 Depth=3
	v_bfe_u32 v15, v26, 16, 1
	v_add3_u32 v15, v26, v15, s64
                                        ; implicit-def: $vgpr26
; %bb.1425:                             ;   in Loop: Header=BB6_1331 Depth=3
	s_andn2_saveexec_b64 s[42:43], s[42:43]
; %bb.1426:                             ;   in Loop: Header=BB6_1331 Depth=3
	v_or_b32_e32 v15, 0x10000, v26
	v_cmp_eq_u32_sdwa vcc, v26, v2 src0_sel:WORD_0 src1_sel:DWORD
	v_cndmask_b32_e32 v15, v15, v26, vcc
; %bb.1427:                             ;   in Loop: Header=BB6_1331 Depth=3
	s_or_b64 exec, exec, s[42:43]
	v_and_b32_e32 v20, 0xffff0000, v34
	s_waitcnt vmcnt(0)
	v_lshlrev_b32_e32 v21, 16, v8
	v_add_f32_e32 v27, v20, v21
	v_and_b32_e32 v20, 0x7f800000, v27
	v_cmp_ne_u32_e32 vcc, s55, v20
                                        ; implicit-def: $vgpr26
	s_and_saveexec_b64 s[42:43], vcc
	s_xor_b64 s[42:43], exec, s[42:43]
; %bb.1428:                             ;   in Loop: Header=BB6_1331 Depth=3
	v_bfe_u32 v20, v27, 16, 1
	v_add3_u32 v26, v27, v20, s64
                                        ; implicit-def: $vgpr27
; %bb.1429:                             ;   in Loop: Header=BB6_1331 Depth=3
	s_andn2_saveexec_b64 s[42:43], s[42:43]
; %bb.1430:                             ;   in Loop: Header=BB6_1331 Depth=3
	v_or_b32_e32 v20, 0x10000, v27
	v_cmp_eq_u32_sdwa vcc, v27, v2 src0_sel:WORD_0 src1_sel:DWORD
	v_cndmask_b32_e32 v26, v20, v27, vcc
; %bb.1431:                             ;   in Loop: Header=BB6_1331 Depth=3
	s_or_b64 exec, exec, s[42:43]
	v_and_b32_e32 v8, 0xffff0000, v8
	v_and_b32_e32 v20, 0xffff0000, v52
	v_add_f32_e32 v27, v20, v8
	v_and_b32_e32 v8, 0x7f800000, v27
	v_cmp_ne_u32_e32 vcc, s55, v8
                                        ; implicit-def: $vgpr8
	s_and_saveexec_b64 s[42:43], vcc
	s_xor_b64 s[42:43], exec, s[42:43]
; %bb.1432:                             ;   in Loop: Header=BB6_1331 Depth=3
	v_bfe_u32 v8, v27, 16, 1
	v_add3_u32 v8, v27, v8, s64
                                        ; implicit-def: $vgpr27
; %bb.1433:                             ;   in Loop: Header=BB6_1331 Depth=3
	s_andn2_saveexec_b64 s[42:43], s[42:43]
; %bb.1434:                             ;   in Loop: Header=BB6_1331 Depth=3
	v_or_b32_e32 v8, 0x10000, v27
	v_cmp_eq_u32_sdwa vcc, v27, v2 src0_sel:WORD_0 src1_sel:DWORD
	v_cndmask_b32_e32 v8, v8, v27, vcc
; %bb.1435:                             ;   in Loop: Header=BB6_1331 Depth=3
	s_or_b64 exec, exec, s[42:43]
	v_and_b32_e32 v20, 0xffff0000, v53
	v_lshlrev_b32_e32 v21, 16, v9
	v_add_f32_e32 v34, v20, v21
	v_and_b32_e32 v20, 0x7f800000, v34
	v_cmp_ne_u32_e32 vcc, s55, v20
                                        ; implicit-def: $vgpr27
	s_and_saveexec_b64 s[42:43], vcc
	s_xor_b64 s[42:43], exec, s[42:43]
; %bb.1436:                             ;   in Loop: Header=BB6_1331 Depth=3
	v_bfe_u32 v20, v34, 16, 1
	v_add3_u32 v27, v34, v20, s64
                                        ; implicit-def: $vgpr34
; %bb.1437:                             ;   in Loop: Header=BB6_1331 Depth=3
	s_andn2_saveexec_b64 s[42:43], s[42:43]
; %bb.1438:                             ;   in Loop: Header=BB6_1331 Depth=3
	v_or_b32_e32 v20, 0x10000, v34
	v_cmp_eq_u32_sdwa vcc, v34, v2 src0_sel:WORD_0 src1_sel:DWORD
	v_cndmask_b32_e32 v27, v20, v34, vcc
; %bb.1439:                             ;   in Loop: Header=BB6_1331 Depth=3
	s_or_b64 exec, exec, s[42:43]
	v_and_b32_e32 v9, 0xffff0000, v9
	v_and_b32_e32 v20, 0xffff0000, v50
	v_add_f32_e32 v34, v20, v9
	v_and_b32_e32 v9, 0x7f800000, v34
	v_cmp_ne_u32_e32 vcc, s55, v9
                                        ; implicit-def: $vgpr9
	s_and_saveexec_b64 s[42:43], vcc
	s_xor_b64 s[42:43], exec, s[42:43]
; %bb.1440:                             ;   in Loop: Header=BB6_1331 Depth=3
	v_bfe_u32 v9, v34, 16, 1
	v_add3_u32 v9, v34, v9, s64
                                        ; implicit-def: $vgpr34
; %bb.1441:                             ;   in Loop: Header=BB6_1331 Depth=3
	s_andn2_saveexec_b64 s[42:43], s[42:43]
; %bb.1442:                             ;   in Loop: Header=BB6_1331 Depth=3
	v_or_b32_e32 v9, 0x10000, v34
	v_cmp_eq_u32_sdwa vcc, v34, v2 src0_sel:WORD_0 src1_sel:DWORD
	v_cndmask_b32_e32 v9, v9, v34, vcc
; %bb.1443:                             ;   in Loop: Header=BB6_1331 Depth=3
	s_or_b64 exec, exec, s[42:43]
	v_and_b32_e32 v20, 0xffff0000, v51
	v_lshlrev_b32_e32 v21, 16, v10
	v_add_f32_e32 v37, v20, v21
	v_and_b32_e32 v20, 0x7f800000, v37
	v_cmp_ne_u32_e32 vcc, s55, v20
                                        ; implicit-def: $vgpr34
	s_and_saveexec_b64 s[42:43], vcc
	s_xor_b64 s[42:43], exec, s[42:43]
; %bb.1444:                             ;   in Loop: Header=BB6_1331 Depth=3
	v_bfe_u32 v20, v37, 16, 1
	v_add3_u32 v34, v37, v20, s64
                                        ; implicit-def: $vgpr37
; %bb.1445:                             ;   in Loop: Header=BB6_1331 Depth=3
	s_andn2_saveexec_b64 s[42:43], s[42:43]
; %bb.1446:                             ;   in Loop: Header=BB6_1331 Depth=3
	v_or_b32_e32 v20, 0x10000, v37
	v_cmp_eq_u32_sdwa vcc, v37, v2 src0_sel:WORD_0 src1_sel:DWORD
	v_cndmask_b32_e32 v34, v20, v37, vcc
; %bb.1447:                             ;   in Loop: Header=BB6_1331 Depth=3
	s_or_b64 exec, exec, s[42:43]
	v_and_b32_e32 v10, 0xffff0000, v10
	v_and_b32_e32 v4, 0xffff0000, v4
	v_add_f32_e32 v10, v4, v10
	v_and_b32_e32 v4, 0x7f800000, v10
	v_cmp_ne_u32_e32 vcc, s55, v4
                                        ; implicit-def: $vgpr4
	s_and_saveexec_b64 s[42:43], vcc
	s_xor_b64 s[42:43], exec, s[42:43]
; %bb.1448:                             ;   in Loop: Header=BB6_1331 Depth=3
	v_bfe_u32 v4, v10, 16, 1
	v_add3_u32 v4, v10, v4, s64
                                        ; implicit-def: $vgpr10
; %bb.1449:                             ;   in Loop: Header=BB6_1331 Depth=3
	s_andn2_saveexec_b64 s[42:43], s[42:43]
; %bb.1450:                             ;   in Loop: Header=BB6_1331 Depth=3
	v_or_b32_e32 v4, 0x10000, v10
	v_cmp_eq_u32_sdwa vcc, v10, v2 src0_sel:WORD_0 src1_sel:DWORD
	v_cndmask_b32_e32 v4, v4, v10, vcc
; %bb.1451:                             ;   in Loop: Header=BB6_1331 Depth=3
	s_or_b64 exec, exec, s[42:43]
	v_and_b32_e32 v5, 0xffff0000, v5
	v_lshlrev_b32_e32 v10, 16, v11
	v_add_f32_e32 v10, v5, v10
	v_and_b32_e32 v5, 0x7f800000, v10
	v_cmp_ne_u32_e32 vcc, s55, v5
                                        ; implicit-def: $vgpr5
	s_and_saveexec_b64 s[42:43], vcc
	s_xor_b64 s[42:43], exec, s[42:43]
; %bb.1452:                             ;   in Loop: Header=BB6_1331 Depth=3
	v_bfe_u32 v5, v10, 16, 1
	v_add3_u32 v5, v10, v5, s64
                                        ; implicit-def: $vgpr10
; %bb.1453:                             ;   in Loop: Header=BB6_1331 Depth=3
	s_andn2_saveexec_b64 s[42:43], s[42:43]
; %bb.1454:                             ;   in Loop: Header=BB6_1331 Depth=3
	v_or_b32_e32 v5, 0x10000, v10
	v_cmp_eq_u32_sdwa vcc, v10, v2 src0_sel:WORD_0 src1_sel:DWORD
	v_cndmask_b32_e32 v5, v5, v10, vcc
; %bb.1455:                             ;   in Loop: Header=BB6_1331 Depth=3
	s_or_b64 exec, exec, s[42:43]
	v_and_b32_e32 v10, 0xffff0000, v11
	v_and_b32_e32 v0, 0xffff0000, v0
	v_add_f32_e32 v10, v0, v10
	v_and_b32_e32 v0, 0x7f800000, v10
	v_cmp_ne_u32_e32 vcc, s55, v0
                                        ; implicit-def: $vgpr0
	s_and_saveexec_b64 s[42:43], vcc
	s_xor_b64 s[42:43], exec, s[42:43]
; %bb.1456:                             ;   in Loop: Header=BB6_1331 Depth=3
	v_bfe_u32 v0, v10, 16, 1
	v_add3_u32 v0, v10, v0, s64
                                        ; implicit-def: $vgpr10
; %bb.1457:                             ;   in Loop: Header=BB6_1331 Depth=3
	s_andn2_saveexec_b64 s[42:43], s[42:43]
	s_cbranch_execz .LBB6_1330
; %bb.1458:                             ;   in Loop: Header=BB6_1331 Depth=3
	v_or_b32_e32 v0, 0x10000, v10
	v_cmp_eq_u32_sdwa vcc, v10, v2 src0_sel:WORD_0 src1_sel:DWORD
	v_cndmask_b32_e32 v0, v0, v10, vcc
	s_branch .LBB6_1330
.LBB6_1459:                             ;   in Loop: Header=BB6_952 Depth=2
	s_or_b64 exec, exec, s[40:41]
	buffer_load_dword v56, off, s[0:3], s33 offset:172 ; 4-byte Folded Reload
	v_mov_b32_e32 v57, v24
.LBB6_1460:                             ;   in Loop: Header=BB6_952 Depth=2
	s_or_b64 exec, exec, s[28:29]
	v_lshlrev_b32_e32 v0, 11, v59
	s_mov_b64 s[42:43], 0
	v_mov_b32_e32 v14, 0
	v_cmp_ne_u32_e32 vcc, v57, v0
                                        ; implicit-def: $vgpr4
	s_mov_b64 s[40:41], exec
	buffer_load_dword v58, off, s[0:3], s33 offset:96 ; 4-byte Folded Reload
	buffer_load_dword v59, off, s[0:3], s33 offset:100 ; 4-byte Folded Reload
	;; [unrolled: 1-line block ×4, first 2 shown]
	s_and_b64 s[28:29], s[40:41], vcc
	s_mov_b64 exec, s[28:29]
	s_cbranch_execz .LBB6_1530
; %bb.1461:                             ;   in Loop: Header=BB6_952 Depth=2
	buffer_load_dword v5, off, s[0:3], s33 offset:140 ; 4-byte Folded Reload
	v_lshlrev_b32_e32 v4, 6, v41
	v_sub_u32_e32 v7, v57, v0
	s_waitcnt vmcnt(0)
	v_sub_u32_e32 v4, v5, v4
	v_ashrrev_i32_e32 v5, 31, v4
	v_lshrrev_b32_e32 v5, 26, v5
	v_add_u32_e32 v5, v4, v5
	v_ashrrev_i32_e32 v8, 6, v5
	v_and_b32_e32 v5, 0xffffffc0, v5
	v_sub_u32_e32 v4, v4, v5
	v_lshlrev_b32_e32 v5, 4, v4
	v_lshl_add_u32 v6, v8, 10, v5
	v_ashrrev_i32_e32 v5, 31, v7
	v_lshrrev_b32_e32 v5, 22, v5
	v_add_u32_e32 v5, v7, v5
	v_ashrrev_i32_e32 v9, 10, v5
	v_and_b32_e32 v5, 0xfffffc00, v5
	v_sub_u32_e32 v50, v7, v5
	v_cmp_lt_i32_e32 vcc, 15, v50
	v_sub_u32_e32 v52, v7, v6
	v_addc_co_u32_e64 v7, s[28:29], 0, v9, vcc
	v_sub_u32_e32 v51, v7, v8
	v_cmp_lt_i32_e64 s[28:29], 15, v52
	s_and_saveexec_b64 s[42:43], s[28:29]
	s_cbranch_execz .LBB6_1529
; %bb.1462:                             ;   in Loop: Header=BB6_952 Depth=2
	v_add_u32_e32 v8, v6, v0
	s_trap 2
	ds_read_b64 v[6:7], v0
	ds_read_b32 v10, v0
	v_ashrrev_i32_e32 v9, 31, v8
	v_add_co_u32_e64 v12, s[28:29], v8, v46
	v_addc_co_u32_e64 v13, s[28:29], v9, v47, s[28:29]
	s_waitcnt lgkmcnt(0)
	v_add_co_u32_e64 v14, s[28:29], v6, v8
	v_addc_co_u32_e64 v15, s[28:29], v7, v9, s[28:29]
	buffer_load_dword v6, off, s[0:3], s33 offset:176 ; 4-byte Folded Reload
	buffer_load_dword v7, off, s[0:3], s33 offset:180 ; 4-byte Folded Reload
	v_lshlrev_b32_e32 v53, 16, v10
	s_mov_b64 s[90:91], 0
	s_waitcnt vmcnt(1)
	v_add_co_u32_e64 v18, s[28:29], v8, v6
	s_waitcnt vmcnt(0)
	v_addc_co_u32_e64 v19, s[28:29], v9, v7, s[28:29]
	s_branch .LBB6_1464
.LBB6_1463:                             ;   in Loop: Header=BB6_1464 Depth=3
	s_or_b64 exec, exec, s[92:93]
	v_lshrrev_b32_e32 v7, 16, v7
	v_add_co_u32_e64 v12, s[28:29], v12, v31
	v_and_or_b32 v8, v8, s65, v7
	v_lshrrev_b32_e32 v7, 16, v27
	v_addc_co_u32_e64 v13, s[28:29], 0, v13, s[28:29]
	v_lshrrev_b32_e32 v11, 16, v35
	v_and_or_b32 v10, v10, s65, v7
	v_lshrrev_b32_e32 v7, 16, v17
	v_add_co_u32_e64 v14, s[28:29], v14, v31
	v_and_or_b32 v9, v9, s65, v11
	v_and_or_b32 v11, v6, s65, v7
	v_addc_co_u32_e64 v15, s[28:29], 0, v15, s[28:29]
	global_store_dwordx4 v[18:19], v[8:11], off glc slc
	v_add_co_u32_e64 v18, s[28:29], v18, v31
	v_addc_co_u32_e64 v19, s[28:29], 0, v19, s[28:29]
	v_sub_u32_e32 v52, v52, v31
	v_cmp_gt_i32_e64 s[28:29], 16, v52
	s_or_b64 s[90:91], s[28:29], s[90:91]
	v_sub_u32_e32 v51, v51, v16
	s_andn2_b64 exec, exec, s[90:91]
	s_cbranch_execz .LBB6_1528
.LBB6_1464:                             ;   Parent Loop BB6_47 Depth=1
                                        ;     Parent Loop BB6_952 Depth=2
                                        ; =>    This Inner Loop Header: Depth=3
	global_load_dwordx4 v[8:11], v[12:13], off glc slc
	s_waitcnt vmcnt(0)
	v_lshlrev_b32_e32 v6, 16, v8
	v_mul_f32_e32 v6, v53, v6
	v_and_b32_e32 v7, 0x7f800000, v6
	v_cmp_ne_u32_e64 s[28:29], s55, v7
                                        ; implicit-def: $vgpr7
	s_and_saveexec_b64 s[92:93], s[28:29]
	s_xor_b64 s[28:29], exec, s[92:93]
; %bb.1465:                             ;   in Loop: Header=BB6_1464 Depth=3
	v_bfe_u32 v7, v6, 16, 1
	v_add3_u32 v7, v6, v7, s64
                                        ; implicit-def: $vgpr6
; %bb.1466:                             ;   in Loop: Header=BB6_1464 Depth=3
	s_andn2_saveexec_b64 s[92:93], s[28:29]
; %bb.1467:                             ;   in Loop: Header=BB6_1464 Depth=3
	v_or_b32_e32 v7, 0x10000, v6
	v_cmp_eq_u32_sdwa s[28:29], v6, v2 src0_sel:WORD_0 src1_sel:DWORD
	v_cndmask_b32_e64 v7, v7, v6, s[28:29]
; %bb.1468:                             ;   in Loop: Header=BB6_1464 Depth=3
	s_or_b64 exec, exec, s[92:93]
	v_and_b32_e32 v6, 0xffff0000, v8
	v_mul_f32_e32 v6, v53, v6
	v_and_b32_e32 v8, 0x7f800000, v6
	v_cmp_ne_u32_e64 s[28:29], s55, v8
                                        ; implicit-def: $vgpr37
	s_and_saveexec_b64 s[92:93], s[28:29]
	s_xor_b64 s[28:29], exec, s[92:93]
; %bb.1469:                             ;   in Loop: Header=BB6_1464 Depth=3
	v_bfe_u32 v8, v6, 16, 1
	v_add3_u32 v37, v6, v8, s64
                                        ; implicit-def: $vgpr6
; %bb.1470:                             ;   in Loop: Header=BB6_1464 Depth=3
	s_andn2_saveexec_b64 s[92:93], s[28:29]
; %bb.1471:                             ;   in Loop: Header=BB6_1464 Depth=3
	v_or_b32_e32 v8, 0x10000, v6
	v_cmp_eq_u32_sdwa s[28:29], v6, v2 src0_sel:WORD_0 src1_sel:DWORD
	v_cndmask_b32_e64 v37, v8, v6, s[28:29]
; %bb.1472:                             ;   in Loop: Header=BB6_1464 Depth=3
	s_or_b64 exec, exec, s[92:93]
	v_lshlrev_b32_e32 v6, 16, v9
	v_mul_f32_e32 v6, v53, v6
	v_and_b32_e32 v8, 0x7f800000, v6
	v_cmp_ne_u32_e64 s[28:29], s55, v8
                                        ; implicit-def: $vgpr35
	s_and_saveexec_b64 s[92:93], s[28:29]
	s_xor_b64 s[28:29], exec, s[92:93]
; %bb.1473:                             ;   in Loop: Header=BB6_1464 Depth=3
	v_bfe_u32 v8, v6, 16, 1
	v_add3_u32 v35, v6, v8, s64
                                        ; implicit-def: $vgpr6
; %bb.1474:                             ;   in Loop: Header=BB6_1464 Depth=3
	s_andn2_saveexec_b64 s[92:93], s[28:29]
; %bb.1475:                             ;   in Loop: Header=BB6_1464 Depth=3
	v_or_b32_e32 v8, 0x10000, v6
	v_cmp_eq_u32_sdwa s[28:29], v6, v2 src0_sel:WORD_0 src1_sel:DWORD
	v_cndmask_b32_e64 v35, v8, v6, s[28:29]
; %bb.1476:                             ;   in Loop: Header=BB6_1464 Depth=3
	s_or_b64 exec, exec, s[92:93]
	v_and_b32_e32 v6, 0xffff0000, v9
	v_mul_f32_e32 v6, v53, v6
	v_and_b32_e32 v8, 0x7f800000, v6
	v_cmp_ne_u32_e64 s[28:29], s55, v8
                                        ; implicit-def: $vgpr34
	s_and_saveexec_b64 s[92:93], s[28:29]
	s_xor_b64 s[28:29], exec, s[92:93]
; %bb.1477:                             ;   in Loop: Header=BB6_1464 Depth=3
	v_bfe_u32 v8, v6, 16, 1
	v_add3_u32 v34, v6, v8, s64
                                        ; implicit-def: $vgpr6
; %bb.1478:                             ;   in Loop: Header=BB6_1464 Depth=3
	s_andn2_saveexec_b64 s[92:93], s[28:29]
; %bb.1479:                             ;   in Loop: Header=BB6_1464 Depth=3
	v_or_b32_e32 v8, 0x10000, v6
	v_cmp_eq_u32_sdwa s[28:29], v6, v2 src0_sel:WORD_0 src1_sel:DWORD
	v_cndmask_b32_e64 v34, v8, v6, s[28:29]
; %bb.1480:                             ;   in Loop: Header=BB6_1464 Depth=3
	s_or_b64 exec, exec, s[92:93]
	v_lshlrev_b32_e32 v6, 16, v10
	v_mul_f32_e32 v6, v53, v6
	v_and_b32_e32 v8, 0x7f800000, v6
	v_cmp_ne_u32_e64 s[28:29], s55, v8
                                        ; implicit-def: $vgpr27
	s_and_saveexec_b64 s[92:93], s[28:29]
	s_xor_b64 s[28:29], exec, s[92:93]
; %bb.1481:                             ;   in Loop: Header=BB6_1464 Depth=3
	v_bfe_u32 v8, v6, 16, 1
	v_add3_u32 v27, v6, v8, s64
                                        ; implicit-def: $vgpr6
; %bb.1482:                             ;   in Loop: Header=BB6_1464 Depth=3
	s_andn2_saveexec_b64 s[92:93], s[28:29]
; %bb.1483:                             ;   in Loop: Header=BB6_1464 Depth=3
	v_or_b32_e32 v8, 0x10000, v6
	v_cmp_eq_u32_sdwa s[28:29], v6, v2 src0_sel:WORD_0 src1_sel:DWORD
	v_cndmask_b32_e64 v27, v8, v6, s[28:29]
; %bb.1484:                             ;   in Loop: Header=BB6_1464 Depth=3
	s_or_b64 exec, exec, s[92:93]
	v_and_b32_e32 v6, 0xffff0000, v10
	v_mul_f32_e32 v6, v53, v6
	v_and_b32_e32 v8, 0x7f800000, v6
	v_cmp_ne_u32_e64 s[28:29], s55, v8
                                        ; implicit-def: $vgpr26
	s_and_saveexec_b64 s[92:93], s[28:29]
	s_xor_b64 s[28:29], exec, s[92:93]
; %bb.1485:                             ;   in Loop: Header=BB6_1464 Depth=3
	v_bfe_u32 v8, v6, 16, 1
	v_add3_u32 v26, v6, v8, s64
                                        ; implicit-def: $vgpr6
; %bb.1486:                             ;   in Loop: Header=BB6_1464 Depth=3
	s_andn2_saveexec_b64 s[92:93], s[28:29]
; %bb.1487:                             ;   in Loop: Header=BB6_1464 Depth=3
	v_or_b32_e32 v8, 0x10000, v6
	v_cmp_eq_u32_sdwa s[28:29], v6, v2 src0_sel:WORD_0 src1_sel:DWORD
	v_cndmask_b32_e64 v26, v8, v6, s[28:29]
; %bb.1488:                             ;   in Loop: Header=BB6_1464 Depth=3
	s_or_b64 exec, exec, s[92:93]
	v_lshlrev_b32_e32 v6, 16, v11
	v_mul_f32_e32 v6, v53, v6
	v_and_b32_e32 v8, 0x7f800000, v6
	v_cmp_ne_u32_e64 s[28:29], s55, v8
                                        ; implicit-def: $vgpr17
	s_and_saveexec_b64 s[92:93], s[28:29]
	s_xor_b64 s[28:29], exec, s[92:93]
; %bb.1489:                             ;   in Loop: Header=BB6_1464 Depth=3
	v_bfe_u32 v8, v6, 16, 1
	v_add3_u32 v17, v6, v8, s64
                                        ; implicit-def: $vgpr6
; %bb.1490:                             ;   in Loop: Header=BB6_1464 Depth=3
	s_andn2_saveexec_b64 s[92:93], s[28:29]
; %bb.1491:                             ;   in Loop: Header=BB6_1464 Depth=3
	v_or_b32_e32 v8, 0x10000, v6
	v_cmp_eq_u32_sdwa s[28:29], v6, v2 src0_sel:WORD_0 src1_sel:DWORD
	v_cndmask_b32_e64 v17, v8, v6, s[28:29]
; %bb.1492:                             ;   in Loop: Header=BB6_1464 Depth=3
	s_or_b64 exec, exec, s[92:93]
	v_and_b32_e32 v6, 0xffff0000, v11
	v_mul_f32_e32 v8, v53, v6
	v_and_b32_e32 v6, 0x7f800000, v8
	v_cmp_ne_u32_e64 s[28:29], s55, v6
                                        ; implicit-def: $vgpr6
	s_and_saveexec_b64 s[92:93], s[28:29]
	s_xor_b64 s[28:29], exec, s[92:93]
; %bb.1493:                             ;   in Loop: Header=BB6_1464 Depth=3
	v_bfe_u32 v6, v8, 16, 1
	v_add3_u32 v6, v8, v6, s64
                                        ; implicit-def: $vgpr8
; %bb.1494:                             ;   in Loop: Header=BB6_1464 Depth=3
	s_andn2_saveexec_b64 s[92:93], s[28:29]
; %bb.1495:                             ;   in Loop: Header=BB6_1464 Depth=3
	v_or_b32_e32 v6, 0x10000, v8
	v_cmp_eq_u32_sdwa s[28:29], v8, v2 src0_sel:WORD_0 src1_sel:DWORD
	v_cndmask_b32_e64 v6, v6, v8, s[28:29]
; %bb.1496:                             ;   in Loop: Header=BB6_1464 Depth=3
	s_or_b64 exec, exec, s[92:93]
	global_load_dwordx4 v[8:11], v[14:15], off glc slc
	v_and_b32_e32 v7, 0xffff0000, v7
	s_waitcnt vmcnt(0)
	v_lshlrev_b32_e32 v20, 16, v8
	v_add_f32_e32 v38, v7, v20
	v_and_b32_e32 v7, 0x7f800000, v38
	v_cmp_ne_u32_e64 s[28:29], s55, v7
                                        ; implicit-def: $vgpr7
	s_and_saveexec_b64 s[92:93], s[28:29]
	s_xor_b64 s[28:29], exec, s[92:93]
; %bb.1497:                             ;   in Loop: Header=BB6_1464 Depth=3
	v_bfe_u32 v7, v38, 16, 1
	v_add3_u32 v7, v38, v7, s64
                                        ; implicit-def: $vgpr38
; %bb.1498:                             ;   in Loop: Header=BB6_1464 Depth=3
	s_andn2_saveexec_b64 s[92:93], s[28:29]
; %bb.1499:                             ;   in Loop: Header=BB6_1464 Depth=3
	v_or_b32_e32 v7, 0x10000, v38
	v_cmp_eq_u32_sdwa s[28:29], v38, v2 src0_sel:WORD_0 src1_sel:DWORD
	v_cndmask_b32_e64 v7, v7, v38, s[28:29]
; %bb.1500:                             ;   in Loop: Header=BB6_1464 Depth=3
	s_or_b64 exec, exec, s[92:93]
	v_and_b32_e32 v20, 0xffff0000, v37
	v_and_b32_e32 v8, 0xffff0000, v8
	v_add_f32_e32 v37, v20, v8
	v_and_b32_e32 v8, 0x7f800000, v37
	v_cmp_ne_u32_e64 s[28:29], s55, v8
                                        ; implicit-def: $vgpr8
	s_and_saveexec_b64 s[92:93], s[28:29]
	s_xor_b64 s[28:29], exec, s[92:93]
; %bb.1501:                             ;   in Loop: Header=BB6_1464 Depth=3
	v_bfe_u32 v8, v37, 16, 1
	v_add3_u32 v8, v37, v8, s64
                                        ; implicit-def: $vgpr37
; %bb.1502:                             ;   in Loop: Header=BB6_1464 Depth=3
	s_andn2_saveexec_b64 s[92:93], s[28:29]
; %bb.1503:                             ;   in Loop: Header=BB6_1464 Depth=3
	v_or_b32_e32 v8, 0x10000, v37
	v_cmp_eq_u32_sdwa s[28:29], v37, v2 src0_sel:WORD_0 src1_sel:DWORD
	v_cndmask_b32_e64 v8, v8, v37, s[28:29]
; %bb.1504:                             ;   in Loop: Header=BB6_1464 Depth=3
	s_or_b64 exec, exec, s[92:93]
	v_and_b32_e32 v20, 0xffff0000, v35
	v_lshlrev_b32_e32 v21, 16, v9
	v_add_f32_e32 v37, v20, v21
	v_and_b32_e32 v20, 0x7f800000, v37
	v_cmp_ne_u32_e64 s[28:29], s55, v20
                                        ; implicit-def: $vgpr35
	s_and_saveexec_b64 s[92:93], s[28:29]
	s_xor_b64 s[28:29], exec, s[92:93]
; %bb.1505:                             ;   in Loop: Header=BB6_1464 Depth=3
	v_bfe_u32 v20, v37, 16, 1
	v_add3_u32 v35, v37, v20, s64
                                        ; implicit-def: $vgpr37
; %bb.1506:                             ;   in Loop: Header=BB6_1464 Depth=3
	s_andn2_saveexec_b64 s[92:93], s[28:29]
; %bb.1507:                             ;   in Loop: Header=BB6_1464 Depth=3
	v_or_b32_e32 v20, 0x10000, v37
	v_cmp_eq_u32_sdwa s[28:29], v37, v2 src0_sel:WORD_0 src1_sel:DWORD
	v_cndmask_b32_e64 v35, v20, v37, s[28:29]
; %bb.1508:                             ;   in Loop: Header=BB6_1464 Depth=3
	s_or_b64 exec, exec, s[92:93]
	v_and_b32_e32 v20, 0xffff0000, v34
	v_and_b32_e32 v9, 0xffff0000, v9
	v_add_f32_e32 v34, v20, v9
	v_and_b32_e32 v9, 0x7f800000, v34
	v_cmp_ne_u32_e64 s[28:29], s55, v9
                                        ; implicit-def: $vgpr9
	s_and_saveexec_b64 s[92:93], s[28:29]
	s_xor_b64 s[28:29], exec, s[92:93]
; %bb.1509:                             ;   in Loop: Header=BB6_1464 Depth=3
	v_bfe_u32 v9, v34, 16, 1
	v_add3_u32 v9, v34, v9, s64
                                        ; implicit-def: $vgpr34
; %bb.1510:                             ;   in Loop: Header=BB6_1464 Depth=3
	s_andn2_saveexec_b64 s[92:93], s[28:29]
; %bb.1511:                             ;   in Loop: Header=BB6_1464 Depth=3
	v_or_b32_e32 v9, 0x10000, v34
	v_cmp_eq_u32_sdwa s[28:29], v34, v2 src0_sel:WORD_0 src1_sel:DWORD
	v_cndmask_b32_e64 v9, v9, v34, s[28:29]
; %bb.1512:                             ;   in Loop: Header=BB6_1464 Depth=3
	s_or_b64 exec, exec, s[92:93]
	v_and_b32_e32 v20, 0xffff0000, v27
	v_lshlrev_b32_e32 v21, 16, v10
	v_add_f32_e32 v34, v20, v21
	v_and_b32_e32 v20, 0x7f800000, v34
	v_cmp_ne_u32_e64 s[28:29], s55, v20
                                        ; implicit-def: $vgpr27
	s_and_saveexec_b64 s[92:93], s[28:29]
	s_xor_b64 s[28:29], exec, s[92:93]
; %bb.1513:                             ;   in Loop: Header=BB6_1464 Depth=3
	v_bfe_u32 v20, v34, 16, 1
	v_add3_u32 v27, v34, v20, s64
                                        ; implicit-def: $vgpr34
; %bb.1514:                             ;   in Loop: Header=BB6_1464 Depth=3
	s_andn2_saveexec_b64 s[92:93], s[28:29]
; %bb.1515:                             ;   in Loop: Header=BB6_1464 Depth=3
	v_or_b32_e32 v20, 0x10000, v34
	v_cmp_eq_u32_sdwa s[28:29], v34, v2 src0_sel:WORD_0 src1_sel:DWORD
	v_cndmask_b32_e64 v27, v20, v34, s[28:29]
; %bb.1516:                             ;   in Loop: Header=BB6_1464 Depth=3
	s_or_b64 exec, exec, s[92:93]
	v_and_b32_e32 v20, 0xffff0000, v26
	v_and_b32_e32 v10, 0xffff0000, v10
	v_add_f32_e32 v26, v20, v10
	v_and_b32_e32 v10, 0x7f800000, v26
	v_cmp_ne_u32_e64 s[28:29], s55, v10
                                        ; implicit-def: $vgpr10
	s_and_saveexec_b64 s[92:93], s[28:29]
	s_xor_b64 s[28:29], exec, s[92:93]
; %bb.1517:                             ;   in Loop: Header=BB6_1464 Depth=3
	v_bfe_u32 v10, v26, 16, 1
	v_add3_u32 v10, v26, v10, s64
                                        ; implicit-def: $vgpr26
; %bb.1518:                             ;   in Loop: Header=BB6_1464 Depth=3
	s_andn2_saveexec_b64 s[92:93], s[28:29]
; %bb.1519:                             ;   in Loop: Header=BB6_1464 Depth=3
	v_or_b32_e32 v10, 0x10000, v26
	v_cmp_eq_u32_sdwa s[28:29], v26, v2 src0_sel:WORD_0 src1_sel:DWORD
	v_cndmask_b32_e64 v10, v10, v26, s[28:29]
; %bb.1520:                             ;   in Loop: Header=BB6_1464 Depth=3
	s_or_b64 exec, exec, s[92:93]
	v_and_b32_e32 v17, 0xffff0000, v17
	v_lshlrev_b32_e32 v20, 16, v11
	v_add_f32_e32 v26, v17, v20
	v_and_b32_e32 v17, 0x7f800000, v26
	v_cmp_ne_u32_e64 s[28:29], s55, v17
                                        ; implicit-def: $vgpr17
	s_and_saveexec_b64 s[92:93], s[28:29]
	s_xor_b64 s[28:29], exec, s[92:93]
; %bb.1521:                             ;   in Loop: Header=BB6_1464 Depth=3
	v_bfe_u32 v17, v26, 16, 1
	v_add3_u32 v17, v26, v17, s64
                                        ; implicit-def: $vgpr26
; %bb.1522:                             ;   in Loop: Header=BB6_1464 Depth=3
	s_andn2_saveexec_b64 s[92:93], s[28:29]
; %bb.1523:                             ;   in Loop: Header=BB6_1464 Depth=3
	v_or_b32_e32 v17, 0x10000, v26
	v_cmp_eq_u32_sdwa s[28:29], v26, v2 src0_sel:WORD_0 src1_sel:DWORD
	v_cndmask_b32_e64 v17, v17, v26, s[28:29]
; %bb.1524:                             ;   in Loop: Header=BB6_1464 Depth=3
	s_or_b64 exec, exec, s[92:93]
	v_and_b32_e32 v6, 0xffff0000, v6
	v_and_b32_e32 v11, 0xffff0000, v11
	v_add_f32_e32 v11, v6, v11
	v_and_b32_e32 v6, 0x7f800000, v11
	v_cmp_ne_u32_e64 s[28:29], s55, v6
                                        ; implicit-def: $vgpr6
	s_and_saveexec_b64 s[92:93], s[28:29]
	s_xor_b64 s[28:29], exec, s[92:93]
; %bb.1525:                             ;   in Loop: Header=BB6_1464 Depth=3
	v_bfe_u32 v6, v11, 16, 1
	v_add3_u32 v6, v11, v6, s64
                                        ; implicit-def: $vgpr11
; %bb.1526:                             ;   in Loop: Header=BB6_1464 Depth=3
	s_andn2_saveexec_b64 s[92:93], s[28:29]
	s_cbranch_execz .LBB6_1463
; %bb.1527:                             ;   in Loop: Header=BB6_1464 Depth=3
	v_or_b32_e32 v6, 0x10000, v11
	v_cmp_eq_u32_sdwa s[28:29], v11, v2 src0_sel:WORD_0 src1_sel:DWORD
	v_cndmask_b32_e64 v6, v6, v11, s[28:29]
	s_branch .LBB6_1463
.LBB6_1528:                             ;   in Loop: Header=BB6_952 Depth=2
	s_or_b64 exec, exec, s[90:91]
.LBB6_1529:                             ;   in Loop: Header=BB6_952 Depth=2
	s_or_b64 exec, exec, s[42:43]
	v_and_b32_e32 v6, 14, v57
	v_sub_u32_e32 v7, v50, v6
	v_cndmask_b32_e32 v7, 0, v7, vcc
	v_cndmask_b32_e32 v57, v50, v6, vcc
	v_cmp_lt_i32_e32 vcc, 0, v51
	v_add3_u32 v14, v5, v0, v7
	v_cndmask_b32_e32 v0, 0, v16, vcc
	v_sub_u32_e32 v0, v0, v51
	v_cmp_ne_u32_e32 vcc, 0, v57
	v_lshl_add_u32 v4, v0, 6, v4
	s_and_b64 s[42:43], vcc, exec
.LBB6_1530:                             ;   in Loop: Header=BB6_952 Depth=2
	s_or_b64 exec, exec, s[40:41]
	s_and_saveexec_b64 s[28:29], s[42:43]
	s_cbranch_execz .LBB6_1611
.LBB6_1531:                             ;   in Loop: Header=BB6_952 Depth=2
	v_ashrrev_i32_e32 v0, 31, v4
	v_ashrrev_i32_e32 v6, 31, v57
	v_lshrrev_b32_e32 v0, 26, v0
	v_lshrrev_b32_e32 v6, 22, v6
	v_add_u32_e32 v5, v4, v0
	v_add_u32_e32 v6, v57, v6
	v_ashrrev_i32_e32 v0, 6, v5
	v_ashrrev_i32_e32 v18, 10, v6
	v_sub_u32_e32 v15, v18, v0
	v_cmp_lt_i32_e32 vcc, 0, v15
	s_and_saveexec_b64 s[40:41], vcc
	s_cbranch_execz .LBB6_1599
; %bb.1532:                             ;   in Loop: Header=BB6_952 Depth=2
	v_and_b32_e32 v5, 0x7fffffc0, v5
	v_sub_u32_e32 v5, v4, v5
	v_lshlrev_b32_e32 v5, 1, v5
	v_lshlrev_b32_e32 v6, 10, v0
	v_add3_u32 v12, v5, v14, v6
	s_trap 2
	ds_read_b64 v[5:6], v0
	ds_read_b32 v7, v0
	v_ashrrev_i32_e32 v13, 31, v12
	v_add_co_u32_e32 v8, vcc, v12, v46
	v_addc_co_u32_e32 v9, vcc, v13, v47, vcc
	s_waitcnt lgkmcnt(0)
	v_add_co_u32_e32 v10, vcc, v5, v12
	v_addc_co_u32_e32 v11, vcc, v6, v13, vcc
	v_lshlrev_b32_e32 v5, 16, v7
	buffer_load_dword v6, off, s[0:3], s33 offset:176 ; 4-byte Folded Reload
	buffer_load_dword v7, off, s[0:3], s33 offset:180 ; 4-byte Folded Reload
	s_mov_b64 s[42:43], 0
	s_waitcnt vmcnt(0)
	v_add_co_u32_e32 v6, vcc, 0x380, v6
	v_addc_co_u32_e32 v7, vcc, 0, v7, vcc
	v_add_co_u32_e32 v12, vcc, v6, v12
	v_addc_co_u32_e32 v13, vcc, v7, v13, vcc
	s_branch .LBB6_1534
.LBB6_1533:                             ;   in Loop: Header=BB6_1534 Depth=3
	s_or_b64 exec, exec, s[90:91]
	v_add_co_u32_e32 v20, vcc, 0xfffffc80, v12
	v_addc_co_u32_e32 v21, vcc, -1, v13, vcc
	flat_store_short_d16_hi v[20:21], v6 glc slc
	v_add_co_u32_e32 v20, vcc, 0xfffffd00, v12
	v_addc_co_u32_e32 v21, vcc, -1, v13, vcc
	v_add_co_u32_e32 v6, vcc, 0xfffffd80, v12
	flat_store_short_d16_hi v[20:21], v7 glc slc
	v_addc_co_u32_e32 v7, vcc, -1, v13, vcc
	flat_store_short_d16_hi v[6:7], v17 glc slc
	v_add_co_u32_e32 v6, vcc, 0xfffffe00, v12
	v_addc_co_u32_e32 v7, vcc, -1, v13, vcc
	flat_store_short_d16_hi v[6:7], v19 glc slc
	v_add_co_u32_e32 v6, vcc, 0xfffffe80, v12
	;; [unrolled: 3-line block ×4, first 2 shown]
	v_addc_co_u32_e32 v7, vcc, -1, v13, vcc
	v_add_co_u32_e32 v8, vcc, v8, v31
	v_addc_co_u32_e32 v9, vcc, 0, v9, vcc
	v_add_co_u32_e32 v10, vcc, v10, v31
	v_addc_co_u32_e32 v11, vcc, 0, v11, vcc
	v_sub_u32_e32 v15, v15, v16
	v_cmp_gt_i32_e32 vcc, 1, v15
	flat_store_short_d16_hi v[6:7], v34 glc slc
	flat_store_short_d16_hi v[12:13], v35 glc slc
	s_or_b64 s[42:43], vcc, s[42:43]
	v_add_co_u32_e32 v12, vcc, v12, v31
	v_addc_co_u32_e32 v13, vcc, 0, v13, vcc
	s_andn2_b64 exec, exec, s[42:43]
	s_cbranch_execz .LBB6_1598
.LBB6_1534:                             ;   Parent Loop BB6_47 Depth=1
                                        ;     Parent Loop BB6_952 Depth=2
                                        ; =>    This Inner Loop Header: Depth=3
	flat_load_ushort v6, v[8:9] glc slc
	s_waitcnt vmcnt(0) lgkmcnt(0)
	v_lshlrev_b32_e32 v6, 16, v6
	v_mul_f32_e32 v7, v5, v6
	v_and_b32_e32 v6, 0x7f800000, v7
	v_cmp_ne_u32_e32 vcc, s55, v6
                                        ; implicit-def: $vgpr6
	s_and_saveexec_b64 s[90:91], vcc
	s_xor_b64 s[90:91], exec, s[90:91]
; %bb.1535:                             ;   in Loop: Header=BB6_1534 Depth=3
	v_bfe_u32 v6, v7, 16, 1
	v_add3_u32 v6, v7, v6, s64
                                        ; implicit-def: $vgpr7
; %bb.1536:                             ;   in Loop: Header=BB6_1534 Depth=3
	s_andn2_saveexec_b64 s[90:91], s[90:91]
; %bb.1537:                             ;   in Loop: Header=BB6_1534 Depth=3
	v_or_b32_e32 v6, 0x10000, v7
	v_cmp_eq_u32_sdwa vcc, v7, v2 src0_sel:WORD_0 src1_sel:DWORD
	v_cndmask_b32_e32 v6, v6, v7, vcc
; %bb.1538:                             ;   in Loop: Header=BB6_1534 Depth=3
	s_or_b64 exec, exec, s[90:91]
	flat_load_ushort v7, v[8:9] offset:128 glc slc
	s_waitcnt vmcnt(0) lgkmcnt(0)
	v_lshlrev_b32_e32 v7, 16, v7
	v_mul_f32_e32 v17, v5, v7
	v_and_b32_e32 v7, 0x7f800000, v17
	v_cmp_ne_u32_e32 vcc, s55, v7
                                        ; implicit-def: $vgpr7
	s_and_saveexec_b64 s[90:91], vcc
	s_xor_b64 s[90:91], exec, s[90:91]
; %bb.1539:                             ;   in Loop: Header=BB6_1534 Depth=3
	v_bfe_u32 v7, v17, 16, 1
	v_add3_u32 v7, v17, v7, s64
                                        ; implicit-def: $vgpr17
; %bb.1540:                             ;   in Loop: Header=BB6_1534 Depth=3
	s_andn2_saveexec_b64 s[90:91], s[90:91]
; %bb.1541:                             ;   in Loop: Header=BB6_1534 Depth=3
	v_or_b32_e32 v7, 0x10000, v17
	v_cmp_eq_u32_sdwa vcc, v17, v2 src0_sel:WORD_0 src1_sel:DWORD
	v_cndmask_b32_e32 v7, v7, v17, vcc
; %bb.1542:                             ;   in Loop: Header=BB6_1534 Depth=3
	s_or_b64 exec, exec, s[90:91]
	flat_load_ushort v17, v[8:9] offset:256 glc slc
	s_waitcnt vmcnt(0) lgkmcnt(0)
	v_lshlrev_b32_e32 v17, 16, v17
	v_mul_f32_e32 v19, v5, v17
	v_and_b32_e32 v17, 0x7f800000, v19
	v_cmp_ne_u32_e32 vcc, s55, v17
                                        ; implicit-def: $vgpr17
	s_and_saveexec_b64 s[90:91], vcc
	s_xor_b64 s[90:91], exec, s[90:91]
; %bb.1543:                             ;   in Loop: Header=BB6_1534 Depth=3
	v_bfe_u32 v17, v19, 16, 1
	v_add3_u32 v17, v19, v17, s64
                                        ; implicit-def: $vgpr19
; %bb.1544:                             ;   in Loop: Header=BB6_1534 Depth=3
	s_andn2_saveexec_b64 s[90:91], s[90:91]
; %bb.1545:                             ;   in Loop: Header=BB6_1534 Depth=3
	v_or_b32_e32 v17, 0x10000, v19
	v_cmp_eq_u32_sdwa vcc, v19, v2 src0_sel:WORD_0 src1_sel:DWORD
	v_cndmask_b32_e32 v17, v17, v19, vcc
; %bb.1546:                             ;   in Loop: Header=BB6_1534 Depth=3
	s_or_b64 exec, exec, s[90:91]
	flat_load_ushort v19, v[8:9] offset:384 glc slc
	s_waitcnt vmcnt(0) lgkmcnt(0)
	v_lshlrev_b32_e32 v19, 16, v19
	v_mul_f32_e32 v26, v5, v19
	v_and_b32_e32 v19, 0x7f800000, v26
	v_cmp_ne_u32_e32 vcc, s55, v19
                                        ; implicit-def: $vgpr19
	s_and_saveexec_b64 s[90:91], vcc
	s_xor_b64 s[90:91], exec, s[90:91]
; %bb.1547:                             ;   in Loop: Header=BB6_1534 Depth=3
	v_bfe_u32 v19, v26, 16, 1
	v_add3_u32 v19, v26, v19, s64
                                        ; implicit-def: $vgpr26
; %bb.1548:                             ;   in Loop: Header=BB6_1534 Depth=3
	s_andn2_saveexec_b64 s[90:91], s[90:91]
; %bb.1549:                             ;   in Loop: Header=BB6_1534 Depth=3
	v_or_b32_e32 v19, 0x10000, v26
	v_cmp_eq_u32_sdwa vcc, v26, v2 src0_sel:WORD_0 src1_sel:DWORD
	v_cndmask_b32_e32 v19, v19, v26, vcc
; %bb.1550:                             ;   in Loop: Header=BB6_1534 Depth=3
	s_or_b64 exec, exec, s[90:91]
	flat_load_ushort v20, v[8:9] offset:512 glc slc
                                        ; implicit-def: $vgpr26
	s_waitcnt vmcnt(0) lgkmcnt(0)
	v_lshlrev_b32_e32 v20, 16, v20
	v_mul_f32_e32 v27, v5, v20
	v_and_b32_e32 v20, 0x7f800000, v27
	v_cmp_ne_u32_e32 vcc, s55, v20
	s_and_saveexec_b64 s[90:91], vcc
	s_xor_b64 s[90:91], exec, s[90:91]
; %bb.1551:                             ;   in Loop: Header=BB6_1534 Depth=3
	v_bfe_u32 v20, v27, 16, 1
	v_add3_u32 v26, v27, v20, s64
                                        ; implicit-def: $vgpr27
; %bb.1552:                             ;   in Loop: Header=BB6_1534 Depth=3
	s_andn2_saveexec_b64 s[90:91], s[90:91]
; %bb.1553:                             ;   in Loop: Header=BB6_1534 Depth=3
	v_or_b32_e32 v20, 0x10000, v27
	v_cmp_eq_u32_sdwa vcc, v27, v2 src0_sel:WORD_0 src1_sel:DWORD
	v_cndmask_b32_e32 v26, v20, v27, vcc
; %bb.1554:                             ;   in Loop: Header=BB6_1534 Depth=3
	s_or_b64 exec, exec, s[90:91]
	flat_load_ushort v20, v[8:9] offset:640 glc slc
                                        ; implicit-def: $vgpr27
	s_waitcnt vmcnt(0) lgkmcnt(0)
	v_lshlrev_b32_e32 v20, 16, v20
	v_mul_f32_e32 v34, v5, v20
	v_and_b32_e32 v20, 0x7f800000, v34
	v_cmp_ne_u32_e32 vcc, s55, v20
	s_and_saveexec_b64 s[90:91], vcc
	s_xor_b64 s[90:91], exec, s[90:91]
; %bb.1555:                             ;   in Loop: Header=BB6_1534 Depth=3
	v_bfe_u32 v20, v34, 16, 1
	v_add3_u32 v27, v34, v20, s64
                                        ; implicit-def: $vgpr34
; %bb.1556:                             ;   in Loop: Header=BB6_1534 Depth=3
	s_andn2_saveexec_b64 s[90:91], s[90:91]
; %bb.1557:                             ;   in Loop: Header=BB6_1534 Depth=3
	v_or_b32_e32 v20, 0x10000, v34
	v_cmp_eq_u32_sdwa vcc, v34, v2 src0_sel:WORD_0 src1_sel:DWORD
	v_cndmask_b32_e32 v27, v20, v34, vcc
; %bb.1558:                             ;   in Loop: Header=BB6_1534 Depth=3
	s_or_b64 exec, exec, s[90:91]
	flat_load_ushort v20, v[8:9] offset:768 glc slc
                                        ; implicit-def: $vgpr34
	s_waitcnt vmcnt(0) lgkmcnt(0)
	v_lshlrev_b32_e32 v20, 16, v20
	v_mul_f32_e32 v35, v5, v20
	v_and_b32_e32 v20, 0x7f800000, v35
	v_cmp_ne_u32_e32 vcc, s55, v20
	s_and_saveexec_b64 s[90:91], vcc
	s_xor_b64 s[90:91], exec, s[90:91]
; %bb.1559:                             ;   in Loop: Header=BB6_1534 Depth=3
	v_bfe_u32 v20, v35, 16, 1
	v_add3_u32 v34, v35, v20, s64
                                        ; implicit-def: $vgpr35
; %bb.1560:                             ;   in Loop: Header=BB6_1534 Depth=3
	s_andn2_saveexec_b64 s[90:91], s[90:91]
; %bb.1561:                             ;   in Loop: Header=BB6_1534 Depth=3
	v_or_b32_e32 v20, 0x10000, v35
	v_cmp_eq_u32_sdwa vcc, v35, v2 src0_sel:WORD_0 src1_sel:DWORD
	v_cndmask_b32_e32 v34, v20, v35, vcc
; %bb.1562:                             ;   in Loop: Header=BB6_1534 Depth=3
	s_or_b64 exec, exec, s[90:91]
	flat_load_ushort v20, v[8:9] offset:896 glc slc
                                        ; implicit-def: $vgpr35
	s_waitcnt vmcnt(0) lgkmcnt(0)
	v_lshlrev_b32_e32 v20, 16, v20
	v_mul_f32_e32 v37, v5, v20
	v_and_b32_e32 v20, 0x7f800000, v37
	v_cmp_ne_u32_e32 vcc, s55, v20
	s_and_saveexec_b64 s[90:91], vcc
	s_xor_b64 s[90:91], exec, s[90:91]
; %bb.1563:                             ;   in Loop: Header=BB6_1534 Depth=3
	v_bfe_u32 v20, v37, 16, 1
	v_add3_u32 v35, v37, v20, s64
                                        ; implicit-def: $vgpr37
; %bb.1564:                             ;   in Loop: Header=BB6_1534 Depth=3
	s_andn2_saveexec_b64 s[90:91], s[90:91]
; %bb.1565:                             ;   in Loop: Header=BB6_1534 Depth=3
	v_or_b32_e32 v20, 0x10000, v37
	v_cmp_eq_u32_sdwa vcc, v37, v2 src0_sel:WORD_0 src1_sel:DWORD
	v_cndmask_b32_e32 v35, v20, v37, vcc
; %bb.1566:                             ;   in Loop: Header=BB6_1534 Depth=3
	s_or_b64 exec, exec, s[90:91]
	flat_load_ushort v52, v[10:11] offset:256 glc slc
	flat_load_ushort v51, v[10:11] offset:384 glc slc
	;; [unrolled: 1-line block ×3, first 2 shown]
	flat_load_ushort v20, v[10:11] glc slc
	flat_load_ushort v39, v[10:11] offset:640 glc slc
	flat_load_ushort v38, v[10:11] offset:768 glc slc
	;; [unrolled: 1-line block ×4, first 2 shown]
	v_and_b32_e32 v6, 0xffff0000, v6
	s_waitcnt vmcnt(0) lgkmcnt(0)
	v_lshlrev_b32_e32 v20, 16, v20
	v_add_f32_e32 v55, v6, v20
	v_and_b32_e32 v6, 0x7f800000, v55
	v_cmp_ne_u32_e32 vcc, s55, v6
                                        ; implicit-def: $vgpr6
	s_and_saveexec_b64 s[90:91], vcc
	s_xor_b64 s[90:91], exec, s[90:91]
; %bb.1567:                             ;   in Loop: Header=BB6_1534 Depth=3
	v_bfe_u32 v6, v55, 16, 1
	v_add3_u32 v6, v55, v6, s64
                                        ; implicit-def: $vgpr55
; %bb.1568:                             ;   in Loop: Header=BB6_1534 Depth=3
	s_andn2_saveexec_b64 s[90:91], s[90:91]
; %bb.1569:                             ;   in Loop: Header=BB6_1534 Depth=3
	v_or_b32_e32 v6, 0x10000, v55
	v_cmp_eq_u32_sdwa vcc, v55, v2 src0_sel:WORD_0 src1_sel:DWORD
	v_cndmask_b32_e32 v6, v6, v55, vcc
; %bb.1570:                             ;   in Loop: Header=BB6_1534 Depth=3
	s_or_b64 exec, exec, s[90:91]
	v_and_b32_e32 v7, 0xffff0000, v7
	v_lshlrev_b32_e32 v20, 16, v53
	v_add_f32_e32 v53, v7, v20
	v_and_b32_e32 v7, 0x7f800000, v53
	v_cmp_ne_u32_e32 vcc, s55, v7
                                        ; implicit-def: $vgpr7
	s_and_saveexec_b64 s[90:91], vcc
	s_xor_b64 s[90:91], exec, s[90:91]
; %bb.1571:                             ;   in Loop: Header=BB6_1534 Depth=3
	v_bfe_u32 v7, v53, 16, 1
	v_add3_u32 v7, v53, v7, s64
                                        ; implicit-def: $vgpr53
; %bb.1572:                             ;   in Loop: Header=BB6_1534 Depth=3
	s_andn2_saveexec_b64 s[90:91], s[90:91]
; %bb.1573:                             ;   in Loop: Header=BB6_1534 Depth=3
	v_or_b32_e32 v7, 0x10000, v53
	v_cmp_eq_u32_sdwa vcc, v53, v2 src0_sel:WORD_0 src1_sel:DWORD
	v_cndmask_b32_e32 v7, v7, v53, vcc
; %bb.1574:                             ;   in Loop: Header=BB6_1534 Depth=3
	s_or_b64 exec, exec, s[90:91]
	v_and_b32_e32 v17, 0xffff0000, v17
	v_lshlrev_b32_e32 v20, 16, v52
	v_add_f32_e32 v52, v17, v20
	v_and_b32_e32 v17, 0x7f800000, v52
	v_cmp_ne_u32_e32 vcc, s55, v17
                                        ; implicit-def: $vgpr17
	s_and_saveexec_b64 s[90:91], vcc
	s_xor_b64 s[90:91], exec, s[90:91]
; %bb.1575:                             ;   in Loop: Header=BB6_1534 Depth=3
	v_bfe_u32 v17, v52, 16, 1
	v_add3_u32 v17, v52, v17, s64
                                        ; implicit-def: $vgpr52
; %bb.1576:                             ;   in Loop: Header=BB6_1534 Depth=3
	s_andn2_saveexec_b64 s[90:91], s[90:91]
; %bb.1577:                             ;   in Loop: Header=BB6_1534 Depth=3
	v_or_b32_e32 v17, 0x10000, v52
	v_cmp_eq_u32_sdwa vcc, v52, v2 src0_sel:WORD_0 src1_sel:DWORD
	v_cndmask_b32_e32 v17, v17, v52, vcc
; %bb.1578:                             ;   in Loop: Header=BB6_1534 Depth=3
	s_or_b64 exec, exec, s[90:91]
	v_and_b32_e32 v19, 0xffff0000, v19
	v_lshlrev_b32_e32 v20, 16, v51
	v_add_f32_e32 v51, v19, v20
	v_and_b32_e32 v19, 0x7f800000, v51
	v_cmp_ne_u32_e32 vcc, s55, v19
                                        ; implicit-def: $vgpr19
	s_and_saveexec_b64 s[90:91], vcc
	s_xor_b64 s[90:91], exec, s[90:91]
; %bb.1579:                             ;   in Loop: Header=BB6_1534 Depth=3
	v_bfe_u32 v19, v51, 16, 1
	v_add3_u32 v19, v51, v19, s64
                                        ; implicit-def: $vgpr51
; %bb.1580:                             ;   in Loop: Header=BB6_1534 Depth=3
	s_andn2_saveexec_b64 s[90:91], s[90:91]
; %bb.1581:                             ;   in Loop: Header=BB6_1534 Depth=3
	v_or_b32_e32 v19, 0x10000, v51
	v_cmp_eq_u32_sdwa vcc, v51, v2 src0_sel:WORD_0 src1_sel:DWORD
	v_cndmask_b32_e32 v19, v19, v51, vcc
; %bb.1582:                             ;   in Loop: Header=BB6_1534 Depth=3
	s_or_b64 exec, exec, s[90:91]
	v_and_b32_e32 v20, 0xffff0000, v26
	v_lshlrev_b32_e32 v21, 16, v50
	v_add_f32_e32 v50, v20, v21
	v_and_b32_e32 v20, 0x7f800000, v50
	v_cmp_ne_u32_e32 vcc, s55, v20
                                        ; implicit-def: $vgpr26
	s_and_saveexec_b64 s[90:91], vcc
	s_xor_b64 s[90:91], exec, s[90:91]
; %bb.1583:                             ;   in Loop: Header=BB6_1534 Depth=3
	v_bfe_u32 v20, v50, 16, 1
	v_add3_u32 v26, v50, v20, s64
                                        ; implicit-def: $vgpr50
; %bb.1584:                             ;   in Loop: Header=BB6_1534 Depth=3
	s_andn2_saveexec_b64 s[90:91], s[90:91]
; %bb.1585:                             ;   in Loop: Header=BB6_1534 Depth=3
	v_or_b32_e32 v20, 0x10000, v50
	v_cmp_eq_u32_sdwa vcc, v50, v2 src0_sel:WORD_0 src1_sel:DWORD
	v_cndmask_b32_e32 v26, v20, v50, vcc
; %bb.1586:                             ;   in Loop: Header=BB6_1534 Depth=3
	s_or_b64 exec, exec, s[90:91]
	v_and_b32_e32 v20, 0xffff0000, v27
	v_lshlrev_b32_e32 v21, 16, v39
	v_add_f32_e32 v39, v20, v21
	v_and_b32_e32 v20, 0x7f800000, v39
	v_cmp_ne_u32_e32 vcc, s55, v20
                                        ; implicit-def: $vgpr27
	s_and_saveexec_b64 s[90:91], vcc
	s_xor_b64 s[90:91], exec, s[90:91]
; %bb.1587:                             ;   in Loop: Header=BB6_1534 Depth=3
	v_bfe_u32 v20, v39, 16, 1
	v_add3_u32 v27, v39, v20, s64
                                        ; implicit-def: $vgpr39
; %bb.1588:                             ;   in Loop: Header=BB6_1534 Depth=3
	s_andn2_saveexec_b64 s[90:91], s[90:91]
; %bb.1589:                             ;   in Loop: Header=BB6_1534 Depth=3
	v_or_b32_e32 v20, 0x10000, v39
	v_cmp_eq_u32_sdwa vcc, v39, v2 src0_sel:WORD_0 src1_sel:DWORD
	v_cndmask_b32_e32 v27, v20, v39, vcc
; %bb.1590:                             ;   in Loop: Header=BB6_1534 Depth=3
	s_or_b64 exec, exec, s[90:91]
	v_and_b32_e32 v20, 0xffff0000, v34
	v_lshlrev_b32_e32 v21, 16, v38
	v_add_f32_e32 v38, v20, v21
	v_and_b32_e32 v20, 0x7f800000, v38
	v_cmp_ne_u32_e32 vcc, s55, v20
                                        ; implicit-def: $vgpr34
	s_and_saveexec_b64 s[90:91], vcc
	s_xor_b64 s[90:91], exec, s[90:91]
; %bb.1591:                             ;   in Loop: Header=BB6_1534 Depth=3
	v_bfe_u32 v20, v38, 16, 1
	v_add3_u32 v34, v38, v20, s64
                                        ; implicit-def: $vgpr38
; %bb.1592:                             ;   in Loop: Header=BB6_1534 Depth=3
	s_andn2_saveexec_b64 s[90:91], s[90:91]
; %bb.1593:                             ;   in Loop: Header=BB6_1534 Depth=3
	v_or_b32_e32 v20, 0x10000, v38
	v_cmp_eq_u32_sdwa vcc, v38, v2 src0_sel:WORD_0 src1_sel:DWORD
	v_cndmask_b32_e32 v34, v20, v38, vcc
; %bb.1594:                             ;   in Loop: Header=BB6_1534 Depth=3
	s_or_b64 exec, exec, s[90:91]
	v_and_b32_e32 v20, 0xffff0000, v35
	v_lshlrev_b32_e32 v21, 16, v37
	v_add_f32_e32 v37, v20, v21
	v_and_b32_e32 v20, 0x7f800000, v37
	v_cmp_ne_u32_e32 vcc, s55, v20
                                        ; implicit-def: $vgpr35
	s_and_saveexec_b64 s[90:91], vcc
	s_xor_b64 s[90:91], exec, s[90:91]
; %bb.1595:                             ;   in Loop: Header=BB6_1534 Depth=3
	v_bfe_u32 v20, v37, 16, 1
	v_add3_u32 v35, v37, v20, s64
                                        ; implicit-def: $vgpr37
; %bb.1596:                             ;   in Loop: Header=BB6_1534 Depth=3
	s_andn2_saveexec_b64 s[90:91], s[90:91]
	s_cbranch_execz .LBB6_1533
; %bb.1597:                             ;   in Loop: Header=BB6_1534 Depth=3
	v_or_b32_e32 v20, 0x10000, v37
	v_cmp_eq_u32_sdwa vcc, v37, v2 src0_sel:WORD_0 src1_sel:DWORD
	v_cndmask_b32_e32 v35, v20, v37, vcc
	s_branch .LBB6_1533
.LBB6_1598:                             ;   in Loop: Header=BB6_952 Depth=2
	s_or_b64 exec, exec, s[42:43]
.LBB6_1599:                             ;   in Loop: Header=BB6_952 Depth=2
	s_or_b64 exec, exec, s[40:41]
	v_lshlrev_b32_e32 v5, 10, v18
	v_cmp_ne_u32_e32 vcc, v57, v5
	s_and_b64 exec, exec, vcc
	s_cbranch_execz .LBB6_1611
; %bb.1600:                             ;   in Loop: Header=BB6_952 Depth=2
	v_lshlrev_b32_e32 v0, 6, v0
	v_sub_u32_e32 v0, v4, v0
	v_lshlrev_b32_e32 v4, 6, v15
	v_sub_u32_e32 v0, v0, v4
	v_ashrrev_i32_e32 v4, 31, v0
	v_lshrrev_b32_e32 v4, 26, v4
	v_add_u32_e32 v4, v0, v4
	v_and_b32_e32 v6, 0x7fffffc0, v4
	v_sub_u32_e32 v0, v0, v6
	v_lshlrev_b32_e32 v4, 1, v4
	v_and_b32_e32 v4, 0xffffff80, v4
	v_lshlrev_b32_e32 v0, 1, v0
	v_add3_u32 v4, v4, v0, v5
	v_sub_u32_e32 v0, v57, v4
	v_cmp_lt_i32_e32 vcc, 1, v0
	s_and_b64 exec, exec, vcc
	s_cbranch_execz .LBB6_1611
; %bb.1601:                             ;   in Loop: Header=BB6_952 Depth=2
	v_add_u32_e32 v6, v4, v14
	s_trap 2
	ds_read_b64 v[4:5], v0
	v_ashrrev_i32_e32 v7, 31, v6
	v_add_co_u32_e32 v8, vcc, v6, v46
	v_addc_co_u32_e32 v9, vcc, v7, v47, vcc
	s_waitcnt lgkmcnt(0)
	v_add_co_u32_e32 v10, vcc, v4, v6
	v_addc_co_u32_e32 v11, vcc, v5, v7, vcc
	buffer_load_dword v4, off, s[0:3], s33 offset:176 ; 4-byte Folded Reload
	buffer_load_dword v5, off, s[0:3], s33 offset:180 ; 4-byte Folded Reload
	s_mov_b64 s[40:41], 0
	s_waitcnt vmcnt(0)
	v_add_co_u32_e32 v12, vcc, v6, v4
	ds_read_b32 v4, v0
	v_addc_co_u32_e32 v13, vcc, v7, v5, vcc
	s_waitcnt lgkmcnt(0)
	v_lshlrev_b32_e32 v4, 16, v4
	s_branch .LBB6_1603
.LBB6_1602:                             ;   in Loop: Header=BB6_1603 Depth=3
	s_or_b64 exec, exec, s[42:43]
	v_add_co_u32_e32 v8, vcc, v8, v1
	v_addc_co_u32_e32 v9, vcc, 0, v9, vcc
	v_add_co_u32_e32 v10, vcc, v10, v1
	v_addc_co_u32_e32 v11, vcc, 0, v11, vcc
	v_sub_u32_e32 v0, v0, v1
	v_cmp_gt_i32_e32 vcc, 2, v0
	flat_store_short_d16_hi v[12:13], v6 glc slc
	s_or_b64 s[40:41], vcc, s[40:41]
	v_add_co_u32_e32 v12, vcc, v12, v1
	v_addc_co_u32_e32 v13, vcc, 0, v13, vcc
	s_andn2_b64 exec, exec, s[40:41]
	s_cbranch_execz .LBB6_1611
.LBB6_1603:                             ;   Parent Loop BB6_47 Depth=1
                                        ;     Parent Loop BB6_952 Depth=2
                                        ; =>    This Inner Loop Header: Depth=3
	flat_load_ushort v5, v[8:9] glc slc
	s_waitcnt vmcnt(0) lgkmcnt(0)
	v_lshlrev_b32_e32 v5, 16, v5
	v_mul_f32_e32 v5, v4, v5
	v_and_b32_e32 v6, 0x7f800000, v5
	v_cmp_ne_u32_e32 vcc, s55, v6
                                        ; implicit-def: $vgpr6
	s_and_saveexec_b64 s[42:43], vcc
	s_xor_b64 s[42:43], exec, s[42:43]
; %bb.1604:                             ;   in Loop: Header=BB6_1603 Depth=3
	v_bfe_u32 v6, v5, 16, 1
	v_add3_u32 v6, v5, v6, s64
                                        ; implicit-def: $vgpr5
; %bb.1605:                             ;   in Loop: Header=BB6_1603 Depth=3
	s_andn2_saveexec_b64 s[42:43], s[42:43]
; %bb.1606:                             ;   in Loop: Header=BB6_1603 Depth=3
	v_or_b32_e32 v6, 0x10000, v5
	v_cmp_eq_u32_sdwa vcc, v5, v2 src0_sel:WORD_0 src1_sel:DWORD
	v_cndmask_b32_e32 v6, v6, v5, vcc
; %bb.1607:                             ;   in Loop: Header=BB6_1603 Depth=3
	s_or_b64 exec, exec, s[42:43]
	flat_load_ushort v5, v[10:11] glc slc
	v_and_b32_e32 v6, 0xffff0000, v6
	s_waitcnt vmcnt(0) lgkmcnt(0)
	v_lshlrev_b32_e32 v5, 16, v5
	v_add_f32_e32 v5, v6, v5
	v_and_b32_e32 v6, 0x7f800000, v5
	v_cmp_ne_u32_e32 vcc, s55, v6
                                        ; implicit-def: $vgpr6
	s_and_saveexec_b64 s[42:43], vcc
	s_xor_b64 s[42:43], exec, s[42:43]
; %bb.1608:                             ;   in Loop: Header=BB6_1603 Depth=3
	v_bfe_u32 v6, v5, 16, 1
	v_add3_u32 v6, v5, v6, s64
                                        ; implicit-def: $vgpr5
; %bb.1609:                             ;   in Loop: Header=BB6_1603 Depth=3
	s_andn2_saveexec_b64 s[42:43], s[42:43]
	s_cbranch_execz .LBB6_1602
; %bb.1610:                             ;   in Loop: Header=BB6_1603 Depth=3
	v_or_b32_e32 v6, 0x10000, v5
	v_cmp_eq_u32_sdwa vcc, v5, v2 src0_sel:WORD_0 src1_sel:DWORD
	v_cndmask_b32_e32 v6, v6, v5, vcc
	s_branch .LBB6_1602
.LBB6_1611:                             ;   in Loop: Header=BB6_952 Depth=2
	s_or_b64 exec, exec, s[28:29]
	v_cmp_lt_i32_e64 s[28:29], 0, v62
	s_and_saveexec_b64 s[40:41], s[10:11]
	s_cbranch_execz .LBB6_1028
.LBB6_1612:                             ;   in Loop: Header=BB6_952 Depth=2
	s_and_saveexec_b64 s[42:43], s[56:57]
	s_xor_b64 s[42:43], exec, s[42:43]
	s_cbranch_execz .LBB6_1627
; %bb.1613:                             ;   in Loop: Header=BB6_952 Depth=2
	s_and_saveexec_b64 s[90:91], s[16:17]
	s_cbranch_execz .LBB6_1626
; %bb.1614:                             ;   in Loop: Header=BB6_952 Depth=2
	s_mov_b64 s[94:95], exec
	v_mbcnt_lo_u32_b32 v0, s94, 0
	v_mbcnt_hi_u32_b32 v0, s95, v0
	v_cmp_eq_u32_e32 vcc, 0, v0
	s_waitcnt vmcnt(0) lgkmcnt(0)
	buffer_wbinvl1_vol
	s_and_saveexec_b64 s[92:93], vcc
	s_cbranch_execz .LBB6_1616
; %bb.1615:                             ;   in Loop: Header=BB6_952 Depth=2
	s_bcnt1_i32_b64 s94, s[94:95]
	v_mov_b32_e32 v4, s94
	v_mov_b32_e32 v5, v2
	ds_add_u64 v0, v[4:5]
	s_trap 2
.LBB6_1616:                             ;   in Loop: Header=BB6_952 Depth=2
	s_or_b64 exec, exec, s[92:93]
	s_trap 2
	ds_read_b64 v[4:5], v0
	s_waitcnt lgkmcnt(0)
	v_add_co_u32_e32 v32, vcc, v32, v16
	v_addc_co_u32_e32 v33, vcc, 0, v33, vcc
	v_cmp_lt_u64_e32 vcc, v[4:5], v[32:33]
	s_and_saveexec_b64 s[92:93], vcc
	s_cbranch_execz .LBB6_1625
; %bb.1617:                             ;   in Loop: Header=BB6_952 Depth=2
	s_mov_b32 s48, 0
	s_mov_b64 s[94:95], 0
                                        ; implicit-def: $sgpr30_sgpr31
                                        ; implicit-def: $sgpr34_sgpr35
	s_branch .LBB6_1619
.LBB6_1618:                             ;   in Loop: Header=BB6_1619 Depth=3
	s_or_b64 exec, exec, s[38:39]
	s_and_b64 vcc, exec, vcc
	s_or_b64 s[94:95], vcc, s[94:95]
	s_andn2_b64 vcc, s[30:31], exec
	s_and_b64 s[30:31], s[34:35], exec
	s_or_b64 s[30:31], vcc, s[30:31]
	s_andn2_b64 exec, exec, s[94:95]
	s_cbranch_execz .LBB6_1623
.LBB6_1619:                             ;   Parent Loop BB6_47 Depth=1
                                        ;     Parent Loop BB6_952 Depth=2
                                        ; =>    This Inner Loop Header: Depth=3
	s_add_i32 s48, s48, 1
	s_cmpk_lg_i32 s48, 0x2710
	s_cselect_b64 s[36:37], -1, 0
	s_and_b64 vcc, exec, s[36:37]
	s_cbranch_vccz .LBB6_1621
; %bb.1620:                             ;   in Loop: Header=BB6_1619 Depth=3
	s_mov_b64 vcc, -1
	s_or_b64 s[34:35], s[34:35], exec
	s_and_saveexec_b64 s[38:39], s[36:37]
	s_cbranch_execz .LBB6_1618
	s_branch .LBB6_1622
.LBB6_1621:                             ;   in Loop: Header=BB6_1619 Depth=3
	s_trap 2
	ds_read_b64 v[4:5], v0
	s_andn2_b64 s[36:37], s[36:37], exec
	s_mov_b32 s48, 0
	s_waitcnt lgkmcnt(0)
	flat_load_dword v0, v[4:5] glc
	s_waitcnt vmcnt(0) lgkmcnt(0)
	buffer_wbinvl1_vol
	v_cmp_eq_u32_e32 vcc, 0, v0
	s_and_b64 vcc, vcc, exec
	s_or_b64 s[36:37], s[36:37], vcc
	s_mov_b64 vcc, -1
	s_or_b64 s[34:35], s[34:35], exec
	s_and_saveexec_b64 s[38:39], s[36:37]
	s_cbranch_execz .LBB6_1618
.LBB6_1622:                             ;   in Loop: Header=BB6_1619 Depth=3
	s_sleep 1
	s_trap 2
	ds_read_b64 v[4:5], v0
	s_waitcnt lgkmcnt(0)
	s_andn2_b64 s[34:35], s[34:35], exec
	v_cmp_ge_u64_e32 vcc, v[4:5], v[32:33]
	s_orn2_b64 vcc, vcc, exec
	s_branch .LBB6_1618
.LBB6_1623:                             ;   in Loop: Header=BB6_952 Depth=2
	s_or_b64 exec, exec, s[94:95]
	s_and_saveexec_b64 s[94:95], s[30:31]
	s_xor_b64 s[94:95], exec, s[94:95]
	s_cbranch_execz .LBB6_1625
; %bb.1624:                             ;   in Loop: Header=BB6_952 Depth=2
	v_mov_b32_e32 v0, 1
	ds_write_b32 v0, v0
	s_trap 2
.LBB6_1625:                             ;   in Loop: Header=BB6_952 Depth=2
	s_or_b64 exec, exec, s[92:93]
	;;#ASMSTART
	s_wakeup
	;;#ASMEND
.LBB6_1626:                             ;   in Loop: Header=BB6_952 Depth=2
	s_or_b64 exec, exec, s[90:91]
.LBB6_1627:                             ;   in Loop: Header=BB6_952 Depth=2
	s_andn2_saveexec_b64 s[42:43], s[42:43]
	s_cbranch_execz .LBB6_1629
; %bb.1628:                             ;   in Loop: Header=BB6_952 Depth=2
	s_waitcnt vmcnt(0) lgkmcnt(0)
	buffer_wbinvl1_vol
	s_barrier
.LBB6_1629:                             ;   in Loop: Header=BB6_952 Depth=2
	s_or_b64 exec, exec, s[42:43]
	s_or_b64 exec, exec, s[40:41]
                                        ; implicit-def: $vgpr0
	s_and_saveexec_b64 s[40:41], s[24:25]
	s_xor_b64 s[40:41], exec, s[40:41]
	s_cbranch_execnz .LBB6_1029
.LBB6_1630:                             ;   in Loop: Header=BB6_952 Depth=2
	s_andn2_saveexec_b64 s[28:29], s[40:41]
	s_cbranch_execz .LBB6_1649
.LBB6_1631:                             ;   in Loop: Header=BB6_952 Depth=2
	s_and_saveexec_b64 s[40:41], s[56:57]
	s_xor_b64 s[40:41], exec, s[40:41]
	s_cbranch_execz .LBB6_1646
; %bb.1632:                             ;   in Loop: Header=BB6_952 Depth=2
	s_and_saveexec_b64 s[42:43], s[16:17]
	s_cbranch_execz .LBB6_1645
; %bb.1633:                             ;   in Loop: Header=BB6_952 Depth=2
	s_mov_b64 s[92:93], exec
	v_mbcnt_lo_u32_b32 v0, s92, 0
	v_mbcnt_hi_u32_b32 v0, s93, v0
	v_cmp_eq_u32_e32 vcc, 0, v0
	;;#ASMSTART
	s_waitcnt lgkmcnt(0) vmcnt(0)
	;;#ASMEND
	s_and_saveexec_b64 s[90:91], vcc
	s_cbranch_execz .LBB6_1635
; %bb.1634:                             ;   in Loop: Header=BB6_952 Depth=2
	s_bcnt1_i32_b64 s92, s[92:93]
	v_mov_b32_e32 v4, s92
	v_mov_b32_e32 v5, v2
	s_waitcnt lgkmcnt(0)
	ds_add_u64 v0, v[4:5]
	s_trap 2
.LBB6_1635:                             ;   in Loop: Header=BB6_952 Depth=2
	s_or_b64 exec, exec, s[90:91]
	s_trap 2
	ds_read_b64 v[4:5], v0
	s_waitcnt lgkmcnt(0)
	v_add_co_u32_e32 v32, vcc, v32, v16
	v_addc_co_u32_e32 v33, vcc, 0, v33, vcc
	v_cmp_lt_u64_e32 vcc, v[4:5], v[32:33]
	s_and_saveexec_b64 s[90:91], vcc
	s_cbranch_execz .LBB6_1644
; %bb.1636:                             ;   in Loop: Header=BB6_952 Depth=2
	s_mov_b32 s38, 0
	s_mov_b64 s[92:93], 0
                                        ; implicit-def: $sgpr94_sgpr95
                                        ; implicit-def: $sgpr30_sgpr31
	s_branch .LBB6_1638
.LBB6_1637:                             ;   in Loop: Header=BB6_1638 Depth=3
	s_or_b64 exec, exec, s[36:37]
	s_and_b64 vcc, exec, vcc
	s_or_b64 s[92:93], vcc, s[92:93]
	s_andn2_b64 s[94:95], s[94:95], exec
	s_and_b64 vcc, s[30:31], exec
	s_or_b64 s[94:95], s[94:95], vcc
	s_andn2_b64 exec, exec, s[92:93]
	s_cbranch_execz .LBB6_1642
.LBB6_1638:                             ;   Parent Loop BB6_47 Depth=1
                                        ;     Parent Loop BB6_952 Depth=2
                                        ; =>    This Inner Loop Header: Depth=3
	s_add_i32 s38, s38, 1
	s_cmpk_lg_i32 s38, 0x2710
	s_cselect_b64 s[34:35], -1, 0
	s_and_b64 vcc, exec, s[34:35]
	s_cbranch_vccz .LBB6_1640
; %bb.1639:                             ;   in Loop: Header=BB6_1638 Depth=3
	s_mov_b64 vcc, -1
	s_or_b64 s[30:31], s[30:31], exec
	s_and_saveexec_b64 s[36:37], s[34:35]
	s_cbranch_execz .LBB6_1637
	s_branch .LBB6_1641
.LBB6_1640:                             ;   in Loop: Header=BB6_1638 Depth=3
	s_trap 2
	ds_read_b64 v[4:5], v0
	s_andn2_b64 s[34:35], s[34:35], exec
	s_mov_b32 s38, 0
	s_waitcnt vmcnt(0) lgkmcnt(0)
	flat_load_dword v0, v[4:5] glc
	s_waitcnt vmcnt(0) lgkmcnt(0)
	buffer_wbinvl1_vol
	v_cmp_eq_u32_e32 vcc, 0, v0
	s_and_b64 vcc, vcc, exec
	s_or_b64 s[34:35], s[34:35], vcc
	s_mov_b64 vcc, -1
	s_or_b64 s[30:31], s[30:31], exec
	s_and_saveexec_b64 s[36:37], s[34:35]
	s_cbranch_execz .LBB6_1637
.LBB6_1641:                             ;   in Loop: Header=BB6_1638 Depth=3
	s_sleep 1
	s_trap 2
	ds_read_b64 v[4:5], v0
	s_waitcnt lgkmcnt(0)
	s_andn2_b64 s[30:31], s[30:31], exec
	v_cmp_ge_u64_e32 vcc, v[4:5], v[32:33]
	s_orn2_b64 vcc, vcc, exec
	s_branch .LBB6_1637
.LBB6_1642:                             ;   in Loop: Header=BB6_952 Depth=2
	s_or_b64 exec, exec, s[92:93]
	s_and_saveexec_b64 s[92:93], s[94:95]
	s_xor_b64 s[92:93], exec, s[92:93]
	s_cbranch_execz .LBB6_1644
; %bb.1643:                             ;   in Loop: Header=BB6_952 Depth=2
	v_mov_b32_e32 v0, 1
	ds_write_b32 v0, v0
	s_trap 2
.LBB6_1644:                             ;   in Loop: Header=BB6_952 Depth=2
	s_or_b64 exec, exec, s[90:91]
	;;#ASMSTART
	s_wakeup
	;;#ASMEND
.LBB6_1645:                             ;   in Loop: Header=BB6_952 Depth=2
	s_or_b64 exec, exec, s[42:43]
.LBB6_1646:                             ;   in Loop: Header=BB6_952 Depth=2
	s_andn2_saveexec_b64 s[40:41], s[40:41]
	s_cbranch_execz .LBB6_1648
; %bb.1647:                             ;   in Loop: Header=BB6_952 Depth=2
	;;#ASMSTART
	s_waitcnt lgkmcnt(0) vmcnt(0)
	;;#ASMEND
	s_waitcnt vmcnt(0) lgkmcnt(0)
	s_barrier
.LBB6_1648:                             ;   in Loop: Header=BB6_952 Depth=2
	s_or_b64 exec, exec, s[40:41]
	v_and_b32_e32 v0, 16, v30
.LBB6_1649:                             ;   in Loop: Header=BB6_952 Depth=2
	s_or_b64 exec, exec, s[28:29]
	v_cmp_ne_u32_e32 vcc, 0, v0
	s_xor_b64 s[28:29], s[12:13], -1
	s_and_b64 s[40:41], vcc, s[28:29]
	s_and_saveexec_b64 s[28:29], s[40:41]
	s_cbranch_execz .LBB6_1651
; %bb.1650:                             ;   in Loop: Header=BB6_952 Depth=2
	buffer_load_dword v4, off, s[0:3], s33 offset:68 ; 4-byte Folded Reload
	buffer_load_dword v5, off, s[0:3], s33 offset:72 ; 4-byte Folded Reload
	v_mov_b32_e32 v0, 1
	s_waitcnt vmcnt(0)
	flat_store_dword v[4:5], v0
.LBB6_1651:                             ;   in Loop: Header=BB6_952 Depth=2
	s_or_b64 exec, exec, s[28:29]
	v_and_b32_e32 v0, 48, v30
	v_cmp_ne_u32_e32 vcc, 0, v0
	s_and_saveexec_b64 s[28:29], vcc
	s_cbranch_execz .LBB6_951
; %bb.1652:                             ;   in Loop: Header=BB6_952 Depth=2
	v_add_co_u32_e32 v48, vcc, 2, v48
	v_addc_co_u32_e32 v49, vcc, 0, v49, vcc
	flat_store_dwordx2 v[22:23], v[48:49]
	s_branch .LBB6_951
.LBB6_1653:                             ;   in Loop: Header=BB6_47 Depth=1
	s_or_b64 exec, exec, s[76:77]
	v_cmp_gt_i32_e32 vcc, 2, v0
	s_and_saveexec_b64 s[40:41], vcc
	s_cbranch_execz .LBB6_1729
.LBB6_1654:                             ;   in Loop: Header=BB6_47 Depth=1
	v_cmp_eq_u32_e64 s[76:77], 0, v0
	s_mov_b64 s[42:43], 0
	s_branch .LBB6_1656
.LBB6_1655:                             ;   in Loop: Header=BB6_1656 Depth=2
	s_or_b64 exec, exec, s[28:29]
	v_add_u32_e32 v40, v54, v40
	s_mov_b64 s[76:77], 0
	s_andn2_b64 exec, exec, s[42:43]
	s_cbranch_execz .LBB6_1730
.LBB6_1656:                             ;   Parent Loop BB6_47 Depth=1
                                        ; =>  This Loop Header: Depth=2
                                        ;       Child Loop BB6_1662 Depth 3
                                        ;       Child Loop BB6_1690 Depth 3
	;; [unrolled: 1-line block ×3, first 2 shown]
	v_sub_u32_e32 v0, v3, v40
	v_min_i32_e32 v54, v54, v0
	v_and_b32_e32 v0, 12, v30
	v_cmp_ne_u32_e32 vcc, 0, v0
	s_and_saveexec_b64 s[78:79], vcc
	s_cbranch_execz .LBB6_1682
; %bb.1657:                             ;   in Loop: Header=BB6_1656 Depth=2
	v_and_b32_e32 v0, 8, v30
	s_waitcnt lgkmcnt(0)
	v_add_co_u32_e32 v4, vcc, v28, v0
	v_addc_co_u32_e32 v5, vcc, 0, v29, vcc
	v_add_co_u32_e32 v8, vcc, 2, v48
	v_addc_co_u32_e32 v9, vcc, 0, v49, vcc
	v_cmp_lt_u64_e32 vcc, v[4:5], v[8:9]
	s_and_saveexec_b64 s[88:89], vcc
	s_cbranch_execz .LBB6_1669
; %bb.1658:                             ;   in Loop: Header=BB6_1656 Depth=2
	v_and_b32_e32 v4, 64, v30
	s_mov_b32 s75, 0
	v_cmp_eq_u32_e32 vcc, 0, v4
	s_mov_b64 s[90:91], 0
                                        ; implicit-def: $sgpr92_sgpr93
                                        ; implicit-def: $sgpr94_sgpr95
                                        ; implicit-def: $sgpr30_sgpr31
	s_branch .LBB6_1662
.LBB6_1659:                             ;   in Loop: Header=BB6_1662 Depth=3
	s_waitcnt vmcnt(0) lgkmcnt(0)
	v_add_co_u32_e64 v5, s[28:29], v28, v0
	v_addc_co_u32_e64 v6, s[28:29], 0, v29, s[28:29]
	v_cmp_ge_u64_e64 s[28:29], v[5:6], v[8:9]
	s_or_b64 s[38:39], s[38:39], exec
	s_orn2_b64 s[36:37], s[28:29], exec
.LBB6_1660:                             ;   in Loop: Header=BB6_1662 Depth=3
	s_or_b64 exec, exec, s[50:51]
	s_andn2_b64 s[28:29], s[30:31], exec
	s_and_b64 s[30:31], s[38:39], exec
	s_or_b64 s[30:31], s[28:29], s[30:31]
	s_andn2_b64 s[28:29], s[94:95], exec
	s_and_b64 s[94:95], s[36:37], exec
	s_or_b64 s[94:95], s[28:29], s[94:95]
.LBB6_1661:                             ;   in Loop: Header=BB6_1662 Depth=3
	s_or_b64 exec, exec, s[34:35]
	s_and_b64 s[28:29], exec, s[94:95]
	s_or_b64 s[90:91], s[28:29], s[90:91]
	s_andn2_b64 s[28:29], s[92:93], exec
	s_and_b64 s[92:93], s[30:31], exec
	s_or_b64 s[92:93], s[28:29], s[92:93]
	s_andn2_b64 exec, exec, s[90:91]
	s_cbranch_execz .LBB6_1666
.LBB6_1662:                             ;   Parent Loop BB6_47 Depth=1
                                        ;     Parent Loop BB6_1656 Depth=2
                                        ; =>    This Inner Loop Header: Depth=3
	s_sleep 1
	s_waitcnt vmcnt(0) lgkmcnt(0)
	flat_load_dwordx2 v[28:29], v[22:23] glc
	s_or_b64 s[30:31], s[30:31], exec
	s_or_b64 s[94:95], s[94:95], exec
                                        ; implicit-def: $vgpr4
	s_and_saveexec_b64 s[34:35], vcc
	s_cbranch_execz .LBB6_1661
; %bb.1663:                             ;   in Loop: Header=BB6_1662 Depth=3
	s_cmpk_lt_i32 s75, 0x270f
	s_cselect_b64 s[48:49], -1, 0
	s_cmpk_gt_i32 s75, 0x270e
	s_mov_b64 s[36:37], -1
	s_cbranch_scc0 .LBB6_1665
; %bb.1664:                             ;   in Loop: Header=BB6_1662 Depth=3
	s_trap 2
	ds_read_b64 v[4:5], v0
	s_andn2_b64 s[48:49], s[48:49], exec
	s_mov_b32 s75, 0
	s_mov_b64 s[38:39], 0
	s_waitcnt vmcnt(0) lgkmcnt(0)
	flat_load_dword v4, v[4:5] glc
	s_waitcnt vmcnt(0) lgkmcnt(0)
	buffer_wbinvl1_vol
	v_cmp_eq_u32_e64 s[28:29], 0, v4
	s_and_b64 s[28:29], s[28:29], exec
	s_or_b64 s[48:49], s[48:49], s[28:29]
	s_and_saveexec_b64 s[50:51], s[48:49]
	s_cbranch_execz .LBB6_1660
	s_branch .LBB6_1659
.LBB6_1665:                             ;   in Loop: Header=BB6_1662 Depth=3
	s_add_i32 s75, s75, 1
	s_mov_b64 s[38:39], -1
                                        ; implicit-def: $vgpr4
	s_and_saveexec_b64 s[50:51], s[48:49]
	s_cbranch_execz .LBB6_1660
	s_branch .LBB6_1659
.LBB6_1666:                             ;   in Loop: Header=BB6_1656 Depth=2
	s_or_b64 exec, exec, s[90:91]
	s_xor_b64 s[28:29], s[92:93], -1
	s_and_saveexec_b64 s[90:91], s[28:29]
	s_xor_b64 s[28:29], exec, s[90:91]
	s_cbranch_execz .LBB6_1668
; %bb.1667:                             ;   in Loop: Header=BB6_1656 Depth=2
	v_or_b32_e32 v30, 64, v30
	s_waitcnt lgkmcnt(0)
	ds_write_b32 v0, v4
	s_trap 2
.LBB6_1668:                             ;   in Loop: Header=BB6_1656 Depth=2
	s_or_b64 exec, exec, s[28:29]
.LBB6_1669:                             ;   in Loop: Header=BB6_1656 Depth=2
	s_or_b64 exec, exec, s[88:89]
	v_and_b32_e32 v4, 0x108, v30
	v_cmp_ne_u32_e32 vcc, s66, v4
	;;#ASMSTART
	s_wakeup
	;;#ASMEND
                                        ; implicit-def: $vgpr10_vgpr11
	s_and_saveexec_b64 s[28:29], vcc
	s_xor_b64 s[28:29], exec, s[28:29]
; %bb.1670:                             ;   in Loop: Header=BB6_1656 Depth=2
	v_and_b32_e32 v10, 7, v48
	v_mov_b32_e32 v11, v2
                                        ; implicit-def: $vgpr48_vgpr49
; %bb.1671:                             ;   in Loop: Header=BB6_1656 Depth=2
	s_andn2_saveexec_b64 s[28:29], s[28:29]
	s_cbranch_execz .LBB6_1673
; %bb.1672:                             ;   in Loop: Header=BB6_1656 Depth=2
	v_and_b32_e32 v10, 7, v48
	s_waitcnt vmcnt(0)
	v_mad_u64_u32 v[4:5], s[88:89], v10, 24, v[58:59]
	v_ashrrev_i32_e32 v55, 31, v54
	v_lshlrev_b64 v[6:7], 1, v[54:55]
	v_mov_b32_e32 v11, v2
	flat_store_dwordx2 v[4:5], v[6:7] offset:8
.LBB6_1673:                             ;   in Loop: Header=BB6_1656 Depth=2
	s_or_b64 exec, exec, s[28:29]
	v_and_b32_e32 v4, 0x100, v30
	v_cmp_ne_u32_e32 vcc, 0, v4
	s_mov_b64 s[28:29], -1
                                        ; implicit-def: $vgpr12_vgpr13
	s_and_saveexec_b64 s[88:89], vcc
	s_cbranch_execz .LBB6_1677
; %bb.1674:                             ;   in Loop: Header=BB6_1656 Depth=2
	s_waitcnt vmcnt(0)
	v_mad_u64_u32 v[14:15], s[28:29], v10, 24, v[58:59]
                                        ; implicit-def: $vgpr12_vgpr13
	v_mov_b32_e32 v4, v15
	v_mad_u64_u32 v[4:5], s[28:29], v11, 24, v[4:5]
	v_mov_b32_e32 v15, v4
	flat_load_dword v4, v[14:15]
	s_waitcnt vmcnt(0) lgkmcnt(0)
	v_cmp_ne_u32_e32 vcc, 1, v4
	v_cmp_eq_u32_e64 s[28:29], 1, v4
	s_and_saveexec_b64 s[90:91], s[28:29]
	s_cbranch_execz .LBB6_1676
; %bb.1675:                             ;   in Loop: Header=BB6_1656 Depth=2
	flat_load_dword v4, v[14:15] offset:4 glc
	s_waitcnt vmcnt(0) lgkmcnt(0)
	v_ashrrev_i32_e32 v5, 31, v4
	v_lshrrev_b64 v[12:13], 1, v[4:5]
.LBB6_1676:                             ;   in Loop: Header=BB6_1656 Depth=2
	s_or_b64 exec, exec, s[90:91]
	s_orn2_b64 s[28:29], vcc, exec
.LBB6_1677:                             ;   in Loop: Header=BB6_1656 Depth=2
	s_or_b64 exec, exec, s[88:89]
	s_and_saveexec_b64 s[88:89], s[28:29]
	s_cbranch_execz .LBB6_1679
; %bb.1678:                             ;   in Loop: Header=BB6_1656 Depth=2
	buffer_load_dword v6, off, s[0:3], s33 offset:76 ; 4-byte Folded Reload
	buffer_load_dword v5, off, s[0:3], s33 offset:92 ; 4-byte Folded Reload
	s_waitcnt vmcnt(0)
	v_mul_lo_u32 v4, v11, v6
	v_mul_lo_u32 v5, v10, v5
	v_mad_u64_u32 v[12:13], s[28:29], v10, v6, 0
	v_add3_u32 v13, v13, v5, v4
.LBB6_1679:                             ;   in Loop: Header=BB6_1656 Depth=2
	s_or_b64 exec, exec, s[88:89]
	buffer_load_dword v6, off, s[0:3], s33 offset:60 ; 4-byte Folded Reload
	buffer_load_dword v7, off, s[0:3], s33 offset:64 ; 4-byte Folded Reload
	v_cmp_eq_u32_e32 vcc, 0, v0
	v_mov_b32_e32 v0, 0x90
	v_mov_b32_e32 v4, 0xd0
	v_cndmask_b32_e32 v0, v4, v0, vcc
	v_lshlrev_b64 v[4:5], 1, v[12:13]
	v_add_u32_e32 v0, v0, v0
	s_waitcnt vmcnt(0)
	v_add_co_u32_e32 v4, vcc, v6, v4
	v_addc_co_u32_e32 v5, vcc, v7, v5, vcc
	ds_write_b64 v0, v[4:5] offset:584
	v_and_b32_e32 v0, 0x2000, v30
	v_cmp_ne_u32_e32 vcc, 0, v0
	s_and_saveexec_b64 s[28:29], vcc
	s_cbranch_execz .LBB6_1681
; %bb.1680:                             ;   in Loop: Header=BB6_1656 Depth=2
	ds_read_b64 v[4:5], v0 offset:872
	s_waitcnt lgkmcnt(0)
	v_add_co_u32_e32 v4, vcc, 1, v4
	v_addc_co_u32_e32 v5, vcc, 0, v5, vcc
	ds_write_b64 v0, v[4:5] offset:872
.LBB6_1681:                             ;   in Loop: Header=BB6_1656 Depth=2
	s_or_b64 exec, exec, s[28:29]
	v_mov_b32_e32 v49, v9
	v_mov_b32_e32 v48, v8
.LBB6_1682:                             ;   in Loop: Header=BB6_1656 Depth=2
	s_or_b64 exec, exec, s[78:79]
	s_xor_b64 s[28:29], s[76:77], -1
	s_and_b64 s[28:29], exec, s[28:29]
	s_or_b64 s[42:43], s[28:29], s[42:43]
	s_and_saveexec_b64 s[28:29], s[10:11]
	s_cbranch_execz .LBB6_1701
; %bb.1683:                             ;   in Loop: Header=BB6_1656 Depth=2
	s_and_saveexec_b64 s[76:77], s[56:57]
	s_xor_b64 s[76:77], exec, s[76:77]
	s_cbranch_execz .LBB6_1698
; %bb.1684:                             ;   in Loop: Header=BB6_1656 Depth=2
	s_and_saveexec_b64 s[78:79], s[16:17]
	s_cbranch_execz .LBB6_1697
; %bb.1685:                             ;   in Loop: Header=BB6_1656 Depth=2
	s_mov_b64 s[90:91], exec
	v_mbcnt_lo_u32_b32 v0, s90, 0
	v_mbcnt_hi_u32_b32 v0, s91, v0
	v_cmp_eq_u32_e32 vcc, 0, v0
	s_waitcnt vmcnt(0) lgkmcnt(0)
	buffer_wbinvl1_vol
	s_and_saveexec_b64 s[88:89], vcc
	s_cbranch_execz .LBB6_1687
; %bb.1686:                             ;   in Loop: Header=BB6_1656 Depth=2
	s_bcnt1_i32_b64 s75, s[90:91]
	v_mov_b32_e32 v4, s75
	v_mov_b32_e32 v5, v2
	ds_add_u64 v0, v[4:5]
	s_trap 2
.LBB6_1687:                             ;   in Loop: Header=BB6_1656 Depth=2
	s_or_b64 exec, exec, s[88:89]
	s_trap 2
	ds_read_b64 v[4:5], v0
	s_waitcnt lgkmcnt(0)
	v_add_co_u32_e32 v32, vcc, v32, v16
	v_addc_co_u32_e32 v33, vcc, 0, v33, vcc
	v_cmp_lt_u64_e32 vcc, v[4:5], v[32:33]
	s_and_saveexec_b64 s[88:89], vcc
	s_cbranch_execz .LBB6_1696
; %bb.1688:                             ;   in Loop: Header=BB6_1656 Depth=2
	s_mov_b32 s75, 0
	s_mov_b64 s[90:91], 0
                                        ; implicit-def: $sgpr92_sgpr93
                                        ; implicit-def: $sgpr94_sgpr95
	s_branch .LBB6_1690
.LBB6_1689:                             ;   in Loop: Header=BB6_1690 Depth=3
	s_or_b64 exec, exec, s[34:35]
	s_and_b64 vcc, exec, vcc
	s_or_b64 s[90:91], vcc, s[90:91]
	s_andn2_b64 s[92:93], s[92:93], exec
	s_and_b64 vcc, s[94:95], exec
	s_or_b64 s[92:93], s[92:93], vcc
	s_andn2_b64 exec, exec, s[90:91]
	s_cbranch_execz .LBB6_1694
.LBB6_1690:                             ;   Parent Loop BB6_47 Depth=1
                                        ;     Parent Loop BB6_1656 Depth=2
                                        ; =>    This Inner Loop Header: Depth=3
	s_add_i32 s75, s75, 1
	s_cmpk_lg_i32 s75, 0x2710
	s_cselect_b64 s[30:31], -1, 0
	s_and_b64 vcc, exec, s[30:31]
	s_cbranch_vccz .LBB6_1692
; %bb.1691:                             ;   in Loop: Header=BB6_1690 Depth=3
	s_mov_b64 vcc, -1
	s_or_b64 s[94:95], s[94:95], exec
	s_and_saveexec_b64 s[34:35], s[30:31]
	s_cbranch_execz .LBB6_1689
	s_branch .LBB6_1693
.LBB6_1692:                             ;   in Loop: Header=BB6_1690 Depth=3
	s_trap 2
	ds_read_b64 v[4:5], v0
	s_andn2_b64 s[30:31], s[30:31], exec
	s_mov_b32 s75, 0
	s_waitcnt lgkmcnt(0)
	flat_load_dword v0, v[4:5] glc
	s_waitcnt vmcnt(0) lgkmcnt(0)
	buffer_wbinvl1_vol
	v_cmp_eq_u32_e32 vcc, 0, v0
	s_and_b64 vcc, vcc, exec
	s_or_b64 s[30:31], s[30:31], vcc
	s_mov_b64 vcc, -1
	s_or_b64 s[94:95], s[94:95], exec
	s_and_saveexec_b64 s[34:35], s[30:31]
	s_cbranch_execz .LBB6_1689
.LBB6_1693:                             ;   in Loop: Header=BB6_1690 Depth=3
	s_sleep 1
	s_trap 2
	ds_read_b64 v[4:5], v0
	s_waitcnt lgkmcnt(0)
	s_andn2_b64 s[94:95], s[94:95], exec
	v_cmp_ge_u64_e32 vcc, v[4:5], v[32:33]
	s_orn2_b64 vcc, vcc, exec
	s_branch .LBB6_1689
.LBB6_1694:                             ;   in Loop: Header=BB6_1656 Depth=2
	s_or_b64 exec, exec, s[90:91]
	s_and_saveexec_b64 s[90:91], s[92:93]
	s_xor_b64 s[90:91], exec, s[90:91]
	s_cbranch_execz .LBB6_1696
; %bb.1695:                             ;   in Loop: Header=BB6_1656 Depth=2
	v_mov_b32_e32 v0, 1
	ds_write_b32 v0, v0
	s_trap 2
.LBB6_1696:                             ;   in Loop: Header=BB6_1656 Depth=2
	s_or_b64 exec, exec, s[88:89]
	;;#ASMSTART
	s_wakeup
	;;#ASMEND
.LBB6_1697:                             ;   in Loop: Header=BB6_1656 Depth=2
	s_or_b64 exec, exec, s[78:79]
.LBB6_1698:                             ;   in Loop: Header=BB6_1656 Depth=2
	s_andn2_saveexec_b64 s[76:77], s[76:77]
	s_cbranch_execz .LBB6_1700
; %bb.1699:                             ;   in Loop: Header=BB6_1656 Depth=2
	s_waitcnt vmcnt(0) lgkmcnt(0)
	buffer_wbinvl1_vol
	s_barrier
.LBB6_1700:                             ;   in Loop: Header=BB6_1656 Depth=2
	s_or_b64 exec, exec, s[76:77]
.LBB6_1701:                             ;   in Loop: Header=BB6_1656 Depth=2
	s_or_b64 exec, exec, s[28:29]
                                        ; implicit-def: $vgpr0
	s_and_saveexec_b64 s[28:29], s[24:25]
	s_xor_b64 s[28:29], exec, s[28:29]
	s_cbranch_execz .LBB6_1705
; %bb.1702:                             ;   in Loop: Header=BB6_1656 Depth=2
	s_trap 2
	ds_read_b32 v0, v0
	v_cmp_lt_i32_e32 vcc, 0, v54
	v_and_b32_e32 v4, 16, v30
	s_waitcnt lgkmcnt(0)
	v_readfirstlane_b32 s75, v0
	s_cmp_eq_u32 s75, 0
	s_cselect_b64 s[76:77], -1, 0
	s_and_b64 s[76:77], vcc, s[76:77]
	v_cmp_ne_u32_e32 vcc, 0, v4
	v_and_b32_e32 v0, 16, v30
	s_and_b64 s[78:79], vcc, s[76:77]
	s_and_saveexec_b64 s[76:77], s[78:79]
	s_cbranch_execz .LBB6_1704
; %bb.1703:                             ;   in Loop: Header=BB6_1656 Depth=2
	v_mov_b32_e32 v0, 1
	s_waitcnt vmcnt(0)
	buffer_wbinvl1_vol
.LBB6_1704:                             ;   in Loop: Header=BB6_1656 Depth=2
	s_or_b64 exec, exec, s[76:77]
	s_andn2_saveexec_b64 s[28:29], s[28:29]
	s_cbranch_execz .LBB6_1724
	s_branch .LBB6_1706
.LBB6_1705:                             ;   in Loop: Header=BB6_1656 Depth=2
	s_andn2_saveexec_b64 s[28:29], s[28:29]
	s_cbranch_execz .LBB6_1724
.LBB6_1706:                             ;   in Loop: Header=BB6_1656 Depth=2
	s_and_saveexec_b64 s[76:77], s[56:57]
	s_xor_b64 s[76:77], exec, s[76:77]
	s_cbranch_execz .LBB6_1721
; %bb.1707:                             ;   in Loop: Header=BB6_1656 Depth=2
	s_and_saveexec_b64 s[78:79], s[16:17]
	s_cbranch_execz .LBB6_1720
; %bb.1708:                             ;   in Loop: Header=BB6_1656 Depth=2
	s_mov_b64 s[90:91], exec
	v_mbcnt_lo_u32_b32 v0, s90, 0
	v_mbcnt_hi_u32_b32 v0, s91, v0
	v_cmp_eq_u32_e32 vcc, 0, v0
	;;#ASMSTART
	s_waitcnt lgkmcnt(0) vmcnt(0)
	;;#ASMEND
	s_and_saveexec_b64 s[88:89], vcc
	s_cbranch_execz .LBB6_1710
; %bb.1709:                             ;   in Loop: Header=BB6_1656 Depth=2
	s_bcnt1_i32_b64 s75, s[90:91]
	v_mov_b32_e32 v4, s75
	v_mov_b32_e32 v5, v2
	s_waitcnt lgkmcnt(0)
	ds_add_u64 v0, v[4:5]
	s_trap 2
.LBB6_1710:                             ;   in Loop: Header=BB6_1656 Depth=2
	s_or_b64 exec, exec, s[88:89]
	s_trap 2
	ds_read_b64 v[4:5], v0
	s_waitcnt lgkmcnt(0)
	v_add_co_u32_e32 v32, vcc, v32, v16
	v_addc_co_u32_e32 v33, vcc, 0, v33, vcc
	v_cmp_lt_u64_e32 vcc, v[4:5], v[32:33]
	s_and_saveexec_b64 s[88:89], vcc
	s_cbranch_execz .LBB6_1719
; %bb.1711:                             ;   in Loop: Header=BB6_1656 Depth=2
	s_mov_b32 s75, 0
	s_mov_b64 s[90:91], 0
                                        ; implicit-def: $sgpr92_sgpr93
                                        ; implicit-def: $sgpr94_sgpr95
	s_branch .LBB6_1713
.LBB6_1712:                             ;   in Loop: Header=BB6_1713 Depth=3
	s_or_b64 exec, exec, s[34:35]
	s_and_b64 vcc, exec, vcc
	s_or_b64 s[90:91], vcc, s[90:91]
	s_andn2_b64 s[92:93], s[92:93], exec
	s_and_b64 vcc, s[94:95], exec
	s_or_b64 s[92:93], s[92:93], vcc
	s_andn2_b64 exec, exec, s[90:91]
	s_cbranch_execz .LBB6_1717
.LBB6_1713:                             ;   Parent Loop BB6_47 Depth=1
                                        ;     Parent Loop BB6_1656 Depth=2
                                        ; =>    This Inner Loop Header: Depth=3
	s_add_i32 s75, s75, 1
	s_cmpk_lg_i32 s75, 0x2710
	s_cselect_b64 s[30:31], -1, 0
	s_and_b64 vcc, exec, s[30:31]
	s_cbranch_vccz .LBB6_1715
; %bb.1714:                             ;   in Loop: Header=BB6_1713 Depth=3
	s_mov_b64 vcc, -1
	s_or_b64 s[94:95], s[94:95], exec
	s_and_saveexec_b64 s[34:35], s[30:31]
	s_cbranch_execz .LBB6_1712
	s_branch .LBB6_1716
.LBB6_1715:                             ;   in Loop: Header=BB6_1713 Depth=3
	s_trap 2
	ds_read_b64 v[4:5], v0
	s_andn2_b64 s[30:31], s[30:31], exec
	s_mov_b32 s75, 0
	s_waitcnt vmcnt(0) lgkmcnt(0)
	flat_load_dword v0, v[4:5] glc
	s_waitcnt vmcnt(0) lgkmcnt(0)
	buffer_wbinvl1_vol
	v_cmp_eq_u32_e32 vcc, 0, v0
	s_and_b64 vcc, vcc, exec
	s_or_b64 s[30:31], s[30:31], vcc
	s_mov_b64 vcc, -1
	s_or_b64 s[94:95], s[94:95], exec
	s_and_saveexec_b64 s[34:35], s[30:31]
	s_cbranch_execz .LBB6_1712
.LBB6_1716:                             ;   in Loop: Header=BB6_1713 Depth=3
	s_sleep 1
	s_trap 2
	ds_read_b64 v[4:5], v0
	s_waitcnt lgkmcnt(0)
	s_andn2_b64 s[94:95], s[94:95], exec
	v_cmp_ge_u64_e32 vcc, v[4:5], v[32:33]
	s_orn2_b64 vcc, vcc, exec
	s_branch .LBB6_1712
.LBB6_1717:                             ;   in Loop: Header=BB6_1656 Depth=2
	s_or_b64 exec, exec, s[90:91]
	s_and_saveexec_b64 s[90:91], s[92:93]
	s_xor_b64 s[90:91], exec, s[90:91]
	s_cbranch_execz .LBB6_1719
; %bb.1718:                             ;   in Loop: Header=BB6_1656 Depth=2
	v_mov_b32_e32 v0, 1
	ds_write_b32 v0, v0
	s_trap 2
.LBB6_1719:                             ;   in Loop: Header=BB6_1656 Depth=2
	s_or_b64 exec, exec, s[88:89]
	;;#ASMSTART
	s_wakeup
	;;#ASMEND
.LBB6_1720:                             ;   in Loop: Header=BB6_1656 Depth=2
	s_or_b64 exec, exec, s[78:79]
.LBB6_1721:                             ;   in Loop: Header=BB6_1656 Depth=2
	s_andn2_saveexec_b64 s[76:77], s[76:77]
	s_cbranch_execz .LBB6_1723
; %bb.1722:                             ;   in Loop: Header=BB6_1656 Depth=2
	;;#ASMSTART
	s_waitcnt lgkmcnt(0) vmcnt(0)
	;;#ASMEND
	s_waitcnt vmcnt(0) lgkmcnt(0)
	s_barrier
.LBB6_1723:                             ;   in Loop: Header=BB6_1656 Depth=2
	s_or_b64 exec, exec, s[76:77]
	v_and_b32_e32 v0, 16, v30
.LBB6_1724:                             ;   in Loop: Header=BB6_1656 Depth=2
	s_or_b64 exec, exec, s[28:29]
	v_cmp_ne_u32_e32 vcc, 0, v0
	s_xor_b64 s[28:29], s[12:13], -1
	s_and_b64 s[76:77], vcc, s[28:29]
	s_and_saveexec_b64 s[28:29], s[76:77]
	s_cbranch_execz .LBB6_1726
; %bb.1725:                             ;   in Loop: Header=BB6_1656 Depth=2
	buffer_load_dword v4, off, s[0:3], s33 offset:68 ; 4-byte Folded Reload
	buffer_load_dword v5, off, s[0:3], s33 offset:72 ; 4-byte Folded Reload
	v_mov_b32_e32 v0, 1
	s_waitcnt vmcnt(0)
	flat_store_dword v[4:5], v0
.LBB6_1726:                             ;   in Loop: Header=BB6_1656 Depth=2
	s_or_b64 exec, exec, s[28:29]
	v_and_b32_e32 v0, 48, v30
	v_cmp_ne_u32_e32 vcc, 0, v0
	s_and_saveexec_b64 s[28:29], vcc
	s_cbranch_execz .LBB6_1655
; %bb.1727:                             ;   in Loop: Header=BB6_1656 Depth=2
	v_add_co_u32_e32 v48, vcc, 2, v48
	v_addc_co_u32_e32 v49, vcc, 0, v49, vcc
	flat_store_dwordx2 v[22:23], v[48:49]
	s_branch .LBB6_1655
.LBB6_1728:                             ;   in Loop: Header=BB6_47 Depth=1
	s_or_b64 exec, exec, s[78:79]
	buffer_load_dword v42, off, s[0:3], s33 offset:124 ; 4-byte Folded Reload
	buffer_load_dword v43, off, s[0:3], s33 offset:128 ; 4-byte Folded Reload
	s_or_b64 exec, exec, s[76:77]
	v_cmp_gt_i32_e32 vcc, 2, v0
	s_and_saveexec_b64 s[40:41], vcc
	s_cbranch_execnz .LBB6_1654
.LBB6_1729:                             ;   in Loop: Header=BB6_47 Depth=1
	s_or_b64 exec, exec, s[40:41]
	s_and_b64 vcc, exec, s[26:27]
	s_cbranch_vccz .LBB6_1731
	s_branch .LBB6_1988
.LBB6_1730:                             ;   in Loop: Header=BB6_47 Depth=1
	s_or_b64 exec, exec, s[42:43]
	s_or_b64 exec, exec, s[40:41]
	s_and_b64 vcc, exec, s[26:27]
	s_cbranch_vccnz .LBB6_1988
.LBB6_1731:                             ;   in Loop: Header=BB6_47 Depth=1
	s_mov_b32 s75, 1
.LBB6_1732:                             ;   Parent Loop BB6_47 Depth=1
                                        ; =>  This Loop Header: Depth=2
                                        ;       Child Loop BB6_1735 Depth 3
                                        ;         Child Loop BB6_1743 Depth 4
                                        ;         Child Loop BB6_1771 Depth 4
	;; [unrolled: 1-line block ×9, first 2 shown]
                                        ;           Child Loop BB6_1825 Depth 5
                                        ;         Child Loop BB6_1832 Depth 4
                                        ;         Child Loop BB6_1837 Depth 4
                                        ;           Child Loop BB6_1838 Depth 5
                                        ;         Child Loop BB6_1875 Depth 4
                                        ;         Child Loop BB6_1894 Depth 4
                                        ;       Child Loop BB6_1912 Depth 3
                                        ;         Child Loop BB6_1918 Depth 4
                                        ;         Child Loop BB6_1946 Depth 4
	;; [unrolled: 1-line block ×3, first 2 shown]
	buffer_load_dword v5, off, s[0:3], s33 offset:160 ; 4-byte Folded Reload
	buffer_load_dword v6, off, s[0:3], s33 offset:164 ; 4-byte Folded Reload
	s_sub_i32 s26, s69, s75
	s_cmp_ge_i32 s26, s52
	s_cselect_b32 s27, s52, 0
	s_sub_i32 s26, s26, s27
	s_ashr_i32 s28, s26, 31
	v_mov_b32_e32 v14, 0
	s_waitcnt vmcnt(0)
	v_mul_lo_u32 v3, v5, s28
	v_mul_lo_u32 v0, v6, s26
	v_mad_u64_u32 v[8:9], s[26:27], v5, s26, 0
	v_add3_u32 v9, v9, v3, v0
	buffer_load_dword v3, off, s[0:3], s33 offset:152 ; 4-byte Folded Reload
	buffer_load_dword v4, off, s[0:3], s33 offset:156 ; 4-byte Folded Reload
	s_waitcnt vmcnt(0)
	v_sub_co_u32_e32 v3, vcc, v3, v8
	v_subb_co_u32_e32 v4, vcc, v4, v9, vcc
	v_cmp_lt_i64_e32 vcc, v[5:6], v[3:4]
	v_cndmask_b32_e32 v0, v3, v5, vcc
	v_max_i32_e32 v3, 0, v0
	v_add_u32_e32 v4, 31, v3
	v_lshrrev_b32_e32 v4, 1, v4
	v_and_b32_e32 v4, 0x3ffffff0, v4
	v_cmp_lt_i32_e32 vcc, 0, v0
	v_max_i32_e32 v12, s80, v4
	s_and_b64 s[26:27], s[72:73], vcc
	v_mov_b32_e32 v0, 0
	s_and_saveexec_b64 s[42:43], s[26:27]
	s_cbranch_execz .LBB6_1909
; %bb.1733:                             ;   in Loop: Header=BB6_1732 Depth=2
	buffer_load_dword v4, off, s[0:3], s33 offset:144 ; 4-byte Folded Reload
	buffer_load_dword v5, off, s[0:3], s33 offset:148 ; 4-byte Folded Reload
	s_mov_b32 s50, 1
	s_mov_b64 s[78:79], -1
	v_mov_b32_e32 v14, 0
	s_mov_b64 s[76:77], 0
	s_waitcnt vmcnt(0)
	v_add_co_u32_e32 v4, vcc, v8, v4
	v_addc_co_u32_e32 v5, vcc, v9, v5, vcc
	v_lshlrev_b64 v[54:55], 1, v[4:5]
	s_branch .LBB6_1735
.LBB6_1734:                             ;   in Loop: Header=BB6_1735 Depth=3
	s_or_b64 exec, exec, s[26:27]
	v_add_u32_e32 v14, v12, v14
	v_cmp_ge_i32_e32 vcc, v14, v3
	s_xor_b64 s[26:27], s[78:79], -1
	s_or_b64 s[26:27], s[26:27], vcc
	s_and_b64 s[26:27], exec, s[26:27]
	s_or_b64 s[76:77], s[26:27], s[76:77]
	s_mov_b64 s[78:79], 0
	v_mov_b32_e32 v0, s50
	s_mov_b32 s50, 2
	s_andn2_b64 exec, exec, s[76:77]
	s_cbranch_execz .LBB6_1984
.LBB6_1735:                             ;   Parent Loop BB6_47 Depth=1
                                        ;     Parent Loop BB6_1732 Depth=2
                                        ; =>    This Loop Header: Depth=3
                                        ;         Child Loop BB6_1743 Depth 4
                                        ;         Child Loop BB6_1771 Depth 4
                                        ;         Child Loop BB6_1790 Depth 4
                                        ;         Child Loop BB6_1849 Depth 4
                                        ;         Child Loop BB6_1854 Depth 4
                                        ;         Child Loop BB6_1860 Depth 4
                                        ;         Child Loop BB6_1865 Depth 4
                                        ;         Child Loop BB6_1819 Depth 4
                                        ;         Child Loop BB6_1824 Depth 4
                                        ;           Child Loop BB6_1825 Depth 5
                                        ;         Child Loop BB6_1832 Depth 4
                                        ;         Child Loop BB6_1837 Depth 4
                                        ;           Child Loop BB6_1838 Depth 5
                                        ;         Child Loop BB6_1875 Depth 4
                                        ;         Child Loop BB6_1894 Depth 4
	s_and_saveexec_b64 s[26:27], s[4:5]
	s_cbranch_execz .LBB6_1737
; %bb.1736:                             ;   in Loop: Header=BB6_1735 Depth=3
	s_trap 2
	ds_read_b128 v[4:7], v0
	v_ashrrev_i32_e32 v15, 31, v14
	s_waitcnt lgkmcnt(0)
	v_add_co_u32_e32 v0, vcc, v4, v54
	v_addc_co_u32_e32 v9, vcc, v5, v55, vcc
	v_lshlrev_b64 v[4:5], 1, v[14:15]
	v_add_co_u32_e32 v8, vcc, v0, v4
	v_addc_co_u32_e32 v9, vcc, v9, v5, vcc
	ds_write_b64 v0, v[8:9]
	v_add_co_u32_e32 v0, vcc, v6, v54
	v_addc_co_u32_e32 v8, vcc, v7, v55, vcc
	v_add_co_u32_e32 v0, vcc, v0, v4
	v_addc_co_u32_e32 v4, vcc, v8, v5, vcc
	v_cmp_ne_u64_e32 vcc, 0, v[6:7]
	v_cndmask_b32_e32 v5, 0, v4, vcc
	v_cndmask_b32_e32 v4, 0, v0, vcc
	ds_write_b64 v0, v[4:5]
.LBB6_1737:                             ;   in Loop: Header=BB6_1735 Depth=3
	s_or_b64 exec, exec, s[26:27]
	v_sub_u32_e32 v0, v3, v14
	v_min_i32_e32 v12, v12, v0
	v_and_b32_e32 v0, 12, v30
	v_cmp_ne_u32_e32 vcc, 0, v0
	s_and_saveexec_b64 s[28:29], vcc
	s_cbranch_execz .LBB6_1763
; %bb.1738:                             ;   in Loop: Header=BB6_1735 Depth=3
	v_and_b32_e32 v0, 8, v30
	s_waitcnt lgkmcnt(0)
	v_add_co_u32_e32 v4, vcc, v28, v0
	v_addc_co_u32_e32 v5, vcc, 0, v29, vcc
	v_add_co_u32_e32 v8, vcc, 2, v48
	v_addc_co_u32_e32 v9, vcc, 0, v49, vcc
	v_cmp_lt_u64_e32 vcc, v[4:5], v[8:9]
	s_and_saveexec_b64 s[40:41], vcc
	s_cbranch_execz .LBB6_1750
; %bb.1739:                             ;   in Loop: Header=BB6_1735 Depth=3
	v_and_b32_e32 v4, 64, v30
	s_mov_b32 s51, 0
	v_cmp_eq_u32_e32 vcc, 0, v4
	s_mov_b64 s[88:89], 0
                                        ; implicit-def: $sgpr90_sgpr91
                                        ; implicit-def: $sgpr92_sgpr93
                                        ; implicit-def: $sgpr94_sgpr95
	s_branch .LBB6_1743
.LBB6_1740:                             ;   in Loop: Header=BB6_1743 Depth=4
	s_waitcnt vmcnt(0) lgkmcnt(0)
	v_add_co_u32_e64 v5, s[26:27], v28, v0
	v_addc_co_u32_e64 v6, s[26:27], 0, v29, s[26:27]
	v_cmp_ge_u64_e64 s[26:27], v[5:6], v[8:9]
	s_or_b64 s[36:37], s[36:37], exec
	s_orn2_b64 s[34:35], s[26:27], exec
.LBB6_1741:                             ;   in Loop: Header=BB6_1743 Depth=4
	s_or_b64 exec, exec, s[48:49]
	s_andn2_b64 s[26:27], s[94:95], exec
	s_and_b64 s[94:95], s[36:37], exec
	s_or_b64 s[94:95], s[26:27], s[94:95]
	s_andn2_b64 s[26:27], s[92:93], exec
	s_and_b64 s[92:93], s[34:35], exec
	s_or_b64 s[92:93], s[26:27], s[92:93]
.LBB6_1742:                             ;   in Loop: Header=BB6_1743 Depth=4
	s_or_b64 exec, exec, s[30:31]
	s_and_b64 s[26:27], exec, s[92:93]
	s_or_b64 s[88:89], s[26:27], s[88:89]
	s_andn2_b64 s[26:27], s[90:91], exec
	s_and_b64 s[90:91], s[94:95], exec
	s_or_b64 s[90:91], s[26:27], s[90:91]
	s_andn2_b64 exec, exec, s[88:89]
	s_cbranch_execz .LBB6_1747
.LBB6_1743:                             ;   Parent Loop BB6_47 Depth=1
                                        ;     Parent Loop BB6_1732 Depth=2
                                        ;       Parent Loop BB6_1735 Depth=3
                                        ; =>      This Inner Loop Header: Depth=4
	s_sleep 1
	s_waitcnt vmcnt(0) lgkmcnt(0)
	flat_load_dwordx2 v[28:29], v[22:23] glc
	s_or_b64 s[94:95], s[94:95], exec
	s_or_b64 s[92:93], s[92:93], exec
                                        ; implicit-def: $vgpr4
	s_and_saveexec_b64 s[30:31], vcc
	s_cbranch_execz .LBB6_1742
; %bb.1744:                             ;   in Loop: Header=BB6_1743 Depth=4
	s_cmpk_lt_i32 s51, 0x270f
	s_cselect_b64 s[38:39], -1, 0
	s_cmpk_gt_i32 s51, 0x270e
	s_mov_b64 s[34:35], -1
	s_cbranch_scc0 .LBB6_1746
; %bb.1745:                             ;   in Loop: Header=BB6_1743 Depth=4
	s_trap 2
	ds_read_b64 v[4:5], v0
	s_andn2_b64 s[38:39], s[38:39], exec
	s_mov_b32 s51, 0
	s_mov_b64 s[36:37], 0
	s_waitcnt vmcnt(0) lgkmcnt(0)
	flat_load_dword v4, v[4:5] glc
	s_waitcnt vmcnt(0) lgkmcnt(0)
	buffer_wbinvl1_vol
	v_cmp_eq_u32_e64 s[26:27], 0, v4
	s_and_b64 s[26:27], s[26:27], exec
	s_or_b64 s[38:39], s[38:39], s[26:27]
	s_and_saveexec_b64 s[48:49], s[38:39]
	s_cbranch_execz .LBB6_1741
	s_branch .LBB6_1740
.LBB6_1746:                             ;   in Loop: Header=BB6_1743 Depth=4
	s_add_i32 s51, s51, 1
	s_mov_b64 s[36:37], -1
                                        ; implicit-def: $vgpr4
	s_and_saveexec_b64 s[48:49], s[38:39]
	s_cbranch_execz .LBB6_1741
	s_branch .LBB6_1740
.LBB6_1747:                             ;   in Loop: Header=BB6_1735 Depth=3
	s_or_b64 exec, exec, s[88:89]
	s_xor_b64 s[26:27], s[90:91], -1
	s_and_saveexec_b64 s[88:89], s[26:27]
	s_xor_b64 s[26:27], exec, s[88:89]
	s_cbranch_execz .LBB6_1749
; %bb.1748:                             ;   in Loop: Header=BB6_1735 Depth=3
	v_or_b32_e32 v30, 64, v30
	s_waitcnt lgkmcnt(0)
	ds_write_b32 v0, v4
	s_trap 2
.LBB6_1749:                             ;   in Loop: Header=BB6_1735 Depth=3
	s_or_b64 exec, exec, s[26:27]
.LBB6_1750:                             ;   in Loop: Header=BB6_1735 Depth=3
	s_or_b64 exec, exec, s[40:41]
	v_and_b32_e32 v4, 0x108, v30
	v_cmp_ne_u32_e32 vcc, s66, v4
	;;#ASMSTART
	s_wakeup
	;;#ASMEND
                                        ; implicit-def: $vgpr10_vgpr11
	s_and_saveexec_b64 s[26:27], vcc
	s_xor_b64 s[26:27], exec, s[26:27]
; %bb.1751:                             ;   in Loop: Header=BB6_1735 Depth=3
	v_and_b32_e32 v10, 7, v48
	v_mov_b32_e32 v11, v2
                                        ; implicit-def: $vgpr48_vgpr49
; %bb.1752:                             ;   in Loop: Header=BB6_1735 Depth=3
	s_andn2_saveexec_b64 s[26:27], s[26:27]
	s_cbranch_execz .LBB6_1754
; %bb.1753:                             ;   in Loop: Header=BB6_1735 Depth=3
	v_and_b32_e32 v10, 7, v48
	v_mad_u64_u32 v[4:5], s[40:41], v10, 24, v[58:59]
	v_ashrrev_i32_e32 v13, 31, v12
	v_lshlrev_b64 v[6:7], 1, v[12:13]
	v_mov_b32_e32 v11, v2
	flat_store_dwordx2 v[4:5], v[6:7] offset:8
.LBB6_1754:                             ;   in Loop: Header=BB6_1735 Depth=3
	s_or_b64 exec, exec, s[26:27]
	v_and_b32_e32 v4, 0x100, v30
	v_cmp_ne_u32_e32 vcc, 0, v4
	s_mov_b64 s[26:27], -1
                                        ; implicit-def: $vgpr18_vgpr19
	s_and_saveexec_b64 s[40:41], vcc
	s_cbranch_execz .LBB6_1758
; %bb.1755:                             ;   in Loop: Header=BB6_1735 Depth=3
	v_mad_u64_u32 v[48:49], s[26:27], v10, 24, v[58:59]
                                        ; implicit-def: $vgpr18_vgpr19
	v_mov_b32_e32 v4, v49
	v_mad_u64_u32 v[4:5], s[26:27], v11, 24, v[4:5]
	v_mov_b32_e32 v49, v4
	flat_load_dword v4, v[48:49]
	s_waitcnt vmcnt(0) lgkmcnt(0)
	v_cmp_ne_u32_e32 vcc, 1, v4
	v_cmp_eq_u32_e64 s[26:27], 1, v4
	s_and_saveexec_b64 s[88:89], s[26:27]
	s_cbranch_execz .LBB6_1757
; %bb.1756:                             ;   in Loop: Header=BB6_1735 Depth=3
	flat_load_dword v4, v[48:49] offset:4 glc
	s_waitcnt vmcnt(0) lgkmcnt(0)
	v_ashrrev_i32_e32 v5, 31, v4
	v_lshrrev_b64 v[18:19], 1, v[4:5]
.LBB6_1757:                             ;   in Loop: Header=BB6_1735 Depth=3
	s_or_b64 exec, exec, s[88:89]
	s_orn2_b64 s[26:27], vcc, exec
.LBB6_1758:                             ;   in Loop: Header=BB6_1735 Depth=3
	s_or_b64 exec, exec, s[40:41]
	s_and_saveexec_b64 s[40:41], s[26:27]
	s_cbranch_execz .LBB6_1760
; %bb.1759:                             ;   in Loop: Header=BB6_1735 Depth=3
	buffer_load_dword v6, off, s[0:3], s33 offset:76 ; 4-byte Folded Reload
	buffer_load_dword v5, off, s[0:3], s33 offset:92 ; 4-byte Folded Reload
	s_waitcnt vmcnt(0)
	v_mul_lo_u32 v4, v11, v6
	v_mul_lo_u32 v5, v10, v5
	v_mad_u64_u32 v[18:19], s[26:27], v10, v6, 0
	v_add3_u32 v19, v19, v5, v4
.LBB6_1760:                             ;   in Loop: Header=BB6_1735 Depth=3
	s_or_b64 exec, exec, s[40:41]
	buffer_load_dword v6, off, s[0:3], s33 offset:60 ; 4-byte Folded Reload
	buffer_load_dword v7, off, s[0:3], s33 offset:64 ; 4-byte Folded Reload
	v_cmp_eq_u32_e32 vcc, 0, v0
	v_mov_b32_e32 v0, 0xd0
	v_mov_b32_e32 v4, 0x88
	v_cndmask_b32_e32 v0, v0, v4, vcc
	v_lshlrev_b64 v[4:5], 1, v[18:19]
	v_add_u32_e32 v0, v0, v0
	s_waitcnt vmcnt(0)
	v_add_co_u32_e32 v4, vcc, v6, v4
	v_addc_co_u32_e32 v5, vcc, v7, v5, vcc
	ds_write_b64 v0, v[4:5] offset:584
	v_and_b32_e32 v0, 0x2000, v30
	v_cmp_ne_u32_e32 vcc, 0, v0
	s_and_saveexec_b64 s[26:27], vcc
	s_cbranch_execz .LBB6_1762
; %bb.1761:                             ;   in Loop: Header=BB6_1735 Depth=3
	ds_read_b64 v[4:5], v0 offset:872
	s_waitcnt lgkmcnt(0)
	v_add_co_u32_e32 v4, vcc, 1, v4
	v_addc_co_u32_e32 v5, vcc, 0, v5, vcc
	ds_write_b64 v0, v[4:5] offset:872
.LBB6_1762:                             ;   in Loop: Header=BB6_1735 Depth=3
	s_or_b64 exec, exec, s[26:27]
	v_mov_b32_e32 v49, v9
	v_mov_b32_e32 v48, v8
.LBB6_1763:                             ;   in Loop: Header=BB6_1735 Depth=3
	s_or_b64 exec, exec, s[28:29]
	s_and_saveexec_b64 s[26:27], s[10:11]
	s_cbranch_execz .LBB6_1782
; %bb.1764:                             ;   in Loop: Header=BB6_1735 Depth=3
	s_and_saveexec_b64 s[28:29], s[56:57]
	s_xor_b64 s[28:29], exec, s[28:29]
	s_cbranch_execz .LBB6_1779
; %bb.1765:                             ;   in Loop: Header=BB6_1735 Depth=3
	s_and_saveexec_b64 s[40:41], s[16:17]
	s_cbranch_execz .LBB6_1778
; %bb.1766:                             ;   in Loop: Header=BB6_1735 Depth=3
	s_mov_b64 s[90:91], exec
	v_mbcnt_lo_u32_b32 v0, s90, 0
	v_mbcnt_hi_u32_b32 v0, s91, v0
	v_cmp_eq_u32_e32 vcc, 0, v0
	s_waitcnt vmcnt(0) lgkmcnt(0)
	buffer_wbinvl1_vol
	s_and_saveexec_b64 s[88:89], vcc
	s_cbranch_execz .LBB6_1768
; %bb.1767:                             ;   in Loop: Header=BB6_1735 Depth=3
	s_bcnt1_i32_b64 s90, s[90:91]
	v_mov_b32_e32 v4, s90
	v_mov_b32_e32 v5, v2
	ds_add_u64 v0, v[4:5]
	s_trap 2
.LBB6_1768:                             ;   in Loop: Header=BB6_1735 Depth=3
	s_or_b64 exec, exec, s[88:89]
	s_trap 2
	ds_read_b64 v[4:5], v0
	s_waitcnt lgkmcnt(0)
	v_add_co_u32_e32 v32, vcc, v32, v16
	v_addc_co_u32_e32 v33, vcc, 0, v33, vcc
	v_cmp_lt_u64_e32 vcc, v[4:5], v[32:33]
	s_and_saveexec_b64 s[88:89], vcc
	s_cbranch_execz .LBB6_1777
; %bb.1769:                             ;   in Loop: Header=BB6_1735 Depth=3
	s_mov_b32 s36, 0
	s_mov_b64 s[90:91], 0
                                        ; implicit-def: $sgpr92_sgpr93
                                        ; implicit-def: $sgpr94_sgpr95
	s_branch .LBB6_1771
.LBB6_1770:                             ;   in Loop: Header=BB6_1771 Depth=4
	s_or_b64 exec, exec, s[34:35]
	s_and_b64 vcc, exec, vcc
	s_or_b64 s[90:91], vcc, s[90:91]
	s_andn2_b64 s[92:93], s[92:93], exec
	s_and_b64 vcc, s[94:95], exec
	s_or_b64 s[92:93], s[92:93], vcc
	s_andn2_b64 exec, exec, s[90:91]
	s_cbranch_execz .LBB6_1775
.LBB6_1771:                             ;   Parent Loop BB6_47 Depth=1
                                        ;     Parent Loop BB6_1732 Depth=2
                                        ;       Parent Loop BB6_1735 Depth=3
                                        ; =>      This Inner Loop Header: Depth=4
	s_add_i32 s36, s36, 1
	s_cmpk_lg_i32 s36, 0x2710
	s_cselect_b64 s[30:31], -1, 0
	s_and_b64 vcc, exec, s[30:31]
	s_cbranch_vccz .LBB6_1773
; %bb.1772:                             ;   in Loop: Header=BB6_1771 Depth=4
	s_mov_b64 vcc, -1
	s_or_b64 s[94:95], s[94:95], exec
	s_and_saveexec_b64 s[34:35], s[30:31]
	s_cbranch_execz .LBB6_1770
	s_branch .LBB6_1774
.LBB6_1773:                             ;   in Loop: Header=BB6_1771 Depth=4
	s_trap 2
	ds_read_b64 v[4:5], v0
	s_andn2_b64 s[30:31], s[30:31], exec
	s_mov_b32 s36, 0
	s_waitcnt lgkmcnt(0)
	flat_load_dword v0, v[4:5] glc
	s_waitcnt vmcnt(0) lgkmcnt(0)
	buffer_wbinvl1_vol
	v_cmp_eq_u32_e32 vcc, 0, v0
	s_and_b64 vcc, vcc, exec
	s_or_b64 s[30:31], s[30:31], vcc
	s_mov_b64 vcc, -1
	s_or_b64 s[94:95], s[94:95], exec
	s_and_saveexec_b64 s[34:35], s[30:31]
	s_cbranch_execz .LBB6_1770
.LBB6_1774:                             ;   in Loop: Header=BB6_1771 Depth=4
	s_sleep 1
	s_trap 2
	ds_read_b64 v[4:5], v0
	s_waitcnt lgkmcnt(0)
	s_andn2_b64 s[94:95], s[94:95], exec
	v_cmp_ge_u64_e32 vcc, v[4:5], v[32:33]
	s_orn2_b64 vcc, vcc, exec
	s_branch .LBB6_1770
.LBB6_1775:                             ;   in Loop: Header=BB6_1735 Depth=3
	s_or_b64 exec, exec, s[90:91]
	s_and_saveexec_b64 s[90:91], s[92:93]
	s_xor_b64 s[90:91], exec, s[90:91]
	s_cbranch_execz .LBB6_1777
; %bb.1776:                             ;   in Loop: Header=BB6_1735 Depth=3
	v_mov_b32_e32 v0, 1
	ds_write_b32 v0, v0
	s_trap 2
.LBB6_1777:                             ;   in Loop: Header=BB6_1735 Depth=3
	s_or_b64 exec, exec, s[88:89]
	;;#ASMSTART
	s_wakeup
	;;#ASMEND
.LBB6_1778:                             ;   in Loop: Header=BB6_1735 Depth=3
	s_or_b64 exec, exec, s[40:41]
.LBB6_1779:                             ;   in Loop: Header=BB6_1735 Depth=3
	s_andn2_saveexec_b64 s[28:29], s[28:29]
	s_cbranch_execz .LBB6_1781
; %bb.1780:                             ;   in Loop: Header=BB6_1735 Depth=3
	s_waitcnt vmcnt(0) lgkmcnt(0)
	buffer_wbinvl1_vol
	s_barrier
.LBB6_1781:                             ;   in Loop: Header=BB6_1735 Depth=3
	s_or_b64 exec, exec, s[28:29]
.LBB6_1782:                             ;   in Loop: Header=BB6_1735 Depth=3
	s_or_b64 exec, exec, s[26:27]
	s_trap 2
	ds_read_b32 v0, v0
	v_and_b32_e32 v4, 0x4000, v30
	v_cmp_ne_u32_e32 vcc, 0, v4
	s_xor_b64 s[26:27], s[6:7], -1
	s_and_b64 s[28:29], s[26:27], vcc
	s_and_saveexec_b64 s[26:27], s[28:29]
	s_cbranch_execz .LBB6_1801
; %bb.1783:                             ;   in Loop: Header=BB6_1735 Depth=3
	s_and_saveexec_b64 s[28:29], s[56:57]
	s_xor_b64 s[28:29], exec, s[28:29]
	s_cbranch_execz .LBB6_1798
; %bb.1784:                             ;   in Loop: Header=BB6_1735 Depth=3
	s_and_saveexec_b64 s[40:41], s[16:17]
	s_cbranch_execz .LBB6_1797
; %bb.1785:                             ;   in Loop: Header=BB6_1735 Depth=3
	s_mov_b64 s[90:91], exec
	v_mbcnt_lo_u32_b32 v4, s90, 0
	v_mbcnt_hi_u32_b32 v4, s91, v4
	v_cmp_eq_u32_e32 vcc, 0, v4
	s_waitcnt vmcnt(0) lgkmcnt(0)
	buffer_wbinvl1_vol
	s_and_saveexec_b64 s[88:89], vcc
	s_cbranch_execz .LBB6_1787
; %bb.1786:                             ;   in Loop: Header=BB6_1735 Depth=3
	s_bcnt1_i32_b64 s90, s[90:91]
	v_mov_b32_e32 v4, s90
	v_mov_b32_e32 v5, v2
	ds_add_u64 v0, v[4:5]
	s_trap 2
.LBB6_1787:                             ;   in Loop: Header=BB6_1735 Depth=3
	s_or_b64 exec, exec, s[88:89]
	s_trap 2
	ds_read_b64 v[4:5], v0
	s_waitcnt lgkmcnt(0)
	v_add_co_u32_e32 v32, vcc, v32, v16
	v_addc_co_u32_e32 v33, vcc, 0, v33, vcc
	v_cmp_lt_u64_e32 vcc, v[4:5], v[32:33]
	s_and_saveexec_b64 s[88:89], vcc
	s_cbranch_execz .LBB6_1796
; %bb.1788:                             ;   in Loop: Header=BB6_1735 Depth=3
	s_mov_b32 s36, 0
	s_mov_b64 s[90:91], 0
                                        ; implicit-def: $sgpr92_sgpr93
                                        ; implicit-def: $sgpr94_sgpr95
	s_branch .LBB6_1790
.LBB6_1789:                             ;   in Loop: Header=BB6_1790 Depth=4
	s_or_b64 exec, exec, s[34:35]
	s_and_b64 vcc, exec, vcc
	s_or_b64 s[90:91], vcc, s[90:91]
	s_andn2_b64 s[92:93], s[92:93], exec
	s_and_b64 vcc, s[94:95], exec
	s_or_b64 s[92:93], s[92:93], vcc
	s_andn2_b64 exec, exec, s[90:91]
	s_cbranch_execz .LBB6_1794
.LBB6_1790:                             ;   Parent Loop BB6_47 Depth=1
                                        ;     Parent Loop BB6_1732 Depth=2
                                        ;       Parent Loop BB6_1735 Depth=3
                                        ; =>      This Inner Loop Header: Depth=4
	s_add_i32 s36, s36, 1
	s_cmpk_lg_i32 s36, 0x2710
	s_cselect_b64 s[30:31], -1, 0
	s_and_b64 vcc, exec, s[30:31]
	s_cbranch_vccz .LBB6_1792
; %bb.1791:                             ;   in Loop: Header=BB6_1790 Depth=4
	s_mov_b64 vcc, -1
	s_or_b64 s[94:95], s[94:95], exec
	s_and_saveexec_b64 s[34:35], s[30:31]
	s_cbranch_execz .LBB6_1789
	s_branch .LBB6_1793
.LBB6_1792:                             ;   in Loop: Header=BB6_1790 Depth=4
	s_trap 2
	ds_read_b64 v[4:5], v0
	s_andn2_b64 s[30:31], s[30:31], exec
	s_mov_b32 s36, 0
	s_waitcnt lgkmcnt(0)
	flat_load_dword v4, v[4:5] glc
	s_waitcnt vmcnt(0) lgkmcnt(0)
	buffer_wbinvl1_vol
	v_cmp_eq_u32_e32 vcc, 0, v4
	s_and_b64 vcc, vcc, exec
	s_or_b64 s[30:31], s[30:31], vcc
	s_mov_b64 vcc, -1
	s_or_b64 s[94:95], s[94:95], exec
	s_and_saveexec_b64 s[34:35], s[30:31]
	s_cbranch_execz .LBB6_1789
.LBB6_1793:                             ;   in Loop: Header=BB6_1790 Depth=4
	s_sleep 1
	s_trap 2
	ds_read_b64 v[4:5], v0
	s_waitcnt lgkmcnt(0)
	s_andn2_b64 s[94:95], s[94:95], exec
	v_cmp_ge_u64_e32 vcc, v[4:5], v[32:33]
	s_orn2_b64 vcc, vcc, exec
	s_branch .LBB6_1789
.LBB6_1794:                             ;   in Loop: Header=BB6_1735 Depth=3
	s_or_b64 exec, exec, s[90:91]
	s_and_saveexec_b64 s[90:91], s[92:93]
	s_xor_b64 s[90:91], exec, s[90:91]
	s_cbranch_execz .LBB6_1796
; %bb.1795:                             ;   in Loop: Header=BB6_1735 Depth=3
	v_mov_b32_e32 v4, 1
	ds_write_b32 v0, v4
	s_trap 2
.LBB6_1796:                             ;   in Loop: Header=BB6_1735 Depth=3
	s_or_b64 exec, exec, s[88:89]
	;;#ASMSTART
	s_wakeup
	;;#ASMEND
.LBB6_1797:                             ;   in Loop: Header=BB6_1735 Depth=3
	s_or_b64 exec, exec, s[40:41]
.LBB6_1798:                             ;   in Loop: Header=BB6_1735 Depth=3
	s_andn2_saveexec_b64 s[28:29], s[28:29]
	s_cbranch_execz .LBB6_1800
; %bb.1799:                             ;   in Loop: Header=BB6_1735 Depth=3
	s_waitcnt vmcnt(0) lgkmcnt(0)
	buffer_wbinvl1_vol
	s_barrier
.LBB6_1800:                             ;   in Loop: Header=BB6_1735 Depth=3
	s_or_b64 exec, exec, s[28:29]
.LBB6_1801:                             ;   in Loop: Header=BB6_1735 Depth=3
	s_or_b64 exec, exec, s[26:27]
	s_trap 2
	s_waitcnt lgkmcnt(0)
	ds_read_b64 v[40:41], v0
	s_waitcnt lgkmcnt(0)
	v_cmp_eq_u64_e32 vcc, 0, v[40:41]
	s_cbranch_vccnz .LBB6_1810
; %bb.1802:                             ;   in Loop: Header=BB6_1735 Depth=3
	s_trap 2
	s_waitcnt vmcnt(0)
	ds_read_b64 v[42:43], v0
	s_waitcnt lgkmcnt(0)
	v_cmp_eq_u64_e32 vcc, 0, v[42:43]
	s_cbranch_vccnz .LBB6_1815
; %bb.1803:                             ;   in Loop: Header=BB6_1735 Depth=3
	s_trap 2
	ds_read_b64 v[18:19], v0
	v_cmp_eq_u32_e32 vcc, 0, v0
	v_cndmask_b32_e32 v13, 0, v12, vcc
	v_lshlrev_b32_e32 v15, 1, v13
	s_waitcnt lgkmcnt(0)
	v_cmp_ne_u64_e32 vcc, 0, v[18:19]
	s_cbranch_vccz .LBB6_1816
; %bb.1804:                             ;   in Loop: Header=BB6_1735 Depth=3
	s_mov_b64 s[28:29], -1
	s_and_saveexec_b64 s[26:27], s[20:21]
	s_cbranch_execz .LBB6_1806
; %bb.1805:                             ;   in Loop: Header=BB6_1735 Depth=3
	ds_read_b32 v0, v0 offset:720
	s_waitcnt lgkmcnt(0)
	v_and_b32_e32 v0, 15, v0
	v_cmp_eq_u32_e32 vcc, 0, v0
	s_orn2_b64 s[28:29], vcc, exec
.LBB6_1806:                             ;   in Loop: Header=BB6_1735 Depth=3
	s_or_b64 exec, exec, s[26:27]
	s_and_saveexec_b64 s[26:27], s[22:23]
	s_cbranch_execz .LBB6_1808
; %bb.1807:                             ;   in Loop: Header=BB6_1735 Depth=3
	ds_read_b32 v0, v0 offset:784
	s_waitcnt lgkmcnt(0)
	v_and_b32_e32 v0, 15, v0
	v_cmp_eq_u32_e32 vcc, 0, v0
	s_and_b64 s[40:41], s[28:29], vcc
	s_andn2_b64 s[28:29], s[28:29], exec
	s_and_b64 s[40:41], s[40:41], exec
	s_or_b64 s[28:29], s[28:29], s[40:41]
.LBB6_1808:                             ;   in Loop: Header=BB6_1735 Depth=3
	s_or_b64 exec, exec, s[26:27]
	s_xor_b64 s[28:29], s[28:29], -1
	v_cndmask_b32_e64 v4, 0, 1, s[28:29]
	s_mov_b64 s[26:27], -1
	v_mov_b32_e32 v0, 0
	v_cmp_ne_u32_e32 vcc, 0, v4
	v_mov_b32_e32 v4, v15
	v_mov_b32_e32 v5, v56
	s_cbranch_vccz .LBB6_1817
; %bb.1809:                             ;   in Loop: Header=BB6_1735 Depth=3
	s_and_saveexec_b64 s[40:41], s[26:27]
	s_cbranch_execnz .LBB6_1830
	s_branch .LBB6_1840
.LBB6_1810:                             ;   in Loop: Header=BB6_1735 Depth=3
	s_mov_b64 s[26:27], 0
	s_and_saveexec_b64 s[28:29], s[10:11]
	s_cbranch_execnz .LBB6_1868
.LBB6_1811:                             ;   in Loop: Header=BB6_1735 Depth=3
	s_or_b64 exec, exec, s[28:29]
                                        ; implicit-def: $vgpr0
	s_and_saveexec_b64 s[28:29], s[24:25]
	s_xor_b64 s[28:29], exec, s[28:29]
	s_cbranch_execz .LBB6_1886
.LBB6_1812:                             ;   in Loop: Header=BB6_1735 Depth=3
	v_and_b32_e32 v4, 16, v30
	v_cmp_ne_u32_e32 vcc, 0, v4
	v_and_b32_e32 v0, 16, v30
	s_and_b64 s[40:41], vcc, s[26:27]
	s_and_saveexec_b64 s[26:27], s[40:41]
	s_cbranch_execz .LBB6_1814
; %bb.1813:                             ;   in Loop: Header=BB6_1735 Depth=3
	v_mov_b32_e32 v0, 1
	s_waitcnt vmcnt(0) lgkmcnt(0)
	buffer_wbinvl1_vol
.LBB6_1814:                             ;   in Loop: Header=BB6_1735 Depth=3
	s_or_b64 exec, exec, s[26:27]
	s_andn2_saveexec_b64 s[26:27], s[28:29]
	s_cbranch_execz .LBB6_1905
	s_branch .LBB6_1887
.LBB6_1815:                             ;   in Loop: Header=BB6_1735 Depth=3
	s_mov_b64 s[26:27], 0
	buffer_load_dword v42, off, s[0:3], s33 offset:124 ; 4-byte Folded Reload
	buffer_load_dword v43, off, s[0:3], s33 offset:128 ; 4-byte Folded Reload
	s_and_saveexec_b64 s[28:29], s[10:11]
	s_cbranch_execz .LBB6_1811
	s_branch .LBB6_1868
.LBB6_1816:                             ;   in Loop: Header=BB6_1735 Depth=3
	s_cbranch_execnz .LBB6_1841
	s_branch .LBB6_1867
.LBB6_1817:                             ;   in Loop: Header=BB6_1735 Depth=3
	buffer_load_dword v4, off, s[0:3], s33 offset:132 ; 4-byte Folded Reload
	v_ashrrev_i32_e32 v0, 31, v15
	v_lshrrev_b32_e32 v0, 21, v0
	v_add_u32_e32 v0, v15, v0
	v_ashrrev_i32_e32 v0, 11, v0
	s_waitcnt vmcnt(0)
	v_sub_u32_e32 v7, v0, v4
	v_cmp_lt_i32_e32 vcc, 0, v7
	s_and_saveexec_b64 s[26:27], vcc
	s_cbranch_execz .LBB6_1821
; %bb.1818:                             ;   in Loop: Header=BB6_1735 Depth=3
	buffer_load_dword v4, off, s[0:3], s33 offset:168 ; 4-byte Folded Reload
	s_mov_b64 s[28:29], 0
	s_waitcnt vmcnt(0)
	v_add_co_u32_e32 v8, vcc, v40, v4
	v_addc_co_u32_e32 v9, vcc, 0, v41, vcc
	v_add_co_u32_e32 v10, vcc, v42, v4
	v_addc_co_u32_e32 v11, vcc, 0, v43, vcc
	v_add_co_u32_e32 v44, vcc, v18, v4
	v_addc_co_u32_e32 v45, vcc, 0, v19, vcc
.LBB6_1819:                             ;   Parent Loop BB6_47 Depth=1
                                        ;     Parent Loop BB6_1732 Depth=2
                                        ;       Parent Loop BB6_1735 Depth=3
                                        ; =>      This Inner Loop Header: Depth=4
	global_load_dwordx4 v[24:27], v[8:9], off glc slc
	global_load_dwordx4 v[50:53], v[8:9], off offset:1024 glc slc
	v_add_co_u32_e32 v8, vcc, v8, v36
	v_addc_co_u32_e32 v9, vcc, 0, v9, vcc
	v_sub_u32_e32 v7, v7, v16
	v_cmp_gt_i32_e32 vcc, 1, v7
	s_or_b64 s[28:29], vcc, s[28:29]
	s_waitcnt vmcnt(1)
	global_store_dwordx4 v[10:11], v[24:27], off glc slc
	s_waitcnt vmcnt(1)
	global_store_dwordx4 v[10:11], v[50:53], off offset:1024 glc slc
	global_store_dwordx4 v[44:45], v[24:27], off glc slc
	global_store_dwordx4 v[44:45], v[50:53], off offset:1024 glc slc
	v_add_co_u32_e32 v10, vcc, v10, v36
	v_addc_co_u32_e32 v11, vcc, 0, v11, vcc
	v_add_co_u32_e32 v44, vcc, v44, v36
	v_addc_co_u32_e32 v45, vcc, 0, v45, vcc
	s_andn2_b64 exec, exec, s[28:29]
	s_cbranch_execnz .LBB6_1819
; %bb.1820:                             ;   in Loop: Header=BB6_1735 Depth=3
	s_or_b64 exec, exec, s[28:29]
.LBB6_1821:                             ;   in Loop: Header=BB6_1735 Depth=3
	s_or_b64 exec, exec, s[26:27]
	v_lshlrev_b32_e32 v6, 11, v0
	v_cmp_ne_u32_e32 vcc, v15, v6
	s_mov_b64 s[26:27], 0
	v_mov_b32_e32 v0, 0
                                        ; implicit-def: $vgpr4
                                        ; implicit-def: $vgpr5
	s_and_saveexec_b64 s[88:89], vcc
	s_cbranch_execz .LBB6_1829
; %bb.1822:                             ;   in Loop: Header=BB6_1735 Depth=3
	buffer_load_dword v5, off, s[0:3], s33 offset:140 ; 4-byte Folded Reload
	v_lshlrev_b32_e32 v0, 6, v7
	v_sub_u32_e32 v4, v15, v6
	s_waitcnt vmcnt(0)
	v_sub_u32_e32 v0, v5, v0
	v_ashrrev_i32_e32 v5, 31, v0
	v_lshrrev_b32_e32 v5, 26, v5
	v_add_u32_e32 v5, v0, v5
	v_ashrrev_i32_e32 v7, 6, v5
	v_and_b32_e32 v5, 0xffffffc0, v5
	v_sub_u32_e32 v5, v0, v5
	v_lshlrev_b32_e32 v0, 4, v5
	v_lshl_add_u32 v8, v7, 10, v0
	v_ashrrev_i32_e32 v0, 31, v4
	v_lshrrev_b32_e32 v0, 22, v0
	v_add_u32_e32 v0, v4, v0
	v_ashrrev_i32_e32 v9, 10, v0
	v_and_b32_e32 v0, 0xfffffc00, v0
	v_sub_u32_e32 v17, v4, v8
	v_sub_u32_e32 v4, v4, v0
	v_cmp_lt_i32_e64 s[26:27], 15, v4
	v_addc_co_u32_e64 v9, vcc, 0, v9, s[26:27]
	v_sub_u32_e32 v7, v9, v7
	v_cmp_lt_i32_e32 vcc, 15, v17
	s_and_saveexec_b64 s[90:91], vcc
	s_cbranch_execz .LBB6_1828
; %bb.1823:                             ;   in Loop: Header=BB6_1735 Depth=3
	v_add_u32_e32 v8, v8, v6
	v_ashrrev_i32_e32 v9, 31, v8
	v_add_co_u32_e32 v44, vcc, v8, v40
	v_addc_co_u32_e32 v45, vcc, v9, v41, vcc
	v_add_co_u32_e32 v26, vcc, v8, v42
	v_addc_co_u32_e32 v27, vcc, v9, v43, vcc
	;; [unrolled: 2-line block ×3, first 2 shown]
	s_mov_b64 s[92:93], 0
.LBB6_1824:                             ;   Parent Loop BB6_47 Depth=1
                                        ;     Parent Loop BB6_1732 Depth=2
                                        ;       Parent Loop BB6_1735 Depth=3
                                        ; =>      This Loop Header: Depth=4
                                        ;           Child Loop BB6_1825 Depth 5
	global_load_dwordx4 v[8:11], v[44:45], off glc slc
	s_mov_b64 s[94:95], -1
	s_mov_b64 s[30:31], 0
	s_waitcnt vmcnt(0)
.LBB6_1825:                             ;   Parent Loop BB6_47 Depth=1
                                        ;     Parent Loop BB6_1732 Depth=2
                                        ;       Parent Loop BB6_1735 Depth=3
                                        ;         Parent Loop BB6_1824 Depth=4
                                        ; =>        This Inner Loop Header: Depth=5
	s_cmp_eq_u32 s30, 1
	s_cselect_b64 s[28:29], -1, 0
	v_cndmask_b32_e64 v21, v27, v35, s[28:29]
	v_cndmask_b32_e64 v20, v26, v34, s[28:29]
	global_store_dwordx4 v[20:21], v[8:11], off glc slc
	v_add_co_u32_e32 v20, vcc, 0x400, v20
	s_cmp_eq_u32 s30, 0
	v_addc_co_u32_e32 v21, vcc, 0, v21, vcc
	s_cselect_b64 vcc, -1, 0
	s_and_b64 s[40:41], exec, s[94:95]
	s_mov_b64 s[30:31], 1
	v_cndmask_b32_e64 v34, v34, v20, s[28:29]
	s_mov_b64 s[94:95], 0
	v_cndmask_b32_e64 v35, v35, v21, s[28:29]
	v_cndmask_b32_e32 v27, v27, v21, vcc
	v_cndmask_b32_e32 v26, v26, v20, vcc
	s_mov_b64 vcc, s[40:41]
	s_cbranch_vccnz .LBB6_1825
; %bb.1826:                             ;   in Loop: Header=BB6_1824 Depth=4
	buffer_load_dword v9, off, s[0:3], s33 offset:112 ; 4-byte Folded Reload
	v_add_u32_e32 v8, 0xfffffc00, v31
	v_add_co_u32_e32 v26, vcc, v26, v8
	v_sub_u32_e32 v17, v17, v31
	v_sub_u32_e32 v7, v7, v16
	s_waitcnt vmcnt(0)
	v_addc_co_u32_e32 v27, vcc, v27, v9, vcc
	v_add_co_u32_e32 v34, vcc, v34, v8
	buffer_load_dword v8, off, s[0:3], s33 offset:116 ; 4-byte Folded Reload
	v_addc_co_u32_e32 v35, vcc, v35, v9, vcc
	s_waitcnt vmcnt(0)
	v_add_co_u32_e32 v44, vcc, v8, v44
	buffer_load_dword v8, off, s[0:3], s33 offset:120 ; 4-byte Folded Reload
	s_waitcnt vmcnt(0)
	v_addc_co_u32_e32 v45, vcc, v8, v45, vcc
	v_cmp_gt_i32_e32 vcc, 16, v17
	s_or_b64 s[92:93], vcc, s[92:93]
	s_andn2_b64 exec, exec, s[92:93]
	s_cbranch_execnz .LBB6_1824
; %bb.1827:                             ;   in Loop: Header=BB6_1735 Depth=3
	s_or_b64 exec, exec, s[92:93]
.LBB6_1828:                             ;   in Loop: Header=BB6_1735 Depth=3
	s_or_b64 exec, exec, s[90:91]
	v_and_b32_e32 v8, 14, v15
	v_sub_u32_e32 v9, v4, v8
	v_cndmask_b32_e64 v9, 0, v9, s[26:27]
	v_cmp_lt_i32_e32 vcc, 0, v7
	v_add3_u32 v0, v0, v6, v9
	v_cndmask_b32_e64 v4, v4, v8, s[26:27]
	v_cndmask_b32_e32 v6, 0, v16, vcc
	v_sub_u32_e32 v6, v6, v7
	v_cmp_ne_u32_e32 vcc, 0, v4
	v_lshl_add_u32 v5, v6, 6, v5
	s_and_b64 s[26:27], vcc, exec
.LBB6_1829:                             ;   in Loop: Header=BB6_1735 Depth=3
	s_or_b64 exec, exec, s[88:89]
	s_and_saveexec_b64 s[40:41], s[26:27]
	s_cbranch_execz .LBB6_1840
.LBB6_1830:                             ;   in Loop: Header=BB6_1735 Depth=3
	v_ashrrev_i32_e32 v6, 31, v5
	v_ashrrev_i32_e32 v7, 31, v4
	v_lshrrev_b32_e32 v6, 26, v6
	v_lshrrev_b32_e32 v7, 22, v7
	v_add_u32_e32 v8, v5, v6
	v_add_u32_e32 v7, v4, v7
	v_ashrrev_i32_e32 v6, 6, v8
	v_ashrrev_i32_e32 v17, 10, v7
	v_sub_u32_e32 v7, v17, v6
	v_cmp_lt_i32_e32 vcc, 0, v7
	s_and_saveexec_b64 s[26:27], vcc
	s_cbranch_execz .LBB6_1834
; %bb.1831:                             ;   in Loop: Header=BB6_1735 Depth=3
	v_and_b32_e32 v8, 0x7fffffc0, v8
	v_sub_u32_e32 v8, v5, v8
	v_lshlrev_b32_e32 v8, 1, v8
	v_lshlrev_b32_e32 v9, 10, v6
	v_add3_u32 v20, v8, v0, v9
	v_ashrrev_i32_e32 v21, 31, v20
	v_add_co_u32_e32 v8, vcc, v20, v42
	v_addc_co_u32_e32 v9, vcc, v21, v43, vcc
	v_add_co_u32_e32 v10, vcc, v20, v18
	v_addc_co_u32_e32 v11, vcc, v21, v19, vcc
	;; [unrolled: 2-line block ×4, first 2 shown]
	s_mov_b64 s[28:29], 0
.LBB6_1832:                             ;   Parent Loop BB6_47 Depth=1
                                        ;     Parent Loop BB6_1732 Depth=2
                                        ;       Parent Loop BB6_1735 Depth=3
                                        ; =>      This Inner Loop Header: Depth=4
	v_add_co_u32_e32 v20, vcc, 0xfffffc80, v44
	v_addc_co_u32_e32 v21, vcc, -1, v45, vcc
	flat_load_ushort v26, v[20:21] glc slc
	v_add_co_u32_e32 v20, vcc, 0xfffffd00, v44
	v_addc_co_u32_e32 v21, vcc, -1, v45, vcc
	flat_load_ushort v24, v[20:21] glc slc
	;; [unrolled: 3-line block ×7, first 2 shown]
	s_nop 0
	flat_load_ushort v21, v[44:45] glc slc
	v_sub_u32_e32 v7, v7, v16
	s_waitcnt vmcnt(0) lgkmcnt(0)
	flat_store_short v[8:9], v26 glc slc
	flat_store_short v[8:9], v24 offset:128 glc slc
	flat_store_short v[8:9], v25 offset:256 glc slc
	;; [unrolled: 1-line block ×7, first 2 shown]
	flat_store_short v[10:11], v26 glc slc
	flat_store_short v[10:11], v24 offset:128 glc slc
	flat_store_short v[10:11], v25 offset:256 glc slc
	;; [unrolled: 1-line block ×7, first 2 shown]
	v_add_co_u32_e32 v8, vcc, v8, v31
	v_addc_co_u32_e32 v9, vcc, 0, v9, vcc
	v_add_co_u32_e32 v10, vcc, v10, v31
	v_addc_co_u32_e32 v11, vcc, 0, v11, vcc
	;; [unrolled: 2-line block ×3, first 2 shown]
	v_cmp_gt_i32_e32 vcc, 1, v7
	s_or_b64 s[28:29], vcc, s[28:29]
	s_andn2_b64 exec, exec, s[28:29]
	s_cbranch_execnz .LBB6_1832
; %bb.1833:                             ;   in Loop: Header=BB6_1735 Depth=3
	s_or_b64 exec, exec, s[28:29]
.LBB6_1834:                             ;   in Loop: Header=BB6_1735 Depth=3
	s_or_b64 exec, exec, s[26:27]
	v_lshlrev_b32_e32 v8, 10, v17
	v_cmp_ne_u32_e32 vcc, v4, v8
	s_and_b64 exec, exec, vcc
	s_cbranch_execz .LBB6_1840
; %bb.1835:                             ;   in Loop: Header=BB6_1735 Depth=3
	v_lshlrev_b32_e32 v6, 6, v6
	v_sub_u32_e32 v5, v5, v6
	v_lshlrev_b32_e32 v6, 6, v7
	v_sub_u32_e32 v5, v5, v6
	v_ashrrev_i32_e32 v6, 31, v5
	v_lshrrev_b32_e32 v6, 26, v6
	v_add_u32_e32 v6, v5, v6
	v_and_b32_e32 v7, 0x7fffffc0, v6
	v_sub_u32_e32 v5, v5, v7
	v_lshlrev_b32_e32 v6, 1, v6
	v_and_b32_e32 v6, 0xffffff80, v6
	v_lshlrev_b32_e32 v5, 1, v5
	v_add3_u32 v5, v6, v5, v8
	v_sub_u32_e32 v4, v4, v5
	v_cmp_lt_i32_e32 vcc, 1, v4
	s_and_b64 exec, exec, vcc
	s_cbranch_execz .LBB6_1840
; %bb.1836:                             ;   in Loop: Header=BB6_1735 Depth=3
	v_add_u32_e32 v6, v5, v0
	v_ashrrev_i32_e32 v7, 31, v6
	v_add_co_u32_e32 v8, vcc, v6, v40
	v_addc_co_u32_e32 v9, vcc, v7, v41, vcc
	v_add_co_u32_e32 v0, vcc, v6, v42
	v_addc_co_u32_e32 v5, vcc, v7, v43, vcc
	;; [unrolled: 2-line block ×3, first 2 shown]
	s_mov_b64 s[88:89], 0
.LBB6_1837:                             ;   Parent Loop BB6_47 Depth=1
                                        ;     Parent Loop BB6_1732 Depth=2
                                        ;       Parent Loop BB6_1735 Depth=3
                                        ; =>      This Loop Header: Depth=4
                                        ;           Child Loop BB6_1838 Depth 5
	flat_load_ushort v10, v[8:9] glc slc
	s_mov_b64 s[90:91], -1
	s_mov_b64 s[92:93], 0
	s_waitcnt vmcnt(0)
.LBB6_1838:                             ;   Parent Loop BB6_47 Depth=1
                                        ;     Parent Loop BB6_1732 Depth=2
                                        ;       Parent Loop BB6_1735 Depth=3
                                        ;         Parent Loop BB6_1837 Depth=4
                                        ; =>        This Inner Loop Header: Depth=5
	s_cmp_eq_u32 s92, 1
	s_cselect_b64 s[26:27], -1, 0
	v_cndmask_b32_e64 v17, v0, v6, s[26:27]
	v_cndmask_b32_e64 v18, v5, v7, s[26:27]
	v_add_co_u32_e32 v11, vcc, 0x80, v17
	s_cmp_eq_u32 s92, 0
	s_waitcnt lgkmcnt(0)
	flat_store_short v[17:18], v10 glc slc
	v_addc_co_u32_e32 v17, vcc, 0, v18, vcc
	s_cselect_b64 vcc, -1, 0
	s_and_b64 s[28:29], exec, s[90:91]
	s_mov_b64 s[92:93], 1
	v_cndmask_b32_e64 v6, v6, v11, s[26:27]
	s_mov_b64 s[90:91], 0
	v_cndmask_b32_e64 v7, v7, v17, s[26:27]
	v_cndmask_b32_e32 v5, v5, v17, vcc
	v_cndmask_b32_e32 v0, v0, v11, vcc
	s_mov_b64 vcc, s[28:29]
	s_cbranch_vccnz .LBB6_1838
; %bb.1839:                             ;   in Loop: Header=BB6_1837 Depth=4
	buffer_load_dword v11, off, s[0:3], s33 offset:80 ; 4-byte Folded Reload
	v_add_u32_e32 v10, 0xffffff80, v1
	v_add_co_u32_e32 v0, vcc, v0, v10
	v_sub_u32_e32 v4, v4, v1
	s_waitcnt vmcnt(0)
	v_addc_co_u32_e32 v5, vcc, v5, v11, vcc
	v_add_co_u32_e32 v6, vcc, v6, v10
	buffer_load_dword v10, off, s[0:3], s33 offset:84 ; 4-byte Folded Reload
	v_addc_co_u32_e32 v7, vcc, v7, v11, vcc
	v_cmp_gt_i32_e32 vcc, 2, v4
	s_or_b64 s[88:89], vcc, s[88:89]
	s_waitcnt vmcnt(0)
	v_add_co_u32_e32 v8, vcc, v10, v8
	buffer_load_dword v10, off, s[0:3], s33 offset:88 ; 4-byte Folded Reload
	s_waitcnt vmcnt(0)
	v_addc_co_u32_e32 v9, vcc, v10, v9, vcc
	s_andn2_b64 exec, exec, s[88:89]
	s_cbranch_execnz .LBB6_1837
.LBB6_1840:                             ;   in Loop: Header=BB6_1735 Depth=3
	s_or_b64 exec, exec, s[40:41]
	s_branch .LBB6_1867
.LBB6_1841:                             ;   in Loop: Header=BB6_1735 Depth=3
	s_mov_b64 s[26:27], -1
	s_and_saveexec_b64 s[28:29], s[20:21]
	s_cbranch_execz .LBB6_1843
; %bb.1842:                             ;   in Loop: Header=BB6_1735 Depth=3
	ds_read_b32 v0, v0 offset:720
	s_waitcnt lgkmcnt(0)
	v_and_b32_e32 v0, 15, v0
	v_cmp_eq_u32_e32 vcc, 0, v0
	s_orn2_b64 s[26:27], vcc, exec
.LBB6_1843:                             ;   in Loop: Header=BB6_1735 Depth=3
	s_or_b64 exec, exec, s[28:29]
	s_and_saveexec_b64 s[28:29], s[18:19]
	s_cbranch_execz .LBB6_1845
; %bb.1844:                             ;   in Loop: Header=BB6_1735 Depth=3
	ds_read_b32 v0, v0 offset:784
	s_waitcnt lgkmcnt(0)
	v_and_b32_e32 v0, 15, v0
	v_cmp_eq_u32_e32 vcc, 0, v0
	s_and_b64 s[40:41], s[26:27], vcc
	s_andn2_b64 s[26:27], s[26:27], exec
	s_and_b64 s[40:41], s[40:41], exec
	s_or_b64 s[26:27], s[26:27], s[40:41]
.LBB6_1845:                             ;   in Loop: Header=BB6_1735 Depth=3
	s_or_b64 exec, exec, s[28:29]
	s_xor_b64 s[26:27], s[26:27], -1
	v_cndmask_b32_e64 v4, 0, 1, s[26:27]
	s_mov_b64 s[40:41], -1
	v_mov_b32_e32 v0, 0
	v_cmp_ne_u32_e32 vcc, 0, v4
	s_cbranch_vccz .LBB6_1847
; %bb.1846:                             ;   in Loop: Header=BB6_1735 Depth=3
	v_mov_b32_e32 v4, v56
	s_and_saveexec_b64 s[26:27], s[40:41]
	s_cbranch_execnz .LBB6_1858
	s_branch .LBB6_1866
.LBB6_1847:                             ;   in Loop: Header=BB6_1735 Depth=3
	buffer_load_dword v4, off, s[0:3], s33 offset:132 ; 4-byte Folded Reload
	v_ashrrev_i32_e32 v0, 31, v15
	v_lshrrev_b32_e32 v0, 20, v0
	v_add_u32_e32 v0, v15, v0
	v_ashrrev_i32_e32 v0, 12, v0
	s_waitcnt vmcnt(0)
	v_sub_u32_e32 v6, v0, v4
	v_cmp_lt_i32_e32 vcc, 0, v6
	s_and_saveexec_b64 s[26:27], vcc
	s_cbranch_execz .LBB6_1851
; %bb.1848:                             ;   in Loop: Header=BB6_1735 Depth=3
	buffer_load_dword v21, off, s[0:3], s33 offset:136 ; 4-byte Folded Reload
	v_mov_b32_e32 v8, v42
	v_mov_b32_e32 v10, v40
	s_mov_b64 s[28:29], 0
	v_mov_b32_e32 v9, v43
	v_mov_b32_e32 v11, v41
	v_lshlrev_b32_e32 v7, 12, v16
.LBB6_1849:                             ;   Parent Loop BB6_47 Depth=1
                                        ;     Parent Loop BB6_1732 Depth=2
                                        ;       Parent Loop BB6_1735 Depth=3
                                        ; =>      This Inner Loop Header: Depth=4
	s_waitcnt vmcnt(0)
	v_add_co_u32_e32 v4, vcc, v21, v10
	v_addc_co_u32_e32 v5, vcc, 0, v11, vcc
	global_load_dwordx4 v[17:20], v[4:5], off glc slc
	global_load_dwordx4 v[24:27], v[4:5], off offset:1024 glc slc
	global_load_dwordx4 v[50:53], v[4:5], off offset:2048 glc slc
	;; [unrolled: 1-line block ×3, first 2 shown]
	v_add_co_u32_e32 v4, vcc, v21, v8
	v_addc_co_u32_e32 v5, vcc, 0, v9, vcc
	v_add_co_u32_e32 v10, vcc, v10, v7
	v_addc_co_u32_e32 v11, vcc, 0, v11, vcc
	v_add_co_u32_e32 v8, vcc, v8, v7
	v_sub_u32_e32 v6, v6, v16
	v_addc_co_u32_e32 v9, vcc, 0, v9, vcc
	v_cmp_gt_i32_e32 vcc, 1, v6
	s_or_b64 s[28:29], vcc, s[28:29]
	s_waitcnt vmcnt(0)
	global_store_dwordx4 v[4:5], v[17:20], off glc slc
	global_store_dwordx4 v[4:5], v[24:27], off offset:1024 glc slc
	global_store_dwordx4 v[4:5], v[50:53], off offset:2048 glc slc
	;; [unrolled: 1-line block ×3, first 2 shown]
	s_andn2_b64 exec, exec, s[28:29]
	s_cbranch_execnz .LBB6_1849
; %bb.1850:                             ;   in Loop: Header=BB6_1735 Depth=3
	s_or_b64 exec, exec, s[28:29]
.LBB6_1851:                             ;   in Loop: Header=BB6_1735 Depth=3
	s_or_b64 exec, exec, s[26:27]
	v_lshlrev_b32_e32 v5, 12, v0
	v_cmp_ne_u32_e32 vcc, v15, v5
	s_mov_b64 s[40:41], 0
	v_mov_b32_e32 v0, 0
                                        ; implicit-def: $vgpr4
	s_and_saveexec_b64 s[28:29], vcc
	s_cbranch_execz .LBB6_1857
; %bb.1852:                             ;   in Loop: Header=BB6_1735 Depth=3
	buffer_load_dword v4, off, s[0:3], s33 offset:140 ; 4-byte Folded Reload
	v_lshlrev_b32_e32 v0, 6, v6
	v_sub_u32_e32 v7, v15, v5
	s_waitcnt vmcnt(0)
	v_sub_u32_e32 v0, v4, v0
	v_ashrrev_i32_e32 v4, 31, v0
	v_lshrrev_b32_e32 v4, 26, v4
	v_add_u32_e32 v4, v0, v4
	v_ashrrev_i32_e32 v10, 6, v4
	v_and_b32_e32 v4, 0xffffffc0, v4
	v_sub_u32_e32 v4, v0, v4
	v_lshlrev_b32_e32 v0, 4, v4
	v_lshl_add_u32 v9, v10, 10, v0
	v_ashrrev_i32_e32 v0, 31, v7
	v_lshrrev_b32_e32 v0, 22, v0
	v_add_u32_e32 v0, v7, v0
	v_ashrrev_i32_e32 v11, 10, v0
	v_and_b32_e32 v0, 0xfffffc00, v0
	v_sub_u32_e32 v6, v7, v0
	v_cmp_lt_i32_e32 vcc, 15, v6
	v_sub_u32_e32 v8, v7, v9
	v_addc_co_u32_e64 v7, s[26:27], 0, v11, vcc
	v_sub_u32_e32 v7, v7, v10
	v_cmp_lt_i32_e64 s[26:27], 15, v8
	s_and_saveexec_b64 s[40:41], s[26:27]
	s_cbranch_execz .LBB6_1856
; %bb.1853:                             ;   in Loop: Header=BB6_1735 Depth=3
	v_add_u32_e32 v9, v9, v5
	v_ashrrev_i32_e32 v10, 31, v9
	s_mov_b64 s[88:89], 0
.LBB6_1854:                             ;   Parent Loop BB6_47 Depth=1
                                        ;     Parent Loop BB6_1732 Depth=2
                                        ;       Parent Loop BB6_1735 Depth=3
                                        ; =>      This Inner Loop Header: Depth=4
	v_add_co_u32_e64 v17, s[26:27], v40, v9
	v_addc_co_u32_e64 v18, s[26:27], v41, v10, s[26:27]
	global_load_dwordx4 v[17:20], v[17:18], off glc slc
	v_add_co_u32_e64 v24, s[26:27], v42, v9
	v_addc_co_u32_e64 v25, s[26:27], v43, v10, s[26:27]
	v_add_co_u32_e64 v9, s[26:27], v9, v31
	v_sub_u32_e32 v8, v8, v31
	v_addc_co_u32_e64 v10, s[26:27], 0, v10, s[26:27]
	v_cmp_gt_i32_e64 s[26:27], 16, v8
	v_sub_u32_e32 v7, v7, v16
	s_or_b64 s[88:89], s[26:27], s[88:89]
	s_waitcnt vmcnt(0)
	global_store_dwordx4 v[24:25], v[17:20], off glc slc
	s_andn2_b64 exec, exec, s[88:89]
	s_cbranch_execnz .LBB6_1854
; %bb.1855:                             ;   in Loop: Header=BB6_1735 Depth=3
	s_or_b64 exec, exec, s[88:89]
.LBB6_1856:                             ;   in Loop: Header=BB6_1735 Depth=3
	s_or_b64 exec, exec, s[40:41]
	v_and_b32_e32 v8, 14, v15
	v_sub_u32_e32 v9, v6, v8
	v_cndmask_b32_e32 v9, 0, v9, vcc
	v_cndmask_b32_e32 v15, v6, v8, vcc
	v_cmp_lt_i32_e32 vcc, 0, v7
	v_add3_u32 v0, v0, v5, v9
	v_cndmask_b32_e32 v5, 0, v16, vcc
	v_sub_u32_e32 v5, v5, v7
	v_cmp_ne_u32_e32 vcc, 0, v15
	v_lshl_add_u32 v4, v5, 6, v4
	s_and_b64 s[40:41], vcc, exec
.LBB6_1857:                             ;   in Loop: Header=BB6_1735 Depth=3
	s_or_b64 exec, exec, s[28:29]
	s_and_saveexec_b64 s[26:27], s[40:41]
	s_cbranch_execz .LBB6_1866
.LBB6_1858:                             ;   in Loop: Header=BB6_1735 Depth=3
	v_ashrrev_i32_e32 v5, 31, v4
	v_ashrrev_i32_e32 v6, 31, v15
	v_lshrrev_b32_e32 v5, 26, v5
	v_lshrrev_b32_e32 v6, 22, v6
	v_add_u32_e32 v8, v4, v5
	v_add_u32_e32 v6, v15, v6
	v_ashrrev_i32_e32 v5, 6, v8
	v_ashrrev_i32_e32 v7, 10, v6
	v_sub_u32_e32 v6, v7, v5
	v_cmp_lt_i32_e32 vcc, 0, v6
	s_and_saveexec_b64 s[28:29], vcc
	s_cbranch_execz .LBB6_1862
; %bb.1859:                             ;   in Loop: Header=BB6_1735 Depth=3
	v_and_b32_e32 v8, 0x7fffffc0, v8
	v_sub_u32_e32 v8, v4, v8
	v_lshlrev_b32_e32 v8, 1, v8
	v_lshlrev_b32_e32 v9, 10, v5
	v_add3_u32 v17, v8, v0, v9
	v_mov_b32_e32 v8, v42
	v_mov_b32_e32 v10, v40
	v_ashrrev_i32_e32 v18, 31, v17
	s_mov_b64 s[40:41], 0
	v_mov_b32_e32 v9, v43
	v_mov_b32_e32 v11, v41
.LBB6_1860:                             ;   Parent Loop BB6_47 Depth=1
                                        ;     Parent Loop BB6_1732 Depth=2
                                        ;       Parent Loop BB6_1735 Depth=3
                                        ; =>      This Inner Loop Header: Depth=4
	v_add_co_u32_e32 v19, vcc, v17, v10
	v_addc_co_u32_e32 v20, vcc, v18, v11, vcc
	flat_load_ushort v21, v[19:20] glc slc
	flat_load_ushort v24, v[19:20] offset:128 glc slc
	flat_load_ushort v25, v[19:20] offset:256 glc slc
	;; [unrolled: 1-line block ×7, first 2 shown]
	v_add_co_u32_e32 v19, vcc, v17, v8
	v_addc_co_u32_e32 v20, vcc, v18, v9, vcc
	v_add_co_u32_e32 v10, vcc, v10, v31
	v_addc_co_u32_e32 v11, vcc, 0, v11, vcc
	v_add_co_u32_e32 v8, vcc, v8, v31
	v_sub_u32_e32 v6, v6, v16
	v_addc_co_u32_e32 v9, vcc, 0, v9, vcc
	v_cmp_gt_i32_e32 vcc, 1, v6
	s_or_b64 s[40:41], vcc, s[40:41]
	s_waitcnt vmcnt(0) lgkmcnt(0)
	flat_store_short v[19:20], v21 glc slc
	flat_store_short v[19:20], v24 offset:128 glc slc
	flat_store_short v[19:20], v25 offset:256 glc slc
	;; [unrolled: 1-line block ×7, first 2 shown]
	s_andn2_b64 exec, exec, s[40:41]
	s_cbranch_execnz .LBB6_1860
; %bb.1861:                             ;   in Loop: Header=BB6_1735 Depth=3
	s_or_b64 exec, exec, s[40:41]
.LBB6_1862:                             ;   in Loop: Header=BB6_1735 Depth=3
	s_or_b64 exec, exec, s[28:29]
	v_lshlrev_b32_e32 v7, 10, v7
	v_cmp_ne_u32_e32 vcc, v15, v7
	s_and_b64 exec, exec, vcc
	s_cbranch_execz .LBB6_1866
; %bb.1863:                             ;   in Loop: Header=BB6_1735 Depth=3
	v_lshlrev_b32_e32 v5, 6, v5
	v_sub_u32_e32 v4, v4, v5
	v_lshlrev_b32_e32 v5, 6, v6
	v_sub_u32_e32 v4, v4, v5
	v_ashrrev_i32_e32 v5, 31, v4
	v_lshrrev_b32_e32 v5, 26, v5
	v_add_u32_e32 v5, v4, v5
	v_and_b32_e32 v6, 0x7fffffc0, v5
	v_sub_u32_e32 v4, v4, v6
	v_lshlrev_b32_e32 v5, 1, v5
	v_and_b32_e32 v5, 0xffffff80, v5
	v_lshlrev_b32_e32 v4, 1, v4
	v_add3_u32 v5, v5, v4, v7
	v_sub_u32_e32 v4, v15, v5
	v_cmp_lt_i32_e32 vcc, 1, v4
	s_and_b64 exec, exec, vcc
	s_cbranch_execz .LBB6_1866
; %bb.1864:                             ;   in Loop: Header=BB6_1735 Depth=3
	v_add_u32_e32 v0, v5, v0
	v_ashrrev_i32_e32 v5, 31, v0
	s_mov_b64 s[28:29], 0
.LBB6_1865:                             ;   Parent Loop BB6_47 Depth=1
                                        ;     Parent Loop BB6_1732 Depth=2
                                        ;       Parent Loop BB6_1735 Depth=3
                                        ; =>      This Inner Loop Header: Depth=4
	v_add_co_u32_e32 v6, vcc, v40, v0
	v_addc_co_u32_e32 v7, vcc, v41, v5, vcc
	flat_load_ushort v8, v[6:7] glc slc
	v_add_co_u32_e32 v6, vcc, v42, v0
	v_addc_co_u32_e32 v7, vcc, v43, v5, vcc
	v_add_co_u32_e32 v0, vcc, v0, v1
	v_sub_u32_e32 v4, v4, v1
	v_addc_co_u32_e32 v5, vcc, 0, v5, vcc
	v_cmp_gt_i32_e32 vcc, 2, v4
	s_or_b64 s[28:29], vcc, s[28:29]
	s_waitcnt vmcnt(0) lgkmcnt(0)
	flat_store_short v[6:7], v8 glc slc
	s_andn2_b64 exec, exec, s[28:29]
	s_cbranch_execnz .LBB6_1865
.LBB6_1866:                             ;   in Loop: Header=BB6_1735 Depth=3
	s_or_b64 exec, exec, s[26:27]
.LBB6_1867:                             ;   in Loop: Header=BB6_1735 Depth=3
	v_cmp_lt_i32_e64 s[26:27], 0, v13
	buffer_load_dword v42, off, s[0:3], s33 offset:124 ; 4-byte Folded Reload
	buffer_load_dword v43, off, s[0:3], s33 offset:128 ; 4-byte Folded Reload
	s_and_saveexec_b64 s[28:29], s[10:11]
	s_cbranch_execz .LBB6_1811
.LBB6_1868:                             ;   in Loop: Header=BB6_1735 Depth=3
	s_and_saveexec_b64 s[40:41], s[56:57]
	s_xor_b64 s[40:41], exec, s[40:41]
	s_cbranch_execz .LBB6_1883
; %bb.1869:                             ;   in Loop: Header=BB6_1735 Depth=3
	s_and_saveexec_b64 s[88:89], s[16:17]
	s_cbranch_execz .LBB6_1882
; %bb.1870:                             ;   in Loop: Header=BB6_1735 Depth=3
	s_mov_b64 s[92:93], exec
	v_mbcnt_lo_u32_b32 v0, s92, 0
	v_mbcnt_hi_u32_b32 v0, s93, v0
	v_cmp_eq_u32_e32 vcc, 0, v0
	s_waitcnt vmcnt(0) lgkmcnt(0)
	buffer_wbinvl1_vol
	s_and_saveexec_b64 s[90:91], vcc
	s_cbranch_execz .LBB6_1872
; %bb.1871:                             ;   in Loop: Header=BB6_1735 Depth=3
	s_bcnt1_i32_b64 s92, s[92:93]
	v_mov_b32_e32 v4, s92
	v_mov_b32_e32 v5, v2
	ds_add_u64 v0, v[4:5]
	s_trap 2
.LBB6_1872:                             ;   in Loop: Header=BB6_1735 Depth=3
	s_or_b64 exec, exec, s[90:91]
	s_trap 2
	ds_read_b64 v[4:5], v0
	s_waitcnt lgkmcnt(0)
	v_add_co_u32_e32 v32, vcc, v32, v16
	v_addc_co_u32_e32 v33, vcc, 0, v33, vcc
	v_cmp_lt_u64_e32 vcc, v[4:5], v[32:33]
	s_and_saveexec_b64 s[90:91], vcc
	s_cbranch_execz .LBB6_1881
; %bb.1873:                             ;   in Loop: Header=BB6_1735 Depth=3
	s_mov_b32 s38, 0
	s_mov_b64 s[92:93], 0
                                        ; implicit-def: $sgpr94_sgpr95
                                        ; implicit-def: $sgpr30_sgpr31
	s_branch .LBB6_1875
.LBB6_1874:                             ;   in Loop: Header=BB6_1875 Depth=4
	s_or_b64 exec, exec, s[36:37]
	s_and_b64 vcc, exec, vcc
	s_or_b64 s[92:93], vcc, s[92:93]
	s_andn2_b64 s[94:95], s[94:95], exec
	s_and_b64 vcc, s[30:31], exec
	s_or_b64 s[94:95], s[94:95], vcc
	s_andn2_b64 exec, exec, s[92:93]
	s_cbranch_execz .LBB6_1879
.LBB6_1875:                             ;   Parent Loop BB6_47 Depth=1
                                        ;     Parent Loop BB6_1732 Depth=2
                                        ;       Parent Loop BB6_1735 Depth=3
                                        ; =>      This Inner Loop Header: Depth=4
	s_add_i32 s38, s38, 1
	s_cmpk_lg_i32 s38, 0x2710
	s_cselect_b64 s[34:35], -1, 0
	s_and_b64 vcc, exec, s[34:35]
	s_cbranch_vccz .LBB6_1877
; %bb.1876:                             ;   in Loop: Header=BB6_1875 Depth=4
	s_mov_b64 vcc, -1
	s_or_b64 s[30:31], s[30:31], exec
	s_and_saveexec_b64 s[36:37], s[34:35]
	s_cbranch_execz .LBB6_1874
	s_branch .LBB6_1878
.LBB6_1877:                             ;   in Loop: Header=BB6_1875 Depth=4
	s_trap 2
	ds_read_b64 v[4:5], v0
	s_andn2_b64 s[34:35], s[34:35], exec
	s_mov_b32 s38, 0
	s_waitcnt lgkmcnt(0)
	flat_load_dword v0, v[4:5] glc
	s_waitcnt vmcnt(0) lgkmcnt(0)
	buffer_wbinvl1_vol
	v_cmp_eq_u32_e32 vcc, 0, v0
	s_and_b64 vcc, vcc, exec
	s_or_b64 s[34:35], s[34:35], vcc
	s_mov_b64 vcc, -1
	s_or_b64 s[30:31], s[30:31], exec
	s_and_saveexec_b64 s[36:37], s[34:35]
	s_cbranch_execz .LBB6_1874
.LBB6_1878:                             ;   in Loop: Header=BB6_1875 Depth=4
	s_sleep 1
	s_trap 2
	ds_read_b64 v[4:5], v0
	s_waitcnt lgkmcnt(0)
	s_andn2_b64 s[30:31], s[30:31], exec
	v_cmp_ge_u64_e32 vcc, v[4:5], v[32:33]
	s_orn2_b64 vcc, vcc, exec
	s_branch .LBB6_1874
.LBB6_1879:                             ;   in Loop: Header=BB6_1735 Depth=3
	s_or_b64 exec, exec, s[92:93]
	s_and_saveexec_b64 s[92:93], s[94:95]
	s_xor_b64 s[92:93], exec, s[92:93]
	s_cbranch_execz .LBB6_1881
; %bb.1880:                             ;   in Loop: Header=BB6_1735 Depth=3
	v_mov_b32_e32 v0, 1
	ds_write_b32 v0, v0
	s_trap 2
.LBB6_1881:                             ;   in Loop: Header=BB6_1735 Depth=3
	s_or_b64 exec, exec, s[90:91]
	;;#ASMSTART
	s_wakeup
	;;#ASMEND
.LBB6_1882:                             ;   in Loop: Header=BB6_1735 Depth=3
	s_or_b64 exec, exec, s[88:89]
.LBB6_1883:                             ;   in Loop: Header=BB6_1735 Depth=3
	s_andn2_saveexec_b64 s[40:41], s[40:41]
	s_cbranch_execz .LBB6_1885
; %bb.1884:                             ;   in Loop: Header=BB6_1735 Depth=3
	s_waitcnt vmcnt(0) lgkmcnt(0)
	buffer_wbinvl1_vol
	s_barrier
.LBB6_1885:                             ;   in Loop: Header=BB6_1735 Depth=3
	s_or_b64 exec, exec, s[40:41]
	s_or_b64 exec, exec, s[28:29]
                                        ; implicit-def: $vgpr0
	s_and_saveexec_b64 s[28:29], s[24:25]
	s_xor_b64 s[28:29], exec, s[28:29]
	s_cbranch_execnz .LBB6_1812
.LBB6_1886:                             ;   in Loop: Header=BB6_1735 Depth=3
	s_andn2_saveexec_b64 s[26:27], s[28:29]
	s_cbranch_execz .LBB6_1905
.LBB6_1887:                             ;   in Loop: Header=BB6_1735 Depth=3
	s_and_saveexec_b64 s[28:29], s[56:57]
	s_xor_b64 s[28:29], exec, s[28:29]
	s_cbranch_execz .LBB6_1902
; %bb.1888:                             ;   in Loop: Header=BB6_1735 Depth=3
	s_and_saveexec_b64 s[40:41], s[16:17]
	s_cbranch_execz .LBB6_1901
; %bb.1889:                             ;   in Loop: Header=BB6_1735 Depth=3
	s_mov_b64 s[90:91], exec
	v_mbcnt_lo_u32_b32 v0, s90, 0
	v_mbcnt_hi_u32_b32 v0, s91, v0
	v_cmp_eq_u32_e32 vcc, 0, v0
	;;#ASMSTART
	s_waitcnt lgkmcnt(0) vmcnt(0)
	;;#ASMEND
	s_and_saveexec_b64 s[88:89], vcc
	s_cbranch_execz .LBB6_1891
; %bb.1890:                             ;   in Loop: Header=BB6_1735 Depth=3
	s_bcnt1_i32_b64 s90, s[90:91]
	v_mov_b32_e32 v4, s90
	v_mov_b32_e32 v5, v2
	s_waitcnt lgkmcnt(0)
	ds_add_u64 v0, v[4:5]
	s_trap 2
.LBB6_1891:                             ;   in Loop: Header=BB6_1735 Depth=3
	s_or_b64 exec, exec, s[88:89]
	s_trap 2
	ds_read_b64 v[4:5], v0
	s_waitcnt lgkmcnt(0)
	v_add_co_u32_e32 v32, vcc, v32, v16
	v_addc_co_u32_e32 v33, vcc, 0, v33, vcc
	v_cmp_lt_u64_e32 vcc, v[4:5], v[32:33]
	s_and_saveexec_b64 s[88:89], vcc
	s_cbranch_execz .LBB6_1900
; %bb.1892:                             ;   in Loop: Header=BB6_1735 Depth=3
	s_mov_b32 s36, 0
	s_mov_b64 s[90:91], 0
                                        ; implicit-def: $sgpr92_sgpr93
                                        ; implicit-def: $sgpr94_sgpr95
	s_branch .LBB6_1894
.LBB6_1893:                             ;   in Loop: Header=BB6_1894 Depth=4
	s_or_b64 exec, exec, s[34:35]
	s_and_b64 vcc, exec, vcc
	s_or_b64 s[90:91], vcc, s[90:91]
	s_andn2_b64 s[92:93], s[92:93], exec
	s_and_b64 vcc, s[94:95], exec
	s_or_b64 s[92:93], s[92:93], vcc
	s_andn2_b64 exec, exec, s[90:91]
	s_cbranch_execz .LBB6_1898
.LBB6_1894:                             ;   Parent Loop BB6_47 Depth=1
                                        ;     Parent Loop BB6_1732 Depth=2
                                        ;       Parent Loop BB6_1735 Depth=3
                                        ; =>      This Inner Loop Header: Depth=4
	s_add_i32 s36, s36, 1
	s_cmpk_lg_i32 s36, 0x2710
	s_cselect_b64 s[30:31], -1, 0
	s_and_b64 vcc, exec, s[30:31]
	s_cbranch_vccz .LBB6_1896
; %bb.1895:                             ;   in Loop: Header=BB6_1894 Depth=4
	s_mov_b64 vcc, -1
	s_or_b64 s[94:95], s[94:95], exec
	s_and_saveexec_b64 s[34:35], s[30:31]
	s_cbranch_execz .LBB6_1893
	s_branch .LBB6_1897
.LBB6_1896:                             ;   in Loop: Header=BB6_1894 Depth=4
	s_trap 2
	ds_read_b64 v[4:5], v0
	s_andn2_b64 s[30:31], s[30:31], exec
	s_mov_b32 s36, 0
	s_waitcnt vmcnt(0) lgkmcnt(0)
	flat_load_dword v0, v[4:5] glc
	s_waitcnt vmcnt(0) lgkmcnt(0)
	buffer_wbinvl1_vol
	v_cmp_eq_u32_e32 vcc, 0, v0
	s_and_b64 vcc, vcc, exec
	s_or_b64 s[30:31], s[30:31], vcc
	s_mov_b64 vcc, -1
	s_or_b64 s[94:95], s[94:95], exec
	s_and_saveexec_b64 s[34:35], s[30:31]
	s_cbranch_execz .LBB6_1893
.LBB6_1897:                             ;   in Loop: Header=BB6_1894 Depth=4
	s_sleep 1
	s_trap 2
	ds_read_b64 v[4:5], v0
	s_waitcnt lgkmcnt(0)
	s_andn2_b64 s[94:95], s[94:95], exec
	v_cmp_ge_u64_e32 vcc, v[4:5], v[32:33]
	s_orn2_b64 vcc, vcc, exec
	s_branch .LBB6_1893
.LBB6_1898:                             ;   in Loop: Header=BB6_1735 Depth=3
	s_or_b64 exec, exec, s[90:91]
	s_and_saveexec_b64 s[90:91], s[92:93]
	s_xor_b64 s[90:91], exec, s[90:91]
	s_cbranch_execz .LBB6_1900
; %bb.1899:                             ;   in Loop: Header=BB6_1735 Depth=3
	v_mov_b32_e32 v0, 1
	ds_write_b32 v0, v0
	s_trap 2
.LBB6_1900:                             ;   in Loop: Header=BB6_1735 Depth=3
	s_or_b64 exec, exec, s[88:89]
	;;#ASMSTART
	s_wakeup
	;;#ASMEND
.LBB6_1901:                             ;   in Loop: Header=BB6_1735 Depth=3
	s_or_b64 exec, exec, s[40:41]
.LBB6_1902:                             ;   in Loop: Header=BB6_1735 Depth=3
	s_andn2_saveexec_b64 s[28:29], s[28:29]
	s_cbranch_execz .LBB6_1904
; %bb.1903:                             ;   in Loop: Header=BB6_1735 Depth=3
	;;#ASMSTART
	s_waitcnt lgkmcnt(0) vmcnt(0)
	;;#ASMEND
	s_waitcnt vmcnt(0) lgkmcnt(0)
	s_barrier
.LBB6_1904:                             ;   in Loop: Header=BB6_1735 Depth=3
	s_or_b64 exec, exec, s[28:29]
	v_and_b32_e32 v0, 16, v30
.LBB6_1905:                             ;   in Loop: Header=BB6_1735 Depth=3
	s_or_b64 exec, exec, s[26:27]
	v_cmp_ne_u32_e32 vcc, 0, v0
	s_xor_b64 s[26:27], s[12:13], -1
	s_and_b64 s[28:29], vcc, s[26:27]
	s_and_saveexec_b64 s[26:27], s[28:29]
	s_cbranch_execz .LBB6_1907
; %bb.1906:                             ;   in Loop: Header=BB6_1735 Depth=3
	buffer_load_dword v4, off, s[0:3], s33 offset:68 ; 4-byte Folded Reload
	buffer_load_dword v5, off, s[0:3], s33 offset:72 ; 4-byte Folded Reload
	v_mov_b32_e32 v0, 1
	s_waitcnt vmcnt(0)
	flat_store_dword v[4:5], v0
.LBB6_1907:                             ;   in Loop: Header=BB6_1735 Depth=3
	s_or_b64 exec, exec, s[26:27]
	v_and_b32_e32 v0, 48, v30
	v_cmp_ne_u32_e32 vcc, 0, v0
	s_and_saveexec_b64 s[26:27], vcc
	s_cbranch_execz .LBB6_1734
; %bb.1908:                             ;   in Loop: Header=BB6_1735 Depth=3
	v_add_co_u32_e32 v48, vcc, 2, v48
	v_addc_co_u32_e32 v49, vcc, 0, v49, vcc
	flat_store_dwordx2 v[22:23], v[48:49]
	s_branch .LBB6_1734
.LBB6_1909:                             ;   in Loop: Header=BB6_1732 Depth=2
	s_or_b64 exec, exec, s[42:43]
	v_cmp_gt_i32_e32 vcc, 2, v0
	s_and_saveexec_b64 s[28:29], vcc
	s_cbranch_execz .LBB6_1985
.LBB6_1910:                             ;   in Loop: Header=BB6_1732 Depth=2
	v_cmp_eq_u32_e64 s[42:43], 0, v0
	s_mov_b64 s[40:41], 0
	s_branch .LBB6_1912
.LBB6_1911:                             ;   in Loop: Header=BB6_1912 Depth=3
	s_or_b64 exec, exec, s[26:27]
	v_add_u32_e32 v14, v12, v14
	s_mov_b64 s[42:43], 0
	s_andn2_b64 exec, exec, s[40:41]
	s_cbranch_execz .LBB6_1986
.LBB6_1912:                             ;   Parent Loop BB6_47 Depth=1
                                        ;     Parent Loop BB6_1732 Depth=2
                                        ; =>    This Loop Header: Depth=3
                                        ;         Child Loop BB6_1918 Depth 4
                                        ;         Child Loop BB6_1946 Depth 4
	;; [unrolled: 1-line block ×3, first 2 shown]
	v_sub_u32_e32 v0, v3, v14
	v_min_i32_e32 v12, v12, v0
	v_and_b32_e32 v0, 12, v30
	v_cmp_ne_u32_e32 vcc, 0, v0
	s_and_saveexec_b64 s[76:77], vcc
	s_cbranch_execz .LBB6_1938
; %bb.1913:                             ;   in Loop: Header=BB6_1912 Depth=3
	v_and_b32_e32 v0, 8, v30
	s_waitcnt lgkmcnt(0)
	v_add_co_u32_e32 v4, vcc, v28, v0
	v_addc_co_u32_e32 v5, vcc, 0, v29, vcc
	v_add_co_u32_e32 v8, vcc, 2, v48
	v_addc_co_u32_e32 v9, vcc, 0, v49, vcc
	v_cmp_lt_u64_e32 vcc, v[4:5], v[8:9]
	s_and_saveexec_b64 s[78:79], vcc
	s_cbranch_execz .LBB6_1925
; %bb.1914:                             ;   in Loop: Header=BB6_1912 Depth=3
	v_and_b32_e32 v4, 64, v30
	s_mov_b32 s50, 0
	v_cmp_eq_u32_e32 vcc, 0, v4
	s_mov_b64 s[88:89], 0
                                        ; implicit-def: $sgpr90_sgpr91
                                        ; implicit-def: $sgpr92_sgpr93
                                        ; implicit-def: $sgpr94_sgpr95
	s_branch .LBB6_1918
.LBB6_1915:                             ;   in Loop: Header=BB6_1918 Depth=4
	s_waitcnt vmcnt(0) lgkmcnt(0)
	v_add_co_u32_e64 v5, s[26:27], v28, v0
	v_addc_co_u32_e64 v6, s[26:27], 0, v29, s[26:27]
	v_cmp_ge_u64_e64 s[26:27], v[5:6], v[8:9]
	s_or_b64 s[36:37], s[36:37], exec
	s_orn2_b64 s[34:35], s[26:27], exec
.LBB6_1916:                             ;   in Loop: Header=BB6_1918 Depth=4
	s_or_b64 exec, exec, s[48:49]
	s_andn2_b64 s[26:27], s[94:95], exec
	s_and_b64 s[94:95], s[36:37], exec
	s_or_b64 s[94:95], s[26:27], s[94:95]
	s_andn2_b64 s[26:27], s[92:93], exec
	s_and_b64 s[92:93], s[34:35], exec
	s_or_b64 s[92:93], s[26:27], s[92:93]
.LBB6_1917:                             ;   in Loop: Header=BB6_1918 Depth=4
	s_or_b64 exec, exec, s[30:31]
	s_and_b64 s[26:27], exec, s[92:93]
	s_or_b64 s[88:89], s[26:27], s[88:89]
	s_andn2_b64 s[26:27], s[90:91], exec
	s_and_b64 s[90:91], s[94:95], exec
	s_or_b64 s[90:91], s[26:27], s[90:91]
	s_andn2_b64 exec, exec, s[88:89]
	s_cbranch_execz .LBB6_1922
.LBB6_1918:                             ;   Parent Loop BB6_47 Depth=1
                                        ;     Parent Loop BB6_1732 Depth=2
                                        ;       Parent Loop BB6_1912 Depth=3
                                        ; =>      This Inner Loop Header: Depth=4
	s_sleep 1
	s_waitcnt vmcnt(0) lgkmcnt(0)
	flat_load_dwordx2 v[28:29], v[22:23] glc
	s_or_b64 s[94:95], s[94:95], exec
	s_or_b64 s[92:93], s[92:93], exec
                                        ; implicit-def: $vgpr4
	s_and_saveexec_b64 s[30:31], vcc
	s_cbranch_execz .LBB6_1917
; %bb.1919:                             ;   in Loop: Header=BB6_1918 Depth=4
	s_cmpk_lt_i32 s50, 0x270f
	s_cselect_b64 s[38:39], -1, 0
	s_cmpk_gt_i32 s50, 0x270e
	s_mov_b64 s[34:35], -1
	s_cbranch_scc0 .LBB6_1921
; %bb.1920:                             ;   in Loop: Header=BB6_1918 Depth=4
	s_trap 2
	ds_read_b64 v[4:5], v0
	s_andn2_b64 s[38:39], s[38:39], exec
	s_mov_b32 s50, 0
	s_mov_b64 s[36:37], 0
	s_waitcnt vmcnt(0) lgkmcnt(0)
	flat_load_dword v4, v[4:5] glc
	s_waitcnt vmcnt(0) lgkmcnt(0)
	buffer_wbinvl1_vol
	v_cmp_eq_u32_e64 s[26:27], 0, v4
	s_and_b64 s[26:27], s[26:27], exec
	s_or_b64 s[38:39], s[38:39], s[26:27]
	s_and_saveexec_b64 s[48:49], s[38:39]
	s_cbranch_execz .LBB6_1916
	s_branch .LBB6_1915
.LBB6_1921:                             ;   in Loop: Header=BB6_1918 Depth=4
	s_add_i32 s50, s50, 1
	s_mov_b64 s[36:37], -1
                                        ; implicit-def: $vgpr4
	s_and_saveexec_b64 s[48:49], s[38:39]
	s_cbranch_execz .LBB6_1916
	s_branch .LBB6_1915
.LBB6_1922:                             ;   in Loop: Header=BB6_1912 Depth=3
	s_or_b64 exec, exec, s[88:89]
	s_xor_b64 s[26:27], s[90:91], -1
	s_and_saveexec_b64 s[88:89], s[26:27]
	s_xor_b64 s[26:27], exec, s[88:89]
	s_cbranch_execz .LBB6_1924
; %bb.1923:                             ;   in Loop: Header=BB6_1912 Depth=3
	v_or_b32_e32 v30, 64, v30
	s_waitcnt lgkmcnt(0)
	ds_write_b32 v0, v4
	s_trap 2
.LBB6_1924:                             ;   in Loop: Header=BB6_1912 Depth=3
	s_or_b64 exec, exec, s[26:27]
.LBB6_1925:                             ;   in Loop: Header=BB6_1912 Depth=3
	s_or_b64 exec, exec, s[78:79]
	v_and_b32_e32 v4, 0x108, v30
	v_cmp_ne_u32_e32 vcc, s66, v4
	;;#ASMSTART
	s_wakeup
	;;#ASMEND
                                        ; implicit-def: $vgpr10_vgpr11
	s_and_saveexec_b64 s[26:27], vcc
	s_xor_b64 s[26:27], exec, s[26:27]
; %bb.1926:                             ;   in Loop: Header=BB6_1912 Depth=3
	v_and_b32_e32 v10, 7, v48
	v_mov_b32_e32 v11, v2
                                        ; implicit-def: $vgpr48_vgpr49
; %bb.1927:                             ;   in Loop: Header=BB6_1912 Depth=3
	s_andn2_saveexec_b64 s[26:27], s[26:27]
	s_cbranch_execz .LBB6_1929
; %bb.1928:                             ;   in Loop: Header=BB6_1912 Depth=3
	v_and_b32_e32 v10, 7, v48
	v_mad_u64_u32 v[4:5], s[78:79], v10, 24, v[58:59]
	v_ashrrev_i32_e32 v13, 31, v12
	v_lshlrev_b64 v[6:7], 1, v[12:13]
	v_mov_b32_e32 v11, v2
	flat_store_dwordx2 v[4:5], v[6:7] offset:8
.LBB6_1929:                             ;   in Loop: Header=BB6_1912 Depth=3
	s_or_b64 exec, exec, s[26:27]
	v_and_b32_e32 v4, 0x100, v30
	v_cmp_ne_u32_e32 vcc, 0, v4
	s_mov_b64 s[26:27], -1
                                        ; implicit-def: $vgpr18_vgpr19
	s_and_saveexec_b64 s[78:79], vcc
	s_cbranch_execz .LBB6_1933
; %bb.1930:                             ;   in Loop: Header=BB6_1912 Depth=3
	v_mad_u64_u32 v[48:49], s[26:27], v10, 24, v[58:59]
                                        ; implicit-def: $vgpr18_vgpr19
	v_mov_b32_e32 v4, v49
	v_mad_u64_u32 v[4:5], s[26:27], v11, 24, v[4:5]
	v_mov_b32_e32 v49, v4
	flat_load_dword v4, v[48:49]
	s_waitcnt vmcnt(0) lgkmcnt(0)
	v_cmp_ne_u32_e32 vcc, 1, v4
	v_cmp_eq_u32_e64 s[26:27], 1, v4
	s_and_saveexec_b64 s[88:89], s[26:27]
	s_cbranch_execz .LBB6_1932
; %bb.1931:                             ;   in Loop: Header=BB6_1912 Depth=3
	flat_load_dword v4, v[48:49] offset:4 glc
	s_waitcnt vmcnt(0) lgkmcnt(0)
	v_ashrrev_i32_e32 v5, 31, v4
	v_lshrrev_b64 v[18:19], 1, v[4:5]
.LBB6_1932:                             ;   in Loop: Header=BB6_1912 Depth=3
	s_or_b64 exec, exec, s[88:89]
	s_orn2_b64 s[26:27], vcc, exec
.LBB6_1933:                             ;   in Loop: Header=BB6_1912 Depth=3
	s_or_b64 exec, exec, s[78:79]
	s_and_saveexec_b64 s[78:79], s[26:27]
	s_cbranch_execz .LBB6_1935
; %bb.1934:                             ;   in Loop: Header=BB6_1912 Depth=3
	buffer_load_dword v6, off, s[0:3], s33 offset:76 ; 4-byte Folded Reload
	buffer_load_dword v5, off, s[0:3], s33 offset:92 ; 4-byte Folded Reload
	s_waitcnt vmcnt(0)
	v_mul_lo_u32 v4, v11, v6
	v_mul_lo_u32 v5, v10, v5
	v_mad_u64_u32 v[18:19], s[26:27], v10, v6, 0
	v_add3_u32 v19, v19, v5, v4
.LBB6_1935:                             ;   in Loop: Header=BB6_1912 Depth=3
	s_or_b64 exec, exec, s[78:79]
	buffer_load_dword v6, off, s[0:3], s33 offset:60 ; 4-byte Folded Reload
	buffer_load_dword v7, off, s[0:3], s33 offset:64 ; 4-byte Folded Reload
	v_cmp_eq_u32_e32 vcc, 0, v0
	v_mov_b32_e32 v0, 0xd0
	v_mov_b32_e32 v4, 0x88
	v_cndmask_b32_e32 v0, v0, v4, vcc
	v_lshlrev_b64 v[4:5], 1, v[18:19]
	v_add_u32_e32 v0, v0, v0
	s_waitcnt vmcnt(0)
	v_add_co_u32_e32 v4, vcc, v6, v4
	v_addc_co_u32_e32 v5, vcc, v7, v5, vcc
	ds_write_b64 v0, v[4:5] offset:584
	v_and_b32_e32 v0, 0x2000, v30
	v_cmp_ne_u32_e32 vcc, 0, v0
	s_and_saveexec_b64 s[26:27], vcc
	s_cbranch_execz .LBB6_1937
; %bb.1936:                             ;   in Loop: Header=BB6_1912 Depth=3
	ds_read_b64 v[4:5], v0 offset:872
	s_waitcnt lgkmcnt(0)
	v_add_co_u32_e32 v4, vcc, 1, v4
	v_addc_co_u32_e32 v5, vcc, 0, v5, vcc
	ds_write_b64 v0, v[4:5] offset:872
.LBB6_1937:                             ;   in Loop: Header=BB6_1912 Depth=3
	s_or_b64 exec, exec, s[26:27]
	v_mov_b32_e32 v49, v9
	v_mov_b32_e32 v48, v8
.LBB6_1938:                             ;   in Loop: Header=BB6_1912 Depth=3
	s_or_b64 exec, exec, s[76:77]
	s_xor_b64 s[26:27], s[42:43], -1
	s_and_b64 s[26:27], exec, s[26:27]
	s_or_b64 s[40:41], s[26:27], s[40:41]
	s_and_saveexec_b64 s[26:27], s[10:11]
	s_cbranch_execz .LBB6_1957
; %bb.1939:                             ;   in Loop: Header=BB6_1912 Depth=3
	s_and_saveexec_b64 s[42:43], s[56:57]
	s_xor_b64 s[42:43], exec, s[42:43]
	s_cbranch_execz .LBB6_1954
; %bb.1940:                             ;   in Loop: Header=BB6_1912 Depth=3
	s_and_saveexec_b64 s[76:77], s[16:17]
	s_cbranch_execz .LBB6_1953
; %bb.1941:                             ;   in Loop: Header=BB6_1912 Depth=3
	s_mov_b64 s[88:89], exec
	v_mbcnt_lo_u32_b32 v0, s88, 0
	v_mbcnt_hi_u32_b32 v0, s89, v0
	v_cmp_eq_u32_e32 vcc, 0, v0
	s_waitcnt vmcnt(0) lgkmcnt(0)
	buffer_wbinvl1_vol
	s_and_saveexec_b64 s[78:79], vcc
	s_cbranch_execz .LBB6_1943
; %bb.1942:                             ;   in Loop: Header=BB6_1912 Depth=3
	s_bcnt1_i32_b64 s88, s[88:89]
	v_mov_b32_e32 v4, s88
	v_mov_b32_e32 v5, v2
	ds_add_u64 v0, v[4:5]
	s_trap 2
.LBB6_1943:                             ;   in Loop: Header=BB6_1912 Depth=3
	s_or_b64 exec, exec, s[78:79]
	s_trap 2
	ds_read_b64 v[4:5], v0
	s_waitcnt lgkmcnt(0)
	v_add_co_u32_e32 v32, vcc, v32, v16
	v_addc_co_u32_e32 v33, vcc, 0, v33, vcc
	v_cmp_lt_u64_e32 vcc, v[4:5], v[32:33]
	s_and_saveexec_b64 s[78:79], vcc
	s_cbranch_execz .LBB6_1952
; %bb.1944:                             ;   in Loop: Header=BB6_1912 Depth=3
	s_mov_b32 s34, 0
	s_mov_b64 s[88:89], 0
                                        ; implicit-def: $sgpr90_sgpr91
                                        ; implicit-def: $sgpr92_sgpr93
	s_branch .LBB6_1946
.LBB6_1945:                             ;   in Loop: Header=BB6_1946 Depth=4
	s_or_b64 exec, exec, s[30:31]
	s_and_b64 s[94:95], exec, vcc
	s_or_b64 s[88:89], s[94:95], s[88:89]
	s_andn2_b64 s[90:91], s[90:91], exec
	s_and_b64 s[94:95], s[92:93], exec
	s_or_b64 s[90:91], s[90:91], s[94:95]
	s_andn2_b64 exec, exec, s[88:89]
	s_cbranch_execz .LBB6_1950
.LBB6_1946:                             ;   Parent Loop BB6_47 Depth=1
                                        ;     Parent Loop BB6_1732 Depth=2
                                        ;       Parent Loop BB6_1912 Depth=3
                                        ; =>      This Inner Loop Header: Depth=4
	s_add_i32 s34, s34, 1
	s_cmpk_lg_i32 s34, 0x2710
	s_cselect_b64 s[94:95], -1, 0
	s_and_b64 vcc, exec, s[94:95]
	s_cbranch_vccz .LBB6_1948
; %bb.1947:                             ;   in Loop: Header=BB6_1946 Depth=4
	s_mov_b64 vcc, -1
	s_or_b64 s[92:93], s[92:93], exec
	s_and_saveexec_b64 s[30:31], s[94:95]
	s_cbranch_execz .LBB6_1945
	s_branch .LBB6_1949
.LBB6_1948:                             ;   in Loop: Header=BB6_1946 Depth=4
	s_trap 2
	ds_read_b64 v[4:5], v0
	s_andn2_b64 s[94:95], s[94:95], exec
	s_mov_b32 s34, 0
	s_waitcnt lgkmcnt(0)
	flat_load_dword v0, v[4:5] glc
	s_waitcnt vmcnt(0) lgkmcnt(0)
	buffer_wbinvl1_vol
	v_cmp_eq_u32_e32 vcc, 0, v0
	s_and_b64 vcc, vcc, exec
	s_or_b64 s[94:95], s[94:95], vcc
	s_mov_b64 vcc, -1
	s_or_b64 s[92:93], s[92:93], exec
	s_and_saveexec_b64 s[30:31], s[94:95]
	s_cbranch_execz .LBB6_1945
.LBB6_1949:                             ;   in Loop: Header=BB6_1946 Depth=4
	s_sleep 1
	s_trap 2
	ds_read_b64 v[4:5], v0
	s_waitcnt lgkmcnt(0)
	s_andn2_b64 s[92:93], s[92:93], exec
	v_cmp_ge_u64_e32 vcc, v[4:5], v[32:33]
	s_orn2_b64 vcc, vcc, exec
	s_branch .LBB6_1945
.LBB6_1950:                             ;   in Loop: Header=BB6_1912 Depth=3
	s_or_b64 exec, exec, s[88:89]
	s_and_saveexec_b64 s[88:89], s[90:91]
	s_xor_b64 s[88:89], exec, s[88:89]
	s_cbranch_execz .LBB6_1952
; %bb.1951:                             ;   in Loop: Header=BB6_1912 Depth=3
	v_mov_b32_e32 v0, 1
	ds_write_b32 v0, v0
	s_trap 2
.LBB6_1952:                             ;   in Loop: Header=BB6_1912 Depth=3
	s_or_b64 exec, exec, s[78:79]
	;;#ASMSTART
	s_wakeup
	;;#ASMEND
.LBB6_1953:                             ;   in Loop: Header=BB6_1912 Depth=3
	s_or_b64 exec, exec, s[76:77]
.LBB6_1954:                             ;   in Loop: Header=BB6_1912 Depth=3
	s_andn2_saveexec_b64 s[42:43], s[42:43]
	s_cbranch_execz .LBB6_1956
; %bb.1955:                             ;   in Loop: Header=BB6_1912 Depth=3
	s_waitcnt vmcnt(0) lgkmcnt(0)
	buffer_wbinvl1_vol
	s_barrier
.LBB6_1956:                             ;   in Loop: Header=BB6_1912 Depth=3
	s_or_b64 exec, exec, s[42:43]
.LBB6_1957:                             ;   in Loop: Header=BB6_1912 Depth=3
	s_or_b64 exec, exec, s[26:27]
                                        ; implicit-def: $vgpr0
	s_and_saveexec_b64 s[26:27], s[24:25]
	s_xor_b64 s[26:27], exec, s[26:27]
	s_cbranch_execz .LBB6_1961
; %bb.1958:                             ;   in Loop: Header=BB6_1912 Depth=3
	s_trap 2
	ds_read_b32 v0, v0
	v_cmp_lt_i32_e32 vcc, 0, v12
	v_and_b32_e32 v4, 16, v30
	s_waitcnt lgkmcnt(0)
	v_readfirstlane_b32 s42, v0
	s_cmp_eq_u32 s42, 0
	s_cselect_b64 s[42:43], -1, 0
	s_and_b64 s[42:43], vcc, s[42:43]
	v_cmp_ne_u32_e32 vcc, 0, v4
	v_and_b32_e32 v0, 16, v30
	s_and_b64 s[76:77], vcc, s[42:43]
	s_and_saveexec_b64 s[42:43], s[76:77]
	s_cbranch_execz .LBB6_1960
; %bb.1959:                             ;   in Loop: Header=BB6_1912 Depth=3
	v_mov_b32_e32 v0, 1
	s_waitcnt vmcnt(0)
	buffer_wbinvl1_vol
.LBB6_1960:                             ;   in Loop: Header=BB6_1912 Depth=3
	s_or_b64 exec, exec, s[42:43]
	s_andn2_saveexec_b64 s[26:27], s[26:27]
	s_cbranch_execz .LBB6_1980
	s_branch .LBB6_1962
.LBB6_1961:                             ;   in Loop: Header=BB6_1912 Depth=3
	s_andn2_saveexec_b64 s[26:27], s[26:27]
	s_cbranch_execz .LBB6_1980
.LBB6_1962:                             ;   in Loop: Header=BB6_1912 Depth=3
	s_and_saveexec_b64 s[42:43], s[56:57]
	s_xor_b64 s[42:43], exec, s[42:43]
	s_cbranch_execz .LBB6_1977
; %bb.1963:                             ;   in Loop: Header=BB6_1912 Depth=3
	s_and_saveexec_b64 s[76:77], s[16:17]
	s_cbranch_execz .LBB6_1976
; %bb.1964:                             ;   in Loop: Header=BB6_1912 Depth=3
	s_mov_b64 s[88:89], exec
	v_mbcnt_lo_u32_b32 v0, s88, 0
	v_mbcnt_hi_u32_b32 v0, s89, v0
	v_cmp_eq_u32_e32 vcc, 0, v0
	;;#ASMSTART
	s_waitcnt lgkmcnt(0) vmcnt(0)
	;;#ASMEND
	s_and_saveexec_b64 s[78:79], vcc
	s_cbranch_execz .LBB6_1966
; %bb.1965:                             ;   in Loop: Header=BB6_1912 Depth=3
	s_bcnt1_i32_b64 s88, s[88:89]
	v_mov_b32_e32 v4, s88
	v_mov_b32_e32 v5, v2
	s_waitcnt lgkmcnt(0)
	ds_add_u64 v0, v[4:5]
	s_trap 2
.LBB6_1966:                             ;   in Loop: Header=BB6_1912 Depth=3
	s_or_b64 exec, exec, s[78:79]
	s_trap 2
	ds_read_b64 v[4:5], v0
	s_waitcnt lgkmcnt(0)
	v_add_co_u32_e32 v32, vcc, v32, v16
	v_addc_co_u32_e32 v33, vcc, 0, v33, vcc
	v_cmp_lt_u64_e32 vcc, v[4:5], v[32:33]
	s_and_saveexec_b64 s[78:79], vcc
	s_cbranch_execz .LBB6_1975
; %bb.1967:                             ;   in Loop: Header=BB6_1912 Depth=3
	s_mov_b32 s34, 0
	s_mov_b64 s[88:89], 0
                                        ; implicit-def: $sgpr90_sgpr91
                                        ; implicit-def: $sgpr92_sgpr93
	s_branch .LBB6_1969
.LBB6_1968:                             ;   in Loop: Header=BB6_1969 Depth=4
	s_or_b64 exec, exec, s[30:31]
	s_and_b64 s[94:95], exec, vcc
	s_or_b64 s[88:89], s[94:95], s[88:89]
	s_andn2_b64 s[90:91], s[90:91], exec
	s_and_b64 s[94:95], s[92:93], exec
	s_or_b64 s[90:91], s[90:91], s[94:95]
	s_andn2_b64 exec, exec, s[88:89]
	s_cbranch_execz .LBB6_1973
.LBB6_1969:                             ;   Parent Loop BB6_47 Depth=1
                                        ;     Parent Loop BB6_1732 Depth=2
                                        ;       Parent Loop BB6_1912 Depth=3
                                        ; =>      This Inner Loop Header: Depth=4
	s_add_i32 s34, s34, 1
	s_cmpk_lg_i32 s34, 0x2710
	s_cselect_b64 s[94:95], -1, 0
	s_and_b64 vcc, exec, s[94:95]
	s_cbranch_vccz .LBB6_1971
; %bb.1970:                             ;   in Loop: Header=BB6_1969 Depth=4
	s_mov_b64 vcc, -1
	s_or_b64 s[92:93], s[92:93], exec
	s_and_saveexec_b64 s[30:31], s[94:95]
	s_cbranch_execz .LBB6_1968
	s_branch .LBB6_1972
.LBB6_1971:                             ;   in Loop: Header=BB6_1969 Depth=4
	s_trap 2
	ds_read_b64 v[4:5], v0
	s_andn2_b64 s[94:95], s[94:95], exec
	s_mov_b32 s34, 0
	s_waitcnt vmcnt(0) lgkmcnt(0)
	flat_load_dword v0, v[4:5] glc
	s_waitcnt vmcnt(0) lgkmcnt(0)
	buffer_wbinvl1_vol
	v_cmp_eq_u32_e32 vcc, 0, v0
	s_and_b64 vcc, vcc, exec
	s_or_b64 s[94:95], s[94:95], vcc
	s_mov_b64 vcc, -1
	s_or_b64 s[92:93], s[92:93], exec
	s_and_saveexec_b64 s[30:31], s[94:95]
	s_cbranch_execz .LBB6_1968
.LBB6_1972:                             ;   in Loop: Header=BB6_1969 Depth=4
	s_sleep 1
	s_trap 2
	ds_read_b64 v[4:5], v0
	s_waitcnt lgkmcnt(0)
	s_andn2_b64 s[92:93], s[92:93], exec
	v_cmp_ge_u64_e32 vcc, v[4:5], v[32:33]
	s_orn2_b64 vcc, vcc, exec
	s_branch .LBB6_1968
.LBB6_1973:                             ;   in Loop: Header=BB6_1912 Depth=3
	s_or_b64 exec, exec, s[88:89]
	s_and_saveexec_b64 s[88:89], s[90:91]
	s_xor_b64 s[88:89], exec, s[88:89]
	s_cbranch_execz .LBB6_1975
; %bb.1974:                             ;   in Loop: Header=BB6_1912 Depth=3
	v_mov_b32_e32 v0, 1
	ds_write_b32 v0, v0
	s_trap 2
.LBB6_1975:                             ;   in Loop: Header=BB6_1912 Depth=3
	s_or_b64 exec, exec, s[78:79]
	;;#ASMSTART
	s_wakeup
	;;#ASMEND
.LBB6_1976:                             ;   in Loop: Header=BB6_1912 Depth=3
	s_or_b64 exec, exec, s[76:77]
.LBB6_1977:                             ;   in Loop: Header=BB6_1912 Depth=3
	s_andn2_saveexec_b64 s[42:43], s[42:43]
	s_cbranch_execz .LBB6_1979
; %bb.1978:                             ;   in Loop: Header=BB6_1912 Depth=3
	;;#ASMSTART
	s_waitcnt lgkmcnt(0) vmcnt(0)
	;;#ASMEND
	s_waitcnt vmcnt(0) lgkmcnt(0)
	s_barrier
.LBB6_1979:                             ;   in Loop: Header=BB6_1912 Depth=3
	s_or_b64 exec, exec, s[42:43]
	v_and_b32_e32 v0, 16, v30
.LBB6_1980:                             ;   in Loop: Header=BB6_1912 Depth=3
	s_or_b64 exec, exec, s[26:27]
	v_cmp_ne_u32_e32 vcc, 0, v0
	s_xor_b64 s[26:27], s[12:13], -1
	s_and_b64 s[42:43], vcc, s[26:27]
	s_and_saveexec_b64 s[26:27], s[42:43]
	s_cbranch_execz .LBB6_1982
; %bb.1981:                             ;   in Loop: Header=BB6_1912 Depth=3
	buffer_load_dword v4, off, s[0:3], s33 offset:68 ; 4-byte Folded Reload
	buffer_load_dword v5, off, s[0:3], s33 offset:72 ; 4-byte Folded Reload
	v_mov_b32_e32 v0, 1
	s_waitcnt vmcnt(0)
	flat_store_dword v[4:5], v0
.LBB6_1982:                             ;   in Loop: Header=BB6_1912 Depth=3
	s_or_b64 exec, exec, s[26:27]
	v_and_b32_e32 v0, 48, v30
	v_cmp_ne_u32_e32 vcc, 0, v0
	s_and_saveexec_b64 s[26:27], vcc
	s_cbranch_execz .LBB6_1911
; %bb.1983:                             ;   in Loop: Header=BB6_1912 Depth=3
	v_add_co_u32_e32 v48, vcc, 2, v48
	v_addc_co_u32_e32 v49, vcc, 0, v49, vcc
	flat_store_dwordx2 v[22:23], v[48:49]
	s_branch .LBB6_1911
.LBB6_1984:                             ;   in Loop: Header=BB6_1732 Depth=2
	s_or_b64 exec, exec, s[76:77]
	s_or_b64 exec, exec, s[42:43]
	v_cmp_gt_i32_e32 vcc, 2, v0
	s_and_saveexec_b64 s[28:29], vcc
	s_cbranch_execnz .LBB6_1910
.LBB6_1985:                             ;   in Loop: Header=BB6_1732 Depth=2
	s_or_b64 exec, exec, s[28:29]
	s_add_i32 s26, s75, 1
	s_cmp_eq_u32 s75, s81
	s_cbranch_scc0 .LBB6_1987
	s_branch .LBB6_1988
.LBB6_1986:                             ;   in Loop: Header=BB6_1732 Depth=2
	s_or_b64 exec, exec, s[40:41]
	s_or_b64 exec, exec, s[28:29]
	s_add_i32 s26, s75, 1
	s_cmp_eq_u32 s75, s81
	s_cbranch_scc1 .LBB6_1988
.LBB6_1987:                             ;   in Loop: Header=BB6_1732 Depth=2
	s_mov_b32 s75, s26
	s_branch .LBB6_1732
.LBB6_1988:                             ;   in Loop: Header=BB6_47 Depth=1
	buffer_load_dword v5, off, s[0:3], s33 offset:160 ; 4-byte Folded Reload
	buffer_load_dword v6, off, s[0:3], s33 offset:164 ; 4-byte Folded Reload
	v_mov_b32_e32 v8, 0
	s_waitcnt vmcnt(0)
	v_mul_lo_u32 v3, v5, s83
	v_mul_lo_u32 v0, v6, s82
	v_mad_u64_u32 v[9:10], s[26:27], v5, s82, 0
	v_add3_u32 v10, v10, v3, v0
	buffer_load_dword v3, off, s[0:3], s33 offset:152 ; 4-byte Folded Reload
	buffer_load_dword v4, off, s[0:3], s33 offset:156 ; 4-byte Folded Reload
	v_mov_b32_e32 v0, 0
	s_waitcnt vmcnt(0)
	v_sub_co_u32_e32 v3, vcc, v3, v9
	v_subb_co_u32_e32 v4, vcc, v4, v10, vcc
	v_cmp_lt_i64_e32 vcc, v[5:6], v[3:4]
	v_cndmask_b32_e32 v4, v3, v5, vcc
	v_max_i32_e32 v3, 0, v4
	v_add_u32_e32 v5, 31, v3
	v_lshrrev_b32_e32 v5, 1, v5
	v_and_b32_e32 v5, 0x3ffffff0, v5
	v_cmp_lt_i32_e32 vcc, 0, v4
	v_max_i32_e32 v54, s80, v5
	s_and_b64 s[26:27], s[72:73], vcc
	s_and_saveexec_b64 s[28:29], s[26:27]
	s_cbranch_execz .LBB6_2126
; %bb.1989:                             ;   in Loop: Header=BB6_47 Depth=1
	buffer_load_dword v4, off, s[0:3], s33 offset:144 ; 4-byte Folded Reload
	buffer_load_dword v5, off, s[0:3], s33 offset:148 ; 4-byte Folded Reload
	s_mov_b32 s75, 1
	s_mov_b64 s[42:43], -1
	v_mov_b32_e32 v8, 0
	s_mov_b64 s[40:41], 0
	s_waitcnt vmcnt(0)
	v_add_co_u32_e32 v4, vcc, v9, v4
	v_addc_co_u32_e32 v5, vcc, v10, v5, vcc
	v_lshlrev_b64 v[10:11], 1, v[4:5]
	s_branch .LBB6_1991
.LBB6_1990:                             ;   in Loop: Header=BB6_1991 Depth=2
	s_or_b64 exec, exec, s[26:27]
	v_add_u32_e32 v8, v54, v8
	v_cmp_ge_i32_e32 vcc, v8, v3
	s_xor_b64 s[26:27], s[42:43], -1
	s_or_b64 s[26:27], s[26:27], vcc
	s_and_b64 s[26:27], exec, s[26:27]
	s_or_b64 s[40:41], s[26:27], s[40:41]
	s_mov_b64 s[42:43], 0
	v_mov_b32_e32 v0, s75
	s_mov_b32 s75, 2
	s_andn2_b64 exec, exec, s[40:41]
	s_cbranch_execz .LBB6_2125
.LBB6_1991:                             ;   Parent Loop BB6_47 Depth=1
                                        ; =>  This Loop Header: Depth=2
                                        ;       Child Loop BB6_1999 Depth 3
                                        ;       Child Loop BB6_2023 Depth 3
	;; [unrolled: 1-line block ×9, first 2 shown]
	s_and_saveexec_b64 s[26:27], s[4:5]
	s_cbranch_execz .LBB6_1993
; %bb.1992:                             ;   in Loop: Header=BB6_1991 Depth=2
	s_trap 2
	ds_read_b128 v[4:7], v0
	v_ashrrev_i32_e32 v9, 31, v8
	s_waitcnt lgkmcnt(0)
	v_add_co_u32_e32 v0, vcc, v4, v10
	v_addc_co_u32_e32 v13, vcc, v5, v11, vcc
	v_lshlrev_b64 v[4:5], 1, v[8:9]
	v_add_co_u32_e32 v12, vcc, v0, v4
	v_addc_co_u32_e32 v13, vcc, v13, v5, vcc
	ds_write_b64 v0, v[12:13]
	v_add_co_u32_e32 v0, vcc, v6, v10
	v_addc_co_u32_e32 v9, vcc, v7, v11, vcc
	v_add_co_u32_e32 v0, vcc, v0, v4
	v_addc_co_u32_e32 v4, vcc, v9, v5, vcc
	v_cmp_ne_u64_e32 vcc, 0, v[6:7]
	v_cndmask_b32_e32 v5, 0, v4, vcc
	v_cndmask_b32_e32 v4, 0, v0, vcc
	ds_write_b64 v0, v[4:5]
.LBB6_1993:                             ;   in Loop: Header=BB6_1991 Depth=2
	s_or_b64 exec, exec, s[26:27]
	v_and_b32_e32 v0, 4, v30
	v_cmp_ne_u32_e32 vcc, 0, v0
	s_and_saveexec_b64 s[76:77], vcc
	s_cbranch_execz .LBB6_2015
; %bb.1994:                             ;   in Loop: Header=BB6_1991 Depth=2
	v_add_co_u32_e32 v12, vcc, 2, v48
	v_addc_co_u32_e32 v13, vcc, 0, v49, vcc
	s_waitcnt lgkmcnt(0)
	v_cmp_lt_u64_e32 vcc, v[28:29], v[12:13]
	s_and_saveexec_b64 s[78:79], vcc
	s_cbranch_execz .LBB6_2006
; %bb.1995:                             ;   in Loop: Header=BB6_1991 Depth=2
	v_and_b32_e32 v0, 64, v30
	s_mov_b32 s50, 0
	v_cmp_eq_u32_e32 vcc, 0, v0
	s_mov_b64 s[88:89], 0
                                        ; implicit-def: $sgpr90_sgpr91
                                        ; implicit-def: $sgpr92_sgpr93
                                        ; implicit-def: $sgpr94_sgpr95
	s_branch .LBB6_1999
.LBB6_1996:                             ;   in Loop: Header=BB6_1999 Depth=3
	s_waitcnt vmcnt(0) lgkmcnt(0)
	v_cmp_ge_u64_e64 s[26:27], v[28:29], v[12:13]
	s_or_b64 s[36:37], s[36:37], exec
	s_orn2_b64 s[34:35], s[26:27], exec
.LBB6_1997:                             ;   in Loop: Header=BB6_1999 Depth=3
	s_or_b64 exec, exec, s[48:49]
	s_andn2_b64 s[26:27], s[94:95], exec
	s_and_b64 s[94:95], s[36:37], exec
	s_or_b64 s[94:95], s[26:27], s[94:95]
	s_andn2_b64 s[26:27], s[92:93], exec
	s_and_b64 s[92:93], s[34:35], exec
	s_or_b64 s[92:93], s[26:27], s[92:93]
.LBB6_1998:                             ;   in Loop: Header=BB6_1999 Depth=3
	s_or_b64 exec, exec, s[30:31]
	s_and_b64 s[26:27], exec, s[92:93]
	s_or_b64 s[88:89], s[26:27], s[88:89]
	s_andn2_b64 s[26:27], s[90:91], exec
	s_and_b64 s[90:91], s[94:95], exec
	s_or_b64 s[90:91], s[26:27], s[90:91]
	s_andn2_b64 exec, exec, s[88:89]
	s_cbranch_execz .LBB6_2003
.LBB6_1999:                             ;   Parent Loop BB6_47 Depth=1
                                        ;     Parent Loop BB6_1991 Depth=2
                                        ; =>    This Inner Loop Header: Depth=3
	s_sleep 1
	s_waitcnt vmcnt(0) lgkmcnt(0)
	flat_load_dwordx2 v[28:29], v[22:23] glc
	s_or_b64 s[94:95], s[94:95], exec
	s_or_b64 s[92:93], s[92:93], exec
                                        ; implicit-def: $vgpr0
	s_and_saveexec_b64 s[30:31], vcc
	s_cbranch_execz .LBB6_1998
; %bb.2000:                             ;   in Loop: Header=BB6_1999 Depth=3
	s_cmpk_lt_i32 s50, 0x270f
	s_cselect_b64 s[38:39], -1, 0
	s_cmpk_gt_i32 s50, 0x270e
	s_mov_b64 s[34:35], -1
	s_cbranch_scc0 .LBB6_2002
; %bb.2001:                             ;   in Loop: Header=BB6_1999 Depth=3
	s_trap 2
	ds_read_b64 v[4:5], v0
	s_andn2_b64 s[38:39], s[38:39], exec
	s_mov_b32 s50, 0
	s_mov_b64 s[36:37], 0
	s_waitcnt vmcnt(0) lgkmcnt(0)
	flat_load_dword v0, v[4:5] glc
	s_waitcnt vmcnt(0) lgkmcnt(0)
	buffer_wbinvl1_vol
	v_cmp_eq_u32_e64 s[26:27], 0, v0
	s_and_b64 s[26:27], s[26:27], exec
	s_or_b64 s[38:39], s[38:39], s[26:27]
	s_and_saveexec_b64 s[48:49], s[38:39]
	s_cbranch_execz .LBB6_1997
	s_branch .LBB6_1996
.LBB6_2002:                             ;   in Loop: Header=BB6_1999 Depth=3
	s_add_i32 s50, s50, 1
	s_mov_b64 s[36:37], -1
                                        ; implicit-def: $vgpr0
	s_and_saveexec_b64 s[48:49], s[38:39]
	s_cbranch_execz .LBB6_1997
	s_branch .LBB6_1996
.LBB6_2003:                             ;   in Loop: Header=BB6_1991 Depth=2
	s_or_b64 exec, exec, s[88:89]
	s_xor_b64 s[26:27], s[90:91], -1
	s_and_saveexec_b64 s[88:89], s[26:27]
	s_xor_b64 s[26:27], exec, s[88:89]
	s_cbranch_execz .LBB6_2005
; %bb.2004:                             ;   in Loop: Header=BB6_1991 Depth=2
	v_or_b32_e32 v30, 64, v30
	s_waitcnt lgkmcnt(0)
	ds_write_b32 v0, v0
	s_trap 2
.LBB6_2005:                             ;   in Loop: Header=BB6_1991 Depth=2
	s_or_b64 exec, exec, s[26:27]
.LBB6_2006:                             ;   in Loop: Header=BB6_1991 Depth=2
	s_or_b64 exec, exec, s[78:79]
	v_and_b32_e32 v0, 0x100, v30
	v_cmp_ne_u32_e32 vcc, 0, v0
	v_and_b32_e32 v0, 7, v48
	s_mov_b64 s[26:27], -1
	;;#ASMSTART
	s_wakeup
	;;#ASMEND
                                        ; implicit-def: $vgpr14_vgpr15
	s_and_saveexec_b64 s[78:79], vcc
	s_cbranch_execz .LBB6_2010
; %bb.2007:                             ;   in Loop: Header=BB6_1991 Depth=2
	s_waitcnt vmcnt(0)
	v_mad_u64_u32 v[18:19], s[26:27], v0, 24, v[58:59]
                                        ; implicit-def: $vgpr14_vgpr15
	flat_load_dword v4, v[18:19]
	s_waitcnt vmcnt(0) lgkmcnt(0)
	v_cmp_ne_u32_e32 vcc, 1, v4
	v_cmp_eq_u32_e64 s[26:27], 1, v4
	s_and_saveexec_b64 s[88:89], s[26:27]
	s_cbranch_execz .LBB6_2009
; %bb.2008:                             ;   in Loop: Header=BB6_1991 Depth=2
	flat_load_dword v4, v[18:19] offset:4 glc
	s_waitcnt vmcnt(0) lgkmcnt(0)
	v_ashrrev_i32_e32 v5, 31, v4
	v_lshrrev_b64 v[14:15], 1, v[4:5]
.LBB6_2009:                             ;   in Loop: Header=BB6_1991 Depth=2
	s_or_b64 exec, exec, s[88:89]
	s_orn2_b64 s[26:27], vcc, exec
.LBB6_2010:                             ;   in Loop: Header=BB6_1991 Depth=2
	s_or_b64 exec, exec, s[78:79]
	s_and_saveexec_b64 s[78:79], s[26:27]
	s_cbranch_execz .LBB6_2012
; %bb.2011:                             ;   in Loop: Header=BB6_1991 Depth=2
	buffer_load_dword v4, off, s[0:3], s33 offset:76 ; 4-byte Folded Reload
	s_waitcnt vmcnt(0)
	v_mad_i64_i32 v[14:15], s[26:27], v0, v4, 0
.LBB6_2012:                             ;   in Loop: Header=BB6_1991 Depth=2
	s_or_b64 exec, exec, s[78:79]
	buffer_load_dword v6, off, s[0:3], s33 offset:60 ; 4-byte Folded Reload
	buffer_load_dword v7, off, s[0:3], s33 offset:64 ; 4-byte Folded Reload
	v_lshlrev_b64 v[4:5], 1, v[14:15]
	s_waitcnt vmcnt(0)
	v_add_co_u32_e32 v4, vcc, v6, v4
	v_addc_co_u32_e32 v5, vcc, v7, v5, vcc
	ds_write_b64 v0, v[4:5] offset:720
	v_and_b32_e32 v0, 0x2000, v30
	v_cmp_ne_u32_e32 vcc, 0, v0
	s_and_saveexec_b64 s[26:27], vcc
	s_cbranch_execz .LBB6_2014
; %bb.2013:                             ;   in Loop: Header=BB6_1991 Depth=2
	ds_read_b64 v[4:5], v0 offset:872
	s_waitcnt lgkmcnt(0)
	v_add_co_u32_e32 v4, vcc, 1, v4
	v_addc_co_u32_e32 v5, vcc, 0, v5, vcc
	ds_write_b64 v0, v[4:5] offset:872
.LBB6_2014:                             ;   in Loop: Header=BB6_1991 Depth=2
	s_or_b64 exec, exec, s[26:27]
	v_mov_b32_e32 v49, v13
	v_mov_b32_e32 v48, v12
.LBB6_2015:                             ;   in Loop: Header=BB6_1991 Depth=2
	s_or_b64 exec, exec, s[76:77]
	s_and_saveexec_b64 s[26:27], s[10:11]
	s_cbranch_execz .LBB6_2034
; %bb.2016:                             ;   in Loop: Header=BB6_1991 Depth=2
	s_and_saveexec_b64 s[76:77], s[56:57]
	s_xor_b64 s[76:77], exec, s[76:77]
	s_cbranch_execz .LBB6_2031
; %bb.2017:                             ;   in Loop: Header=BB6_1991 Depth=2
	s_and_saveexec_b64 s[78:79], s[16:17]
	s_cbranch_execz .LBB6_2030
; %bb.2018:                             ;   in Loop: Header=BB6_1991 Depth=2
	s_mov_b64 s[90:91], exec
	v_mbcnt_lo_u32_b32 v0, s90, 0
	v_mbcnt_hi_u32_b32 v0, s91, v0
	v_cmp_eq_u32_e32 vcc, 0, v0
	s_waitcnt vmcnt(0) lgkmcnt(0)
	buffer_wbinvl1_vol
	s_and_saveexec_b64 s[88:89], vcc
	s_cbranch_execz .LBB6_2020
; %bb.2019:                             ;   in Loop: Header=BB6_1991 Depth=2
	s_bcnt1_i32_b64 s90, s[90:91]
	v_mov_b32_e32 v4, s90
	v_mov_b32_e32 v5, v2
	ds_add_u64 v0, v[4:5]
	s_trap 2
.LBB6_2020:                             ;   in Loop: Header=BB6_1991 Depth=2
	s_or_b64 exec, exec, s[88:89]
	s_trap 2
	ds_read_b64 v[4:5], v0
	s_waitcnt lgkmcnt(0)
	v_add_co_u32_e32 v32, vcc, v32, v16
	v_addc_co_u32_e32 v33, vcc, 0, v33, vcc
	v_cmp_lt_u64_e32 vcc, v[4:5], v[32:33]
	s_and_saveexec_b64 s[88:89], vcc
	s_cbranch_execz .LBB6_2029
; %bb.2021:                             ;   in Loop: Header=BB6_1991 Depth=2
	s_mov_b32 s36, 0
	s_mov_b64 s[90:91], 0
                                        ; implicit-def: $sgpr92_sgpr93
                                        ; implicit-def: $sgpr94_sgpr95
	s_branch .LBB6_2023
.LBB6_2022:                             ;   in Loop: Header=BB6_2023 Depth=3
	s_or_b64 exec, exec, s[34:35]
	s_and_b64 vcc, exec, vcc
	s_or_b64 s[90:91], vcc, s[90:91]
	s_andn2_b64 s[92:93], s[92:93], exec
	s_and_b64 vcc, s[94:95], exec
	s_or_b64 s[92:93], s[92:93], vcc
	s_andn2_b64 exec, exec, s[90:91]
	s_cbranch_execz .LBB6_2027
.LBB6_2023:                             ;   Parent Loop BB6_47 Depth=1
                                        ;     Parent Loop BB6_1991 Depth=2
                                        ; =>    This Inner Loop Header: Depth=3
	s_add_i32 s36, s36, 1
	s_cmpk_lg_i32 s36, 0x2710
	s_cselect_b64 s[30:31], -1, 0
	s_and_b64 vcc, exec, s[30:31]
	s_cbranch_vccz .LBB6_2025
; %bb.2024:                             ;   in Loop: Header=BB6_2023 Depth=3
	s_mov_b64 vcc, -1
	s_or_b64 s[94:95], s[94:95], exec
	s_and_saveexec_b64 s[34:35], s[30:31]
	s_cbranch_execz .LBB6_2022
	s_branch .LBB6_2026
.LBB6_2025:                             ;   in Loop: Header=BB6_2023 Depth=3
	s_trap 2
	ds_read_b64 v[4:5], v0
	s_andn2_b64 s[30:31], s[30:31], exec
	s_mov_b32 s36, 0
	s_waitcnt lgkmcnt(0)
	flat_load_dword v0, v[4:5] glc
	s_waitcnt vmcnt(0) lgkmcnt(0)
	buffer_wbinvl1_vol
	v_cmp_eq_u32_e32 vcc, 0, v0
	s_and_b64 vcc, vcc, exec
	s_or_b64 s[30:31], s[30:31], vcc
	s_mov_b64 vcc, -1
	s_or_b64 s[94:95], s[94:95], exec
	s_and_saveexec_b64 s[34:35], s[30:31]
	s_cbranch_execz .LBB6_2022
.LBB6_2026:                             ;   in Loop: Header=BB6_2023 Depth=3
	s_sleep 1
	s_trap 2
	ds_read_b64 v[4:5], v0
	s_waitcnt lgkmcnt(0)
	s_andn2_b64 s[94:95], s[94:95], exec
	v_cmp_ge_u64_e32 vcc, v[4:5], v[32:33]
	s_orn2_b64 vcc, vcc, exec
	s_branch .LBB6_2022
.LBB6_2027:                             ;   in Loop: Header=BB6_1991 Depth=2
	s_or_b64 exec, exec, s[90:91]
	s_and_saveexec_b64 s[90:91], s[92:93]
	s_xor_b64 s[90:91], exec, s[90:91]
	s_cbranch_execz .LBB6_2029
; %bb.2028:                             ;   in Loop: Header=BB6_1991 Depth=2
	v_mov_b32_e32 v0, 1
	ds_write_b32 v0, v0
	s_trap 2
.LBB6_2029:                             ;   in Loop: Header=BB6_1991 Depth=2
	s_or_b64 exec, exec, s[88:89]
	;;#ASMSTART
	s_wakeup
	;;#ASMEND
.LBB6_2030:                             ;   in Loop: Header=BB6_1991 Depth=2
	s_or_b64 exec, exec, s[78:79]
.LBB6_2031:                             ;   in Loop: Header=BB6_1991 Depth=2
	s_andn2_saveexec_b64 s[76:77], s[76:77]
	s_cbranch_execz .LBB6_2033
; %bb.2032:                             ;   in Loop: Header=BB6_1991 Depth=2
	s_waitcnt vmcnt(0) lgkmcnt(0)
	buffer_wbinvl1_vol
	s_barrier
.LBB6_2033:                             ;   in Loop: Header=BB6_1991 Depth=2
	s_or_b64 exec, exec, s[76:77]
.LBB6_2034:                             ;   in Loop: Header=BB6_1991 Depth=2
	s_or_b64 exec, exec, s[26:27]
	s_trap 2
	ds_read_b32 v0, v0
	v_and_b32_e32 v4, 0x4000, v30
	v_cmp_ne_u32_e32 vcc, 0, v4
	s_xor_b64 s[26:27], s[6:7], -1
	s_and_b64 s[76:77], s[26:27], vcc
	s_and_saveexec_b64 s[26:27], s[76:77]
	s_cbranch_execz .LBB6_2053
; %bb.2035:                             ;   in Loop: Header=BB6_1991 Depth=2
	s_and_saveexec_b64 s[76:77], s[56:57]
	s_xor_b64 s[76:77], exec, s[76:77]
	s_cbranch_execz .LBB6_2050
; %bb.2036:                             ;   in Loop: Header=BB6_1991 Depth=2
	s_and_saveexec_b64 s[78:79], s[16:17]
	s_cbranch_execz .LBB6_2049
; %bb.2037:                             ;   in Loop: Header=BB6_1991 Depth=2
	s_mov_b64 s[90:91], exec
	v_mbcnt_lo_u32_b32 v4, s90, 0
	v_mbcnt_hi_u32_b32 v4, s91, v4
	v_cmp_eq_u32_e32 vcc, 0, v4
	s_waitcnt vmcnt(0) lgkmcnt(0)
	buffer_wbinvl1_vol
	s_and_saveexec_b64 s[88:89], vcc
	s_cbranch_execz .LBB6_2039
; %bb.2038:                             ;   in Loop: Header=BB6_1991 Depth=2
	s_bcnt1_i32_b64 s90, s[90:91]
	v_mov_b32_e32 v4, s90
	v_mov_b32_e32 v5, v2
	ds_add_u64 v0, v[4:5]
	s_trap 2
.LBB6_2039:                             ;   in Loop: Header=BB6_1991 Depth=2
	s_or_b64 exec, exec, s[88:89]
	s_trap 2
	ds_read_b64 v[4:5], v0
	s_waitcnt lgkmcnt(0)
	v_add_co_u32_e32 v32, vcc, v32, v16
	v_addc_co_u32_e32 v33, vcc, 0, v33, vcc
	v_cmp_lt_u64_e32 vcc, v[4:5], v[32:33]
	s_and_saveexec_b64 s[88:89], vcc
	s_cbranch_execz .LBB6_2048
; %bb.2040:                             ;   in Loop: Header=BB6_1991 Depth=2
	s_mov_b32 s36, 0
	s_mov_b64 s[90:91], 0
                                        ; implicit-def: $sgpr92_sgpr93
                                        ; implicit-def: $sgpr94_sgpr95
	s_branch .LBB6_2042
.LBB6_2041:                             ;   in Loop: Header=BB6_2042 Depth=3
	s_or_b64 exec, exec, s[34:35]
	s_and_b64 vcc, exec, vcc
	s_or_b64 s[90:91], vcc, s[90:91]
	s_andn2_b64 s[92:93], s[92:93], exec
	s_and_b64 vcc, s[94:95], exec
	s_or_b64 s[92:93], s[92:93], vcc
	s_andn2_b64 exec, exec, s[90:91]
	s_cbranch_execz .LBB6_2046
.LBB6_2042:                             ;   Parent Loop BB6_47 Depth=1
                                        ;     Parent Loop BB6_1991 Depth=2
                                        ; =>    This Inner Loop Header: Depth=3
	s_add_i32 s36, s36, 1
	s_cmpk_lg_i32 s36, 0x2710
	s_cselect_b64 s[30:31], -1, 0
	s_and_b64 vcc, exec, s[30:31]
	s_cbranch_vccz .LBB6_2044
; %bb.2043:                             ;   in Loop: Header=BB6_2042 Depth=3
	s_mov_b64 vcc, -1
	s_or_b64 s[94:95], s[94:95], exec
	s_and_saveexec_b64 s[34:35], s[30:31]
	s_cbranch_execz .LBB6_2041
	s_branch .LBB6_2045
.LBB6_2044:                             ;   in Loop: Header=BB6_2042 Depth=3
	s_trap 2
	ds_read_b64 v[4:5], v0
	s_andn2_b64 s[30:31], s[30:31], exec
	s_mov_b32 s36, 0
	s_waitcnt lgkmcnt(0)
	flat_load_dword v4, v[4:5] glc
	s_waitcnt vmcnt(0) lgkmcnt(0)
	buffer_wbinvl1_vol
	v_cmp_eq_u32_e32 vcc, 0, v4
	s_and_b64 vcc, vcc, exec
	s_or_b64 s[30:31], s[30:31], vcc
	s_mov_b64 vcc, -1
	s_or_b64 s[94:95], s[94:95], exec
	s_and_saveexec_b64 s[34:35], s[30:31]
	s_cbranch_execz .LBB6_2041
.LBB6_2045:                             ;   in Loop: Header=BB6_2042 Depth=3
	s_sleep 1
	s_trap 2
	ds_read_b64 v[4:5], v0
	s_waitcnt lgkmcnt(0)
	s_andn2_b64 s[94:95], s[94:95], exec
	v_cmp_ge_u64_e32 vcc, v[4:5], v[32:33]
	s_orn2_b64 vcc, vcc, exec
	s_branch .LBB6_2041
.LBB6_2046:                             ;   in Loop: Header=BB6_1991 Depth=2
	s_or_b64 exec, exec, s[90:91]
	s_and_saveexec_b64 s[90:91], s[92:93]
	s_xor_b64 s[90:91], exec, s[90:91]
	s_cbranch_execz .LBB6_2048
; %bb.2047:                             ;   in Loop: Header=BB6_1991 Depth=2
	v_mov_b32_e32 v4, 1
	ds_write_b32 v0, v4
	s_trap 2
.LBB6_2048:                             ;   in Loop: Header=BB6_1991 Depth=2
	s_or_b64 exec, exec, s[88:89]
	;;#ASMSTART
	s_wakeup
	;;#ASMEND
.LBB6_2049:                             ;   in Loop: Header=BB6_1991 Depth=2
	s_or_b64 exec, exec, s[78:79]
.LBB6_2050:                             ;   in Loop: Header=BB6_1991 Depth=2
	s_andn2_saveexec_b64 s[76:77], s[76:77]
	s_cbranch_execz .LBB6_2052
; %bb.2051:                             ;   in Loop: Header=BB6_1991 Depth=2
	s_waitcnt vmcnt(0) lgkmcnt(0)
	buffer_wbinvl1_vol
	s_barrier
.LBB6_2052:                             ;   in Loop: Header=BB6_1991 Depth=2
	s_or_b64 exec, exec, s[76:77]
.LBB6_2053:                             ;   in Loop: Header=BB6_1991 Depth=2
	s_or_b64 exec, exec, s[26:27]
	s_trap 2
	s_waitcnt lgkmcnt(0)
	ds_read_b64 v[12:13], v0
	v_sub_u32_e32 v4, v3, v8
	v_min_i32_e32 v54, v54, v4
	s_waitcnt lgkmcnt(0)
	v_cmp_eq_u64_e32 vcc, 0, v[12:13]
	s_cbranch_vccnz .LBB6_2061
; %bb.2054:                             ;   in Loop: Header=BB6_1991 Depth=2
	s_trap 2
	ds_read_b64 v[14:15], v0
	s_waitcnt lgkmcnt(0)
	v_cmp_eq_u64_e32 vcc, 0, v[14:15]
	s_cbranch_vccnz .LBB6_2061
; %bb.2055:                             ;   in Loop: Header=BB6_1991 Depth=2
	s_mov_b64 s[26:27], -1
	s_and_saveexec_b64 s[76:77], s[20:21]
	s_cbranch_execz .LBB6_2057
; %bb.2056:                             ;   in Loop: Header=BB6_1991 Depth=2
	ds_read_b32 v4, v0 offset:720
	s_waitcnt lgkmcnt(0)
	v_and_b32_e32 v4, 15, v4
	v_cmp_eq_u32_e32 vcc, 0, v4
	s_orn2_b64 s[26:27], vcc, exec
.LBB6_2057:                             ;   in Loop: Header=BB6_1991 Depth=2
	s_or_b64 exec, exec, s[76:77]
	s_and_saveexec_b64 s[76:77], s[18:19]
	s_cbranch_execz .LBB6_2059
; %bb.2058:                             ;   in Loop: Header=BB6_1991 Depth=2
	ds_read_b32 v4, v0 offset:784
	s_waitcnt lgkmcnt(0)
	v_and_b32_e32 v4, 15, v4
	v_cmp_eq_u32_e32 vcc, 0, v4
	s_and_b64 s[78:79], s[26:27], vcc
	s_andn2_b64 s[26:27], s[26:27], exec
	s_and_b64 s[78:79], s[78:79], exec
	s_or_b64 s[26:27], s[26:27], s[78:79]
.LBB6_2059:                             ;   in Loop: Header=BB6_1991 Depth=2
	s_or_b64 exec, exec, s[76:77]
	v_cmp_eq_u32_e32 vcc, 0, v0
	s_xor_b64 s[26:27], s[26:27], -1
	v_cndmask_b32_e32 v0, 0, v54, vcc
	v_cndmask_b32_e64 v5, 0, 1, s[26:27]
	v_lshlrev_b32_e32 v4, 1, v0
	s_mov_b64 s[78:79], -1
	v_cmp_ne_u32_e32 vcc, 0, v5
	v_mov_b32_e32 v5, 0
	s_cbranch_vccz .LBB6_2066
; %bb.2060:                             ;   in Loop: Header=BB6_1991 Depth=2
	s_waitcnt vmcnt(0)
	v_mov_b32_e32 v6, v56
	s_and_saveexec_b64 s[26:27], s[78:79]
	s_cbranch_execnz .LBB6_2077
	s_branch .LBB6_2085
.LBB6_2061:                             ;   in Loop: Header=BB6_1991 Depth=2
	s_mov_b64 s[26:27], 0
	s_and_saveexec_b64 s[76:77], s[10:11]
	s_cbranch_execnz .LBB6_2086
.LBB6_2062:                             ;   in Loop: Header=BB6_1991 Depth=2
	s_or_b64 exec, exec, s[76:77]
	s_and_saveexec_b64 s[76:77], s[24:25]
	s_xor_b64 s[76:77], exec, s[76:77]
	s_cbranch_execz .LBB6_2104
.LBB6_2063:                             ;   in Loop: Header=BB6_1991 Depth=2
	v_and_b32_e32 v0, 16, v30
	v_cmp_ne_u32_e32 vcc, 0, v0
	s_and_b64 s[78:79], vcc, s[26:27]
	s_and_saveexec_b64 s[26:27], s[78:79]
	s_cbranch_execz .LBB6_2065
; %bb.2064:                             ;   in Loop: Header=BB6_1991 Depth=2
	s_waitcnt vmcnt(0) lgkmcnt(0)
	buffer_wbinvl1_vol
.LBB6_2065:                             ;   in Loop: Header=BB6_1991 Depth=2
	s_or_b64 exec, exec, s[26:27]
	s_andn2_saveexec_b64 s[26:27], s[76:77]
	s_cbranch_execz .LBB6_2123
	s_branch .LBB6_2105
.LBB6_2066:                             ;   in Loop: Header=BB6_1991 Depth=2
	buffer_load_dword v6, off, s[0:3], s33 offset:132 ; 4-byte Folded Reload
	v_ashrrev_i32_e32 v5, 31, v4
	v_lshrrev_b32_e32 v5, 20, v5
	v_add_u32_e32 v5, v4, v5
	v_ashrrev_i32_e32 v5, 12, v5
	s_waitcnt vmcnt(0)
	v_sub_u32_e32 v9, v5, v6
	v_cmp_lt_i32_e32 vcc, 0, v9
	s_and_saveexec_b64 s[26:27], vcc
	s_cbranch_execz .LBB6_2070
; %bb.2067:                             ;   in Loop: Header=BB6_1991 Depth=2
	buffer_load_dword v20, off, s[0:3], s33 offset:136 ; 4-byte Folded Reload
	v_mov_b32_e32 v19, v15
	v_mov_b32_e32 v51, v13
	s_mov_b64 s[76:77], 0
	v_mov_b32_e32 v18, v14
	v_mov_b32_e32 v50, v12
	v_lshlrev_b32_e32 v17, 12, v16
.LBB6_2068:                             ;   Parent Loop BB6_47 Depth=1
                                        ;     Parent Loop BB6_1991 Depth=2
                                        ; =>    This Inner Loop Header: Depth=3
	s_waitcnt vmcnt(0)
	v_add_co_u32_e32 v6, vcc, v20, v50
	v_addc_co_u32_e32 v7, vcc, 0, v51, vcc
	global_load_dwordx4 v[24:27], v[6:7], off glc slc
	global_load_dwordx4 v[37:40], v[6:7], off offset:1024 glc slc
	global_load_dwordx4 v[41:44], v[6:7], off offset:2048 glc slc
	;; [unrolled: 1-line block ×3, first 2 shown]
	v_add_co_u32_e32 v6, vcc, v20, v18
	v_addc_co_u32_e32 v7, vcc, 0, v19, vcc
	v_add_co_u32_e32 v50, vcc, v50, v17
	v_addc_co_u32_e32 v51, vcc, 0, v51, vcc
	v_add_co_u32_e32 v18, vcc, v18, v17
	v_sub_u32_e32 v9, v9, v16
	v_addc_co_u32_e32 v19, vcc, 0, v19, vcc
	v_cmp_gt_i32_e32 vcc, 1, v9
	s_or_b64 s[76:77], vcc, s[76:77]
	s_waitcnt vmcnt(3)
	global_store_dwordx4 v[6:7], v[24:27], off glc slc
	s_waitcnt vmcnt(3)
	global_store_dwordx4 v[6:7], v[37:40], off offset:1024 glc slc
	s_waitcnt vmcnt(3)
	global_store_dwordx4 v[6:7], v[41:44], off offset:2048 glc slc
	;; [unrolled: 2-line block ×3, first 2 shown]
	s_andn2_b64 exec, exec, s[76:77]
	s_cbranch_execnz .LBB6_2068
; %bb.2069:                             ;   in Loop: Header=BB6_1991 Depth=2
	s_or_b64 exec, exec, s[76:77]
	buffer_load_dword v56, off, s[0:3], s33 offset:172 ; 4-byte Folded Reload
	buffer_load_dword v58, off, s[0:3], s33 offset:96 ; 4-byte Folded Reload
	;; [unrolled: 1-line block ×7, first 2 shown]
.LBB6_2070:                             ;   in Loop: Header=BB6_1991 Depth=2
	s_or_b64 exec, exec, s[26:27]
	v_lshlrev_b32_e32 v7, 12, v5
	v_cmp_ne_u32_e32 vcc, v4, v7
	s_mov_b64 s[78:79], 0
	v_mov_b32_e32 v5, 0
                                        ; implicit-def: $vgpr6
	s_and_saveexec_b64 s[76:77], vcc
	s_cbranch_execz .LBB6_2076
; %bb.2071:                             ;   in Loop: Header=BB6_1991 Depth=2
	buffer_load_dword v6, off, s[0:3], s33 offset:140 ; 4-byte Folded Reload
	v_lshlrev_b32_e32 v5, 6, v9
	v_sub_u32_e32 v17, v4, v7
	s_waitcnt vmcnt(0)
	v_sub_u32_e32 v5, v6, v5
	v_ashrrev_i32_e32 v6, 31, v5
	v_lshrrev_b32_e32 v6, 26, v6
	v_add_u32_e32 v6, v5, v6
	v_ashrrev_i32_e32 v20, 6, v6
	v_and_b32_e32 v6, 0xffffffc0, v6
	v_sub_u32_e32 v6, v5, v6
	v_lshlrev_b32_e32 v5, 4, v6
	v_lshl_add_u32 v19, v20, 10, v5
	v_ashrrev_i32_e32 v5, 31, v17
	v_lshrrev_b32_e32 v5, 22, v5
	v_add_u32_e32 v5, v17, v5
	v_ashrrev_i32_e32 v21, 10, v5
	v_and_b32_e32 v5, 0xfffffc00, v5
	v_sub_u32_e32 v9, v17, v5
	v_cmp_lt_i32_e32 vcc, 15, v9
	v_sub_u32_e32 v18, v17, v19
	v_addc_co_u32_e64 v17, s[26:27], 0, v21, vcc
	v_sub_u32_e32 v17, v17, v20
	v_cmp_lt_i32_e64 s[26:27], 15, v18
	s_and_saveexec_b64 s[78:79], s[26:27]
	s_cbranch_execz .LBB6_2075
; %bb.2072:                             ;   in Loop: Header=BB6_1991 Depth=2
	v_add_u32_e32 v19, v19, v7
	v_ashrrev_i32_e32 v26, 31, v19
	s_mov_b64 s[88:89], 0
.LBB6_2073:                             ;   Parent Loop BB6_47 Depth=1
                                        ;     Parent Loop BB6_1991 Depth=2
                                        ; =>    This Inner Loop Header: Depth=3
	v_add_co_u32_e64 v20, s[26:27], v12, v19
	v_addc_co_u32_e64 v21, s[26:27], v13, v26, s[26:27]
	global_load_dwordx4 v[50:53], v[20:21], off glc slc
	v_add_co_u32_e64 v20, s[26:27], v14, v19
	v_addc_co_u32_e64 v21, s[26:27], v15, v26, s[26:27]
	v_add_co_u32_e64 v19, s[26:27], v19, v31
	v_sub_u32_e32 v18, v18, v31
	v_addc_co_u32_e64 v26, s[26:27], 0, v26, s[26:27]
	v_cmp_gt_i32_e64 s[26:27], 16, v18
	v_sub_u32_e32 v17, v17, v16
	s_or_b64 s[88:89], s[26:27], s[88:89]
	s_waitcnt vmcnt(0)
	global_store_dwordx4 v[20:21], v[50:53], off glc slc
	s_andn2_b64 exec, exec, s[88:89]
	s_cbranch_execnz .LBB6_2073
; %bb.2074:                             ;   in Loop: Header=BB6_1991 Depth=2
	s_or_b64 exec, exec, s[88:89]
.LBB6_2075:                             ;   in Loop: Header=BB6_1991 Depth=2
	s_or_b64 exec, exec, s[78:79]
	v_and_b32_e32 v4, 14, v4
	v_sub_u32_e32 v18, v9, v4
	v_cndmask_b32_e32 v18, 0, v18, vcc
	v_cndmask_b32_e32 v4, v9, v4, vcc
	v_cmp_lt_i32_e32 vcc, 0, v17
	v_add3_u32 v5, v5, v7, v18
	v_cndmask_b32_e32 v7, 0, v16, vcc
	v_sub_u32_e32 v7, v7, v17
	v_cmp_ne_u32_e32 vcc, 0, v4
	v_lshl_add_u32 v6, v7, 6, v6
	s_and_b64 s[78:79], vcc, exec
.LBB6_2076:                             ;   in Loop: Header=BB6_1991 Depth=2
	s_or_b64 exec, exec, s[76:77]
	s_and_saveexec_b64 s[26:27], s[78:79]
	s_cbranch_execz .LBB6_2085
.LBB6_2077:                             ;   in Loop: Header=BB6_1991 Depth=2
	v_ashrrev_i32_e32 v7, 31, v6
	v_ashrrev_i32_e32 v9, 31, v4
	v_lshrrev_b32_e32 v7, 26, v7
	v_lshrrev_b32_e32 v9, 22, v9
	v_add_u32_e32 v18, v6, v7
	v_add_u32_e32 v9, v4, v9
	v_ashrrev_i32_e32 v7, 6, v18
	v_ashrrev_i32_e32 v17, 10, v9
	v_sub_u32_e32 v9, v17, v7
	v_cmp_lt_i32_e32 vcc, 0, v9
	s_and_saveexec_b64 s[76:77], vcc
	s_cbranch_execz .LBB6_2081
; %bb.2078:                             ;   in Loop: Header=BB6_1991 Depth=2
	v_and_b32_e32 v18, 0x7fffffc0, v18
	v_sub_u32_e32 v18, v6, v18
	v_lshlrev_b32_e32 v18, 1, v18
	v_lshlrev_b32_e32 v19, 10, v7
	v_add3_u32 v26, v18, v5, v19
	v_mov_b32_e32 v19, v15
	v_mov_b32_e32 v51, v13
	v_ashrrev_i32_e32 v27, 31, v26
	s_mov_b64 s[78:79], 0
	v_mov_b32_e32 v18, v14
	v_mov_b32_e32 v50, v12
.LBB6_2079:                             ;   Parent Loop BB6_47 Depth=1
                                        ;     Parent Loop BB6_1991 Depth=2
                                        ; =>    This Inner Loop Header: Depth=3
	v_add_co_u32_e32 v20, vcc, v26, v50
	v_addc_co_u32_e32 v21, vcc, v27, v51, vcc
	flat_load_ushort v24, v[20:21] glc slc
	flat_load_ushort v25, v[20:21] offset:128 glc slc
	flat_load_ushort v34, v[20:21] offset:256 glc slc
	;; [unrolled: 1-line block ×7, first 2 shown]
	v_add_co_u32_e32 v20, vcc, v26, v18
	v_addc_co_u32_e32 v21, vcc, v27, v19, vcc
	v_add_co_u32_e32 v50, vcc, v50, v31
	v_addc_co_u32_e32 v51, vcc, 0, v51, vcc
	v_add_co_u32_e32 v18, vcc, v18, v31
	v_sub_u32_e32 v9, v9, v16
	v_addc_co_u32_e32 v19, vcc, 0, v19, vcc
	v_cmp_gt_i32_e32 vcc, 1, v9
	s_or_b64 s[78:79], vcc, s[78:79]
	s_waitcnt vmcnt(0) lgkmcnt(0)
	flat_store_short v[20:21], v24 glc slc
	flat_store_short v[20:21], v25 offset:128 glc slc
	flat_store_short v[20:21], v34 offset:256 glc slc
	;; [unrolled: 1-line block ×7, first 2 shown]
	s_andn2_b64 exec, exec, s[78:79]
	s_cbranch_execnz .LBB6_2079
; %bb.2080:                             ;   in Loop: Header=BB6_1991 Depth=2
	s_or_b64 exec, exec, s[78:79]
.LBB6_2081:                             ;   in Loop: Header=BB6_1991 Depth=2
	s_or_b64 exec, exec, s[76:77]
	v_lshlrev_b32_e32 v17, 10, v17
	v_cmp_ne_u32_e32 vcc, v4, v17
	s_and_b64 exec, exec, vcc
	s_cbranch_execz .LBB6_2085
; %bb.2082:                             ;   in Loop: Header=BB6_1991 Depth=2
	v_lshlrev_b32_e32 v7, 6, v7
	v_sub_u32_e32 v6, v6, v7
	v_lshlrev_b32_e32 v7, 6, v9
	v_sub_u32_e32 v6, v6, v7
	v_ashrrev_i32_e32 v7, 31, v6
	v_lshrrev_b32_e32 v7, 26, v7
	v_add_u32_e32 v7, v6, v7
	v_and_b32_e32 v9, 0x7fffffc0, v7
	v_sub_u32_e32 v6, v6, v9
	v_lshlrev_b32_e32 v7, 1, v7
	v_and_b32_e32 v7, 0xffffff80, v7
	v_lshlrev_b32_e32 v6, 1, v6
	v_add3_u32 v6, v7, v6, v17
	v_sub_u32_e32 v4, v4, v6
	v_cmp_lt_i32_e32 vcc, 1, v4
	s_and_b64 exec, exec, vcc
	s_cbranch_execz .LBB6_2085
; %bb.2083:                             ;   in Loop: Header=BB6_1991 Depth=2
	v_add_u32_e32 v5, v6, v5
	v_ashrrev_i32_e32 v6, 31, v5
	s_mov_b64 s[76:77], 0
.LBB6_2084:                             ;   Parent Loop BB6_47 Depth=1
                                        ;     Parent Loop BB6_1991 Depth=2
                                        ; =>    This Inner Loop Header: Depth=3
	v_add_co_u32_e32 v17, vcc, v12, v5
	v_addc_co_u32_e32 v18, vcc, v13, v6, vcc
	flat_load_ushort v7, v[17:18] glc slc
	v_add_co_u32_e32 v17, vcc, v14, v5
	v_addc_co_u32_e32 v18, vcc, v15, v6, vcc
	v_add_co_u32_e32 v5, vcc, v5, v1
	v_sub_u32_e32 v4, v4, v1
	v_addc_co_u32_e32 v6, vcc, 0, v6, vcc
	v_cmp_gt_i32_e32 vcc, 2, v4
	s_or_b64 s[76:77], vcc, s[76:77]
	s_waitcnt vmcnt(0) lgkmcnt(0)
	flat_store_short v[17:18], v7 glc slc
	s_andn2_b64 exec, exec, s[76:77]
	s_cbranch_execnz .LBB6_2084
.LBB6_2085:                             ;   in Loop: Header=BB6_1991 Depth=2
	s_or_b64 exec, exec, s[26:27]
	v_cmp_lt_i32_e64 s[26:27], 0, v0
	s_and_saveexec_b64 s[76:77], s[10:11]
	s_cbranch_execz .LBB6_2062
.LBB6_2086:                             ;   in Loop: Header=BB6_1991 Depth=2
	s_and_saveexec_b64 s[78:79], s[56:57]
	s_xor_b64 s[78:79], exec, s[78:79]
	s_cbranch_execz .LBB6_2101
; %bb.2087:                             ;   in Loop: Header=BB6_1991 Depth=2
	s_and_saveexec_b64 s[88:89], s[16:17]
	s_cbranch_execz .LBB6_2100
; %bb.2088:                             ;   in Loop: Header=BB6_1991 Depth=2
	s_mov_b64 s[92:93], exec
	v_mbcnt_lo_u32_b32 v0, s92, 0
	v_mbcnt_hi_u32_b32 v0, s93, v0
	v_cmp_eq_u32_e32 vcc, 0, v0
	s_waitcnt vmcnt(0) lgkmcnt(0)
	buffer_wbinvl1_vol
	s_and_saveexec_b64 s[90:91], vcc
	s_cbranch_execz .LBB6_2090
; %bb.2089:                             ;   in Loop: Header=BB6_1991 Depth=2
	s_bcnt1_i32_b64 s92, s[92:93]
	v_mov_b32_e32 v4, s92
	v_mov_b32_e32 v5, v2
	ds_add_u64 v0, v[4:5]
	s_trap 2
.LBB6_2090:                             ;   in Loop: Header=BB6_1991 Depth=2
	s_or_b64 exec, exec, s[90:91]
	s_trap 2
	ds_read_b64 v[4:5], v0
	s_waitcnt lgkmcnt(0)
	v_add_co_u32_e32 v32, vcc, v32, v16
	v_addc_co_u32_e32 v33, vcc, 0, v33, vcc
	v_cmp_lt_u64_e32 vcc, v[4:5], v[32:33]
	s_and_saveexec_b64 s[90:91], vcc
	s_cbranch_execz .LBB6_2099
; %bb.2091:                             ;   in Loop: Header=BB6_1991 Depth=2
	s_mov_b32 s38, 0
	s_mov_b64 s[92:93], 0
                                        ; implicit-def: $sgpr94_sgpr95
                                        ; implicit-def: $sgpr30_sgpr31
	s_branch .LBB6_2093
.LBB6_2092:                             ;   in Loop: Header=BB6_2093 Depth=3
	s_or_b64 exec, exec, s[36:37]
	s_and_b64 vcc, exec, vcc
	s_or_b64 s[92:93], vcc, s[92:93]
	s_andn2_b64 s[94:95], s[94:95], exec
	s_and_b64 vcc, s[30:31], exec
	s_or_b64 s[94:95], s[94:95], vcc
	s_andn2_b64 exec, exec, s[92:93]
	s_cbranch_execz .LBB6_2097
.LBB6_2093:                             ;   Parent Loop BB6_47 Depth=1
                                        ;     Parent Loop BB6_1991 Depth=2
                                        ; =>    This Inner Loop Header: Depth=3
	s_add_i32 s38, s38, 1
	s_cmpk_lg_i32 s38, 0x2710
	s_cselect_b64 s[34:35], -1, 0
	s_and_b64 vcc, exec, s[34:35]
	s_cbranch_vccz .LBB6_2095
; %bb.2094:                             ;   in Loop: Header=BB6_2093 Depth=3
	s_mov_b64 vcc, -1
	s_or_b64 s[30:31], s[30:31], exec
	s_and_saveexec_b64 s[36:37], s[34:35]
	s_cbranch_execz .LBB6_2092
	s_branch .LBB6_2096
.LBB6_2095:                             ;   in Loop: Header=BB6_2093 Depth=3
	s_trap 2
	ds_read_b64 v[4:5], v0
	s_andn2_b64 s[34:35], s[34:35], exec
	s_mov_b32 s38, 0
	s_waitcnt lgkmcnt(0)
	flat_load_dword v0, v[4:5] glc
	s_waitcnt vmcnt(0) lgkmcnt(0)
	buffer_wbinvl1_vol
	v_cmp_eq_u32_e32 vcc, 0, v0
	s_and_b64 vcc, vcc, exec
	s_or_b64 s[34:35], s[34:35], vcc
	s_mov_b64 vcc, -1
	s_or_b64 s[30:31], s[30:31], exec
	s_and_saveexec_b64 s[36:37], s[34:35]
	s_cbranch_execz .LBB6_2092
.LBB6_2096:                             ;   in Loop: Header=BB6_2093 Depth=3
	s_sleep 1
	s_trap 2
	ds_read_b64 v[4:5], v0
	s_waitcnt lgkmcnt(0)
	s_andn2_b64 s[30:31], s[30:31], exec
	v_cmp_ge_u64_e32 vcc, v[4:5], v[32:33]
	s_orn2_b64 vcc, vcc, exec
	s_branch .LBB6_2092
.LBB6_2097:                             ;   in Loop: Header=BB6_1991 Depth=2
	s_or_b64 exec, exec, s[92:93]
	s_and_saveexec_b64 s[92:93], s[94:95]
	s_xor_b64 s[92:93], exec, s[92:93]
	s_cbranch_execz .LBB6_2099
; %bb.2098:                             ;   in Loop: Header=BB6_1991 Depth=2
	v_mov_b32_e32 v0, 1
	ds_write_b32 v0, v0
	s_trap 2
.LBB6_2099:                             ;   in Loop: Header=BB6_1991 Depth=2
	s_or_b64 exec, exec, s[90:91]
	;;#ASMSTART
	s_wakeup
	;;#ASMEND
.LBB6_2100:                             ;   in Loop: Header=BB6_1991 Depth=2
	s_or_b64 exec, exec, s[88:89]
.LBB6_2101:                             ;   in Loop: Header=BB6_1991 Depth=2
	s_andn2_saveexec_b64 s[78:79], s[78:79]
	s_cbranch_execz .LBB6_2103
; %bb.2102:                             ;   in Loop: Header=BB6_1991 Depth=2
	s_waitcnt vmcnt(0) lgkmcnt(0)
	buffer_wbinvl1_vol
	s_barrier
.LBB6_2103:                             ;   in Loop: Header=BB6_1991 Depth=2
	s_or_b64 exec, exec, s[78:79]
	s_or_b64 exec, exec, s[76:77]
	s_and_saveexec_b64 s[76:77], s[24:25]
	s_xor_b64 s[76:77], exec, s[76:77]
	s_cbranch_execnz .LBB6_2063
.LBB6_2104:                             ;   in Loop: Header=BB6_1991 Depth=2
	s_andn2_saveexec_b64 s[26:27], s[76:77]
	s_cbranch_execz .LBB6_2123
.LBB6_2105:                             ;   in Loop: Header=BB6_1991 Depth=2
	s_and_saveexec_b64 s[76:77], s[56:57]
	s_xor_b64 s[76:77], exec, s[76:77]
	s_cbranch_execz .LBB6_2120
; %bb.2106:                             ;   in Loop: Header=BB6_1991 Depth=2
	s_and_saveexec_b64 s[78:79], s[16:17]
	s_cbranch_execz .LBB6_2119
; %bb.2107:                             ;   in Loop: Header=BB6_1991 Depth=2
	s_mov_b64 s[90:91], exec
	v_mbcnt_lo_u32_b32 v0, s90, 0
	v_mbcnt_hi_u32_b32 v0, s91, v0
	v_cmp_eq_u32_e32 vcc, 0, v0
	;;#ASMSTART
	s_waitcnt lgkmcnt(0) vmcnt(0)
	;;#ASMEND
	s_and_saveexec_b64 s[88:89], vcc
	s_cbranch_execz .LBB6_2109
; %bb.2108:                             ;   in Loop: Header=BB6_1991 Depth=2
	s_bcnt1_i32_b64 s90, s[90:91]
	v_mov_b32_e32 v4, s90
	v_mov_b32_e32 v5, v2
	s_waitcnt lgkmcnt(0)
	ds_add_u64 v0, v[4:5]
	s_trap 2
.LBB6_2109:                             ;   in Loop: Header=BB6_1991 Depth=2
	s_or_b64 exec, exec, s[88:89]
	s_trap 2
	ds_read_b64 v[4:5], v0
	s_waitcnt lgkmcnt(0)
	v_add_co_u32_e32 v32, vcc, v32, v16
	v_addc_co_u32_e32 v33, vcc, 0, v33, vcc
	v_cmp_lt_u64_e32 vcc, v[4:5], v[32:33]
	s_and_saveexec_b64 s[88:89], vcc
	s_cbranch_execz .LBB6_2118
; %bb.2110:                             ;   in Loop: Header=BB6_1991 Depth=2
	s_mov_b32 s36, 0
	s_mov_b64 s[90:91], 0
                                        ; implicit-def: $sgpr92_sgpr93
                                        ; implicit-def: $sgpr94_sgpr95
	s_branch .LBB6_2112
.LBB6_2111:                             ;   in Loop: Header=BB6_2112 Depth=3
	s_or_b64 exec, exec, s[34:35]
	s_and_b64 vcc, exec, vcc
	s_or_b64 s[90:91], vcc, s[90:91]
	s_andn2_b64 s[92:93], s[92:93], exec
	s_and_b64 vcc, s[94:95], exec
	s_or_b64 s[92:93], s[92:93], vcc
	s_andn2_b64 exec, exec, s[90:91]
	s_cbranch_execz .LBB6_2116
.LBB6_2112:                             ;   Parent Loop BB6_47 Depth=1
                                        ;     Parent Loop BB6_1991 Depth=2
                                        ; =>    This Inner Loop Header: Depth=3
	s_add_i32 s36, s36, 1
	s_cmpk_lg_i32 s36, 0x2710
	s_cselect_b64 s[30:31], -1, 0
	s_and_b64 vcc, exec, s[30:31]
	s_cbranch_vccz .LBB6_2114
; %bb.2113:                             ;   in Loop: Header=BB6_2112 Depth=3
	s_mov_b64 vcc, -1
	s_or_b64 s[94:95], s[94:95], exec
	s_and_saveexec_b64 s[34:35], s[30:31]
	s_cbranch_execz .LBB6_2111
	s_branch .LBB6_2115
.LBB6_2114:                             ;   in Loop: Header=BB6_2112 Depth=3
	s_trap 2
	ds_read_b64 v[4:5], v0
	s_andn2_b64 s[30:31], s[30:31], exec
	s_mov_b32 s36, 0
	s_waitcnt vmcnt(0) lgkmcnt(0)
	flat_load_dword v0, v[4:5] glc
	s_waitcnt vmcnt(0) lgkmcnt(0)
	buffer_wbinvl1_vol
	v_cmp_eq_u32_e32 vcc, 0, v0
	s_and_b64 vcc, vcc, exec
	s_or_b64 s[30:31], s[30:31], vcc
	s_mov_b64 vcc, -1
	s_or_b64 s[94:95], s[94:95], exec
	s_and_saveexec_b64 s[34:35], s[30:31]
	s_cbranch_execz .LBB6_2111
.LBB6_2115:                             ;   in Loop: Header=BB6_2112 Depth=3
	s_sleep 1
	s_trap 2
	ds_read_b64 v[4:5], v0
	s_waitcnt lgkmcnt(0)
	s_andn2_b64 s[94:95], s[94:95], exec
	v_cmp_ge_u64_e32 vcc, v[4:5], v[32:33]
	s_orn2_b64 vcc, vcc, exec
	s_branch .LBB6_2111
.LBB6_2116:                             ;   in Loop: Header=BB6_1991 Depth=2
	s_or_b64 exec, exec, s[90:91]
	s_and_saveexec_b64 s[90:91], s[92:93]
	s_xor_b64 s[90:91], exec, s[90:91]
	s_cbranch_execz .LBB6_2118
; %bb.2117:                             ;   in Loop: Header=BB6_1991 Depth=2
	v_mov_b32_e32 v0, 1
	ds_write_b32 v0, v0
	s_trap 2
.LBB6_2118:                             ;   in Loop: Header=BB6_1991 Depth=2
	s_or_b64 exec, exec, s[88:89]
	;;#ASMSTART
	s_wakeup
	;;#ASMEND
.LBB6_2119:                             ;   in Loop: Header=BB6_1991 Depth=2
	s_or_b64 exec, exec, s[78:79]
.LBB6_2120:                             ;   in Loop: Header=BB6_1991 Depth=2
	s_andn2_saveexec_b64 s[76:77], s[76:77]
	s_cbranch_execz .LBB6_2122
; %bb.2121:                             ;   in Loop: Header=BB6_1991 Depth=2
	;;#ASMSTART
	s_waitcnt lgkmcnt(0) vmcnt(0)
	;;#ASMEND
	s_waitcnt vmcnt(0) lgkmcnt(0)
	s_barrier
.LBB6_2122:                             ;   in Loop: Header=BB6_1991 Depth=2
	s_or_b64 exec, exec, s[76:77]
.LBB6_2123:                             ;   in Loop: Header=BB6_1991 Depth=2
	s_or_b64 exec, exec, s[26:27]
	v_and_b32_e32 v0, 32, v30
	v_cmp_ne_u32_e32 vcc, 0, v0
	s_and_saveexec_b64 s[26:27], vcc
	s_cbranch_execz .LBB6_1990
; %bb.2124:                             ;   in Loop: Header=BB6_1991 Depth=2
	v_add_co_u32_e32 v48, vcc, 2, v48
	v_addc_co_u32_e32 v49, vcc, 0, v49, vcc
	flat_store_dwordx2 v[22:23], v[48:49]
	s_branch .LBB6_1990
.LBB6_2125:                             ;   in Loop: Header=BB6_47 Depth=1
	s_or_b64 exec, exec, s[40:41]
.LBB6_2126:                             ;   in Loop: Header=BB6_47 Depth=1
	s_or_b64 exec, exec, s[28:29]
	v_cmp_gt_i32_e32 vcc, 2, v0
	s_and_saveexec_b64 s[28:29], vcc
	s_cbranch_execz .LBB6_46
; %bb.2127:                             ;   in Loop: Header=BB6_47 Depth=1
	v_cmp_eq_u32_e64 s[42:43], 0, v0
	s_mov_b64 s[40:41], 0
	s_branch .LBB6_2129
.LBB6_2128:                             ;   in Loop: Header=BB6_2129 Depth=2
	s_or_b64 exec, exec, s[26:27]
	v_add_u32_e32 v8, v54, v8
	s_mov_b64 s[42:43], 0
	s_andn2_b64 exec, exec, s[40:41]
	s_cbranch_execz .LBB6_45
.LBB6_2129:                             ;   Parent Loop BB6_47 Depth=1
                                        ; =>  This Loop Header: Depth=2
                                        ;       Child Loop BB6_2135 Depth 3
                                        ;       Child Loop BB6_2159 Depth 3
	;; [unrolled: 1-line block ×3, first 2 shown]
	v_and_b32_e32 v0, 4, v30
	v_cmp_ne_u32_e32 vcc, 0, v0
	s_and_saveexec_b64 s[76:77], vcc
	s_cbranch_execz .LBB6_2151
; %bb.2130:                             ;   in Loop: Header=BB6_2129 Depth=2
	v_add_co_u32_e32 v9, vcc, 2, v48
	v_addc_co_u32_e32 v10, vcc, 0, v49, vcc
	s_waitcnt lgkmcnt(0)
	v_cmp_lt_u64_e32 vcc, v[28:29], v[9:10]
	s_and_saveexec_b64 s[78:79], vcc
	s_cbranch_execz .LBB6_2142
; %bb.2131:                             ;   in Loop: Header=BB6_2129 Depth=2
	v_and_b32_e32 v0, 64, v30
	s_mov_b32 s75, 0
	v_cmp_eq_u32_e32 vcc, 0, v0
	s_mov_b64 s[88:89], 0
                                        ; implicit-def: $sgpr90_sgpr91
                                        ; implicit-def: $sgpr92_sgpr93
                                        ; implicit-def: $sgpr94_sgpr95
	s_branch .LBB6_2135
.LBB6_2132:                             ;   in Loop: Header=BB6_2135 Depth=3
	s_waitcnt vmcnt(0) lgkmcnt(0)
	v_cmp_ge_u64_e64 s[26:27], v[28:29], v[9:10]
	s_or_b64 s[36:37], s[36:37], exec
	s_orn2_b64 s[34:35], s[26:27], exec
.LBB6_2133:                             ;   in Loop: Header=BB6_2135 Depth=3
	s_or_b64 exec, exec, s[48:49]
	s_andn2_b64 s[26:27], s[94:95], exec
	s_and_b64 s[94:95], s[36:37], exec
	s_or_b64 s[94:95], s[26:27], s[94:95]
	s_andn2_b64 s[26:27], s[92:93], exec
	s_and_b64 s[92:93], s[34:35], exec
	s_or_b64 s[92:93], s[26:27], s[92:93]
.LBB6_2134:                             ;   in Loop: Header=BB6_2135 Depth=3
	s_or_b64 exec, exec, s[30:31]
	s_and_b64 s[26:27], exec, s[92:93]
	s_or_b64 s[88:89], s[26:27], s[88:89]
	s_andn2_b64 s[26:27], s[90:91], exec
	s_and_b64 s[90:91], s[94:95], exec
	s_or_b64 s[90:91], s[26:27], s[90:91]
	s_andn2_b64 exec, exec, s[88:89]
	s_cbranch_execz .LBB6_2139
.LBB6_2135:                             ;   Parent Loop BB6_47 Depth=1
                                        ;     Parent Loop BB6_2129 Depth=2
                                        ; =>    This Inner Loop Header: Depth=3
	s_sleep 1
	s_waitcnt vmcnt(0) lgkmcnt(0)
	flat_load_dwordx2 v[28:29], v[22:23] glc
	s_or_b64 s[94:95], s[94:95], exec
	s_or_b64 s[92:93], s[92:93], exec
                                        ; implicit-def: $vgpr0
	s_and_saveexec_b64 s[30:31], vcc
	s_cbranch_execz .LBB6_2134
; %bb.2136:                             ;   in Loop: Header=BB6_2135 Depth=3
	s_cmpk_lt_i32 s75, 0x270f
	s_cselect_b64 s[38:39], -1, 0
	s_cmpk_gt_i32 s75, 0x270e
	s_mov_b64 s[34:35], -1
	s_cbranch_scc0 .LBB6_2138
; %bb.2137:                             ;   in Loop: Header=BB6_2135 Depth=3
	s_trap 2
	ds_read_b64 v[4:5], v0
	s_andn2_b64 s[38:39], s[38:39], exec
	s_mov_b32 s75, 0
	s_mov_b64 s[36:37], 0
	s_waitcnt vmcnt(0) lgkmcnt(0)
	flat_load_dword v0, v[4:5] glc
	s_waitcnt vmcnt(0) lgkmcnt(0)
	buffer_wbinvl1_vol
	v_cmp_eq_u32_e64 s[26:27], 0, v0
	s_and_b64 s[26:27], s[26:27], exec
	s_or_b64 s[38:39], s[38:39], s[26:27]
	s_and_saveexec_b64 s[48:49], s[38:39]
	s_cbranch_execz .LBB6_2133
	s_branch .LBB6_2132
.LBB6_2138:                             ;   in Loop: Header=BB6_2135 Depth=3
	s_add_i32 s75, s75, 1
	s_mov_b64 s[36:37], -1
                                        ; implicit-def: $vgpr0
	s_and_saveexec_b64 s[48:49], s[38:39]
	s_cbranch_execz .LBB6_2133
	s_branch .LBB6_2132
.LBB6_2139:                             ;   in Loop: Header=BB6_2129 Depth=2
	s_or_b64 exec, exec, s[88:89]
	s_xor_b64 s[26:27], s[90:91], -1
	s_and_saveexec_b64 s[88:89], s[26:27]
	s_xor_b64 s[26:27], exec, s[88:89]
	s_cbranch_execz .LBB6_2141
; %bb.2140:                             ;   in Loop: Header=BB6_2129 Depth=2
	v_or_b32_e32 v30, 64, v30
	s_waitcnt lgkmcnt(0)
	ds_write_b32 v0, v0
	s_trap 2
.LBB6_2141:                             ;   in Loop: Header=BB6_2129 Depth=2
	s_or_b64 exec, exec, s[26:27]
.LBB6_2142:                             ;   in Loop: Header=BB6_2129 Depth=2
	s_or_b64 exec, exec, s[78:79]
	v_and_b32_e32 v0, 0x100, v30
	v_cmp_ne_u32_e32 vcc, 0, v0
	v_and_b32_e32 v0, 7, v48
	s_mov_b64 s[26:27], -1
	;;#ASMSTART
	s_wakeup
	;;#ASMEND
                                        ; implicit-def: $vgpr11_vgpr12
	s_and_saveexec_b64 s[78:79], vcc
	s_cbranch_execz .LBB6_2146
; %bb.2143:                             ;   in Loop: Header=BB6_2129 Depth=2
	s_waitcnt vmcnt(0)
	v_mad_u64_u32 v[13:14], s[26:27], v0, 24, v[58:59]
                                        ; implicit-def: $vgpr11_vgpr12
	flat_load_dword v4, v[13:14]
	s_waitcnt vmcnt(0) lgkmcnt(0)
	v_cmp_ne_u32_e32 vcc, 1, v4
	v_cmp_eq_u32_e64 s[26:27], 1, v4
	s_and_saveexec_b64 s[88:89], s[26:27]
	s_cbranch_execz .LBB6_2145
; %bb.2144:                             ;   in Loop: Header=BB6_2129 Depth=2
	flat_load_dword v4, v[13:14] offset:4 glc
	s_waitcnt vmcnt(0) lgkmcnt(0)
	v_ashrrev_i32_e32 v5, 31, v4
	v_lshrrev_b64 v[11:12], 1, v[4:5]
.LBB6_2145:                             ;   in Loop: Header=BB6_2129 Depth=2
	s_or_b64 exec, exec, s[88:89]
	s_orn2_b64 s[26:27], vcc, exec
.LBB6_2146:                             ;   in Loop: Header=BB6_2129 Depth=2
	s_or_b64 exec, exec, s[78:79]
	s_and_saveexec_b64 s[78:79], s[26:27]
	s_cbranch_execz .LBB6_2148
; %bb.2147:                             ;   in Loop: Header=BB6_2129 Depth=2
	buffer_load_dword v4, off, s[0:3], s33 offset:76 ; 4-byte Folded Reload
	s_waitcnt vmcnt(0)
	v_mad_i64_i32 v[11:12], s[26:27], v0, v4, 0
.LBB6_2148:                             ;   in Loop: Header=BB6_2129 Depth=2
	s_or_b64 exec, exec, s[78:79]
	buffer_load_dword v6, off, s[0:3], s33 offset:60 ; 4-byte Folded Reload
	buffer_load_dword v7, off, s[0:3], s33 offset:64 ; 4-byte Folded Reload
	v_lshlrev_b64 v[4:5], 1, v[11:12]
	s_waitcnt vmcnt(0)
	v_add_co_u32_e32 v4, vcc, v6, v4
	v_addc_co_u32_e32 v5, vcc, v7, v5, vcc
	ds_write_b64 v0, v[4:5] offset:720
	v_and_b32_e32 v0, 0x2000, v30
	v_cmp_ne_u32_e32 vcc, 0, v0
	s_and_saveexec_b64 s[26:27], vcc
	s_cbranch_execz .LBB6_2150
; %bb.2149:                             ;   in Loop: Header=BB6_2129 Depth=2
	ds_read_b64 v[4:5], v0 offset:872
	s_waitcnt lgkmcnt(0)
	v_add_co_u32_e32 v4, vcc, 1, v4
	v_addc_co_u32_e32 v5, vcc, 0, v5, vcc
	ds_write_b64 v0, v[4:5] offset:872
.LBB6_2150:                             ;   in Loop: Header=BB6_2129 Depth=2
	s_or_b64 exec, exec, s[26:27]
	v_mov_b32_e32 v49, v10
	v_mov_b32_e32 v48, v9
.LBB6_2151:                             ;   in Loop: Header=BB6_2129 Depth=2
	s_or_b64 exec, exec, s[76:77]
	s_xor_b64 s[26:27], s[42:43], -1
	s_and_b64 s[26:27], exec, s[26:27]
	s_or_b64 s[40:41], s[26:27], s[40:41]
	s_and_saveexec_b64 s[26:27], s[10:11]
	s_cbranch_execz .LBB6_2170
; %bb.2152:                             ;   in Loop: Header=BB6_2129 Depth=2
	s_and_saveexec_b64 s[42:43], s[56:57]
	s_xor_b64 s[42:43], exec, s[42:43]
	s_cbranch_execz .LBB6_2167
; %bb.2153:                             ;   in Loop: Header=BB6_2129 Depth=2
	s_and_saveexec_b64 s[76:77], s[16:17]
	s_cbranch_execz .LBB6_2166
; %bb.2154:                             ;   in Loop: Header=BB6_2129 Depth=2
	s_mov_b64 s[88:89], exec
	v_mbcnt_lo_u32_b32 v0, s88, 0
	v_mbcnt_hi_u32_b32 v0, s89, v0
	v_cmp_eq_u32_e32 vcc, 0, v0
	s_waitcnt vmcnt(0) lgkmcnt(0)
	buffer_wbinvl1_vol
	s_and_saveexec_b64 s[78:79], vcc
	s_cbranch_execz .LBB6_2156
; %bb.2155:                             ;   in Loop: Header=BB6_2129 Depth=2
	s_bcnt1_i32_b64 s75, s[88:89]
	v_mov_b32_e32 v4, s75
	v_mov_b32_e32 v5, v2
	ds_add_u64 v0, v[4:5]
	s_trap 2
.LBB6_2156:                             ;   in Loop: Header=BB6_2129 Depth=2
	s_or_b64 exec, exec, s[78:79]
	s_trap 2
	ds_read_b64 v[4:5], v0
	s_waitcnt lgkmcnt(0)
	v_add_co_u32_e32 v32, vcc, v32, v16
	v_addc_co_u32_e32 v33, vcc, 0, v33, vcc
	v_cmp_lt_u64_e32 vcc, v[4:5], v[32:33]
	s_and_saveexec_b64 s[78:79], vcc
	s_cbranch_execz .LBB6_2165
; %bb.2157:                             ;   in Loop: Header=BB6_2129 Depth=2
	s_mov_b32 s75, 0
	s_mov_b64 s[88:89], 0
                                        ; implicit-def: $sgpr90_sgpr91
                                        ; implicit-def: $sgpr92_sgpr93
	s_branch .LBB6_2159
.LBB6_2158:                             ;   in Loop: Header=BB6_2159 Depth=3
	s_or_b64 exec, exec, s[30:31]
	s_and_b64 s[94:95], exec, vcc
	s_or_b64 s[88:89], s[94:95], s[88:89]
	s_andn2_b64 s[90:91], s[90:91], exec
	s_and_b64 s[94:95], s[92:93], exec
	s_or_b64 s[90:91], s[90:91], s[94:95]
	s_andn2_b64 exec, exec, s[88:89]
	s_cbranch_execz .LBB6_2163
.LBB6_2159:                             ;   Parent Loop BB6_47 Depth=1
                                        ;     Parent Loop BB6_2129 Depth=2
                                        ; =>    This Inner Loop Header: Depth=3
	s_add_i32 s75, s75, 1
	s_cmpk_lg_i32 s75, 0x2710
	s_cselect_b64 s[94:95], -1, 0
	s_and_b64 vcc, exec, s[94:95]
	s_cbranch_vccz .LBB6_2161
; %bb.2160:                             ;   in Loop: Header=BB6_2159 Depth=3
	s_mov_b64 vcc, -1
	s_or_b64 s[92:93], s[92:93], exec
	s_and_saveexec_b64 s[30:31], s[94:95]
	s_cbranch_execz .LBB6_2158
	s_branch .LBB6_2162
.LBB6_2161:                             ;   in Loop: Header=BB6_2159 Depth=3
	s_trap 2
	ds_read_b64 v[4:5], v0
	s_andn2_b64 s[94:95], s[94:95], exec
	s_mov_b32 s75, 0
	s_waitcnt lgkmcnt(0)
	flat_load_dword v0, v[4:5] glc
	s_waitcnt vmcnt(0) lgkmcnt(0)
	buffer_wbinvl1_vol
	v_cmp_eq_u32_e32 vcc, 0, v0
	s_and_b64 vcc, vcc, exec
	s_or_b64 s[94:95], s[94:95], vcc
	s_mov_b64 vcc, -1
	s_or_b64 s[92:93], s[92:93], exec
	s_and_saveexec_b64 s[30:31], s[94:95]
	s_cbranch_execz .LBB6_2158
.LBB6_2162:                             ;   in Loop: Header=BB6_2159 Depth=3
	s_sleep 1
	s_trap 2
	ds_read_b64 v[4:5], v0
	s_waitcnt lgkmcnt(0)
	s_andn2_b64 s[92:93], s[92:93], exec
	v_cmp_ge_u64_e32 vcc, v[4:5], v[32:33]
	s_orn2_b64 vcc, vcc, exec
	s_branch .LBB6_2158
.LBB6_2163:                             ;   in Loop: Header=BB6_2129 Depth=2
	s_or_b64 exec, exec, s[88:89]
	s_and_saveexec_b64 s[88:89], s[90:91]
	s_xor_b64 s[88:89], exec, s[88:89]
	s_cbranch_execz .LBB6_2165
; %bb.2164:                             ;   in Loop: Header=BB6_2129 Depth=2
	v_mov_b32_e32 v0, 1
	ds_write_b32 v0, v0
	s_trap 2
.LBB6_2165:                             ;   in Loop: Header=BB6_2129 Depth=2
	s_or_b64 exec, exec, s[78:79]
	;;#ASMSTART
	s_wakeup
	;;#ASMEND
.LBB6_2166:                             ;   in Loop: Header=BB6_2129 Depth=2
	s_or_b64 exec, exec, s[76:77]
.LBB6_2167:                             ;   in Loop: Header=BB6_2129 Depth=2
	s_andn2_saveexec_b64 s[42:43], s[42:43]
	s_cbranch_execz .LBB6_2169
; %bb.2168:                             ;   in Loop: Header=BB6_2129 Depth=2
	s_waitcnt vmcnt(0) lgkmcnt(0)
	buffer_wbinvl1_vol
	s_barrier
.LBB6_2169:                             ;   in Loop: Header=BB6_2129 Depth=2
	s_or_b64 exec, exec, s[42:43]
.LBB6_2170:                             ;   in Loop: Header=BB6_2129 Depth=2
	s_or_b64 exec, exec, s[26:27]
	v_sub_u32_e32 v0, v3, v8
	v_min_i32_e32 v54, v54, v0
	s_and_saveexec_b64 s[26:27], s[24:25]
	s_xor_b64 s[26:27], exec, s[26:27]
	s_cbranch_execz .LBB6_2174
; %bb.2171:                             ;   in Loop: Header=BB6_2129 Depth=2
	s_trap 2
	ds_read_b32 v0, v0
	v_cmp_lt_i32_e32 vcc, 0, v54
	v_and_b32_e32 v4, 16, v30
	s_waitcnt lgkmcnt(0)
	v_readfirstlane_b32 s42, v0
	s_cmp_eq_u32 s42, 0
	s_cselect_b64 s[42:43], -1, 0
	s_and_b64 s[42:43], vcc, s[42:43]
	v_cmp_ne_u32_e32 vcc, 0, v4
	s_and_b64 s[76:77], vcc, s[42:43]
	s_and_saveexec_b64 s[42:43], s[76:77]
	s_cbranch_execz .LBB6_2173
; %bb.2172:                             ;   in Loop: Header=BB6_2129 Depth=2
	s_waitcnt vmcnt(0)
	buffer_wbinvl1_vol
.LBB6_2173:                             ;   in Loop: Header=BB6_2129 Depth=2
	s_or_b64 exec, exec, s[42:43]
.LBB6_2174:                             ;   in Loop: Header=BB6_2129 Depth=2
	s_andn2_saveexec_b64 s[26:27], s[26:27]
	s_cbranch_execz .LBB6_2193
; %bb.2175:                             ;   in Loop: Header=BB6_2129 Depth=2
	s_and_saveexec_b64 s[42:43], s[56:57]
	s_xor_b64 s[42:43], exec, s[42:43]
	s_cbranch_execz .LBB6_2190
; %bb.2176:                             ;   in Loop: Header=BB6_2129 Depth=2
	s_and_saveexec_b64 s[76:77], s[16:17]
	s_cbranch_execz .LBB6_2189
; %bb.2177:                             ;   in Loop: Header=BB6_2129 Depth=2
	s_mov_b64 s[88:89], exec
	v_mbcnt_lo_u32_b32 v0, s88, 0
	v_mbcnt_hi_u32_b32 v0, s89, v0
	v_cmp_eq_u32_e32 vcc, 0, v0
	;;#ASMSTART
	s_waitcnt lgkmcnt(0) vmcnt(0)
	;;#ASMEND
	s_and_saveexec_b64 s[78:79], vcc
	s_cbranch_execz .LBB6_2179
; %bb.2178:                             ;   in Loop: Header=BB6_2129 Depth=2
	s_bcnt1_i32_b64 s75, s[88:89]
	v_mov_b32_e32 v4, s75
	v_mov_b32_e32 v5, v2
	s_waitcnt lgkmcnt(0)
	ds_add_u64 v0, v[4:5]
	s_trap 2
.LBB6_2179:                             ;   in Loop: Header=BB6_2129 Depth=2
	s_or_b64 exec, exec, s[78:79]
	s_trap 2
	ds_read_b64 v[4:5], v0
	s_waitcnt lgkmcnt(0)
	v_add_co_u32_e32 v32, vcc, v32, v16
	v_addc_co_u32_e32 v33, vcc, 0, v33, vcc
	v_cmp_lt_u64_e32 vcc, v[4:5], v[32:33]
	s_and_saveexec_b64 s[78:79], vcc
	s_cbranch_execz .LBB6_2188
; %bb.2180:                             ;   in Loop: Header=BB6_2129 Depth=2
	s_mov_b32 s75, 0
	s_mov_b64 s[88:89], 0
                                        ; implicit-def: $sgpr90_sgpr91
                                        ; implicit-def: $sgpr92_sgpr93
	s_branch .LBB6_2182
.LBB6_2181:                             ;   in Loop: Header=BB6_2182 Depth=3
	s_or_b64 exec, exec, s[30:31]
	s_and_b64 s[94:95], exec, vcc
	s_or_b64 s[88:89], s[94:95], s[88:89]
	s_andn2_b64 s[90:91], s[90:91], exec
	s_and_b64 s[94:95], s[92:93], exec
	s_or_b64 s[90:91], s[90:91], s[94:95]
	s_andn2_b64 exec, exec, s[88:89]
	s_cbranch_execz .LBB6_2186
.LBB6_2182:                             ;   Parent Loop BB6_47 Depth=1
                                        ;     Parent Loop BB6_2129 Depth=2
                                        ; =>    This Inner Loop Header: Depth=3
	s_add_i32 s75, s75, 1
	s_cmpk_lg_i32 s75, 0x2710
	s_cselect_b64 s[94:95], -1, 0
	s_and_b64 vcc, exec, s[94:95]
	s_cbranch_vccz .LBB6_2184
; %bb.2183:                             ;   in Loop: Header=BB6_2182 Depth=3
	s_mov_b64 vcc, -1
	s_or_b64 s[92:93], s[92:93], exec
	s_and_saveexec_b64 s[30:31], s[94:95]
	s_cbranch_execz .LBB6_2181
	s_branch .LBB6_2185
.LBB6_2184:                             ;   in Loop: Header=BB6_2182 Depth=3
	s_trap 2
	ds_read_b64 v[4:5], v0
	s_andn2_b64 s[94:95], s[94:95], exec
	s_mov_b32 s75, 0
	s_waitcnt vmcnt(0) lgkmcnt(0)
	flat_load_dword v0, v[4:5] glc
	s_waitcnt vmcnt(0) lgkmcnt(0)
	buffer_wbinvl1_vol
	v_cmp_eq_u32_e32 vcc, 0, v0
	s_and_b64 vcc, vcc, exec
	s_or_b64 s[94:95], s[94:95], vcc
	s_mov_b64 vcc, -1
	s_or_b64 s[92:93], s[92:93], exec
	s_and_saveexec_b64 s[30:31], s[94:95]
	s_cbranch_execz .LBB6_2181
.LBB6_2185:                             ;   in Loop: Header=BB6_2182 Depth=3
	s_sleep 1
	s_trap 2
	ds_read_b64 v[4:5], v0
	s_waitcnt lgkmcnt(0)
	s_andn2_b64 s[92:93], s[92:93], exec
	v_cmp_ge_u64_e32 vcc, v[4:5], v[32:33]
	s_orn2_b64 vcc, vcc, exec
	s_branch .LBB6_2181
.LBB6_2186:                             ;   in Loop: Header=BB6_2129 Depth=2
	s_or_b64 exec, exec, s[88:89]
	s_and_saveexec_b64 s[88:89], s[90:91]
	s_xor_b64 s[88:89], exec, s[88:89]
	s_cbranch_execz .LBB6_2188
; %bb.2187:                             ;   in Loop: Header=BB6_2129 Depth=2
	v_mov_b32_e32 v0, 1
	ds_write_b32 v0, v0
	s_trap 2
.LBB6_2188:                             ;   in Loop: Header=BB6_2129 Depth=2
	s_or_b64 exec, exec, s[78:79]
	;;#ASMSTART
	s_wakeup
	;;#ASMEND
.LBB6_2189:                             ;   in Loop: Header=BB6_2129 Depth=2
	s_or_b64 exec, exec, s[76:77]
.LBB6_2190:                             ;   in Loop: Header=BB6_2129 Depth=2
	s_andn2_saveexec_b64 s[42:43], s[42:43]
	s_cbranch_execz .LBB6_2192
; %bb.2191:                             ;   in Loop: Header=BB6_2129 Depth=2
	;;#ASMSTART
	s_waitcnt lgkmcnt(0) vmcnt(0)
	;;#ASMEND
	s_waitcnt vmcnt(0) lgkmcnt(0)
	s_barrier
.LBB6_2192:                             ;   in Loop: Header=BB6_2129 Depth=2
	s_or_b64 exec, exec, s[42:43]
.LBB6_2193:                             ;   in Loop: Header=BB6_2129 Depth=2
	s_or_b64 exec, exec, s[26:27]
	v_and_b32_e32 v0, 32, v30
	v_cmp_ne_u32_e32 vcc, 0, v0
	s_and_saveexec_b64 s[26:27], vcc
	s_cbranch_execz .LBB6_2128
; %bb.2194:                             ;   in Loop: Header=BB6_2129 Depth=2
	v_add_co_u32_e32 v48, vcc, 2, v48
	v_addc_co_u32_e32 v49, vcc, 0, v49, vcc
	flat_store_dwordx2 v[22:23], v[48:49]
	s_branch .LBB6_2128
.LBB6_2195:
	s_or_b64 exec, exec, s[58:59]
	buffer_load_dword v17, off, s[0:3], s33 offset:240 ; 4-byte Folded Reload
	buffer_load_dword v31, off, s[0:3], s33 offset:244 ; 4-byte Folded Reload
	;; [unrolled: 1-line block ×5, first 2 shown]
.LBB6_2196:
	s_or_b64 exec, exec, s[46:47]
	v_and_b32_e32 v0, 0x800, v30
	v_cmp_eq_u32_e32 vcc, 0, v0
	s_and_saveexec_b64 s[6:7], vcc
	s_cbranch_execz .LBB6_2229
; %bb.2197:
	v_and_b32_e32 v0, 48, v30
	v_cmp_ne_u32_e32 vcc, 0, v0
	s_and_saveexec_b64 s[4:5], vcc
	s_cbranch_execz .LBB6_2199
; %bb.2198:
	s_waitcnt vmcnt(0)
	flat_store_dwordx2 v[20:21], v[48:49] offset:104
.LBB6_2199:
	s_or_b64 exec, exec, s[4:5]
	s_movk_i32 s4, 0x88
	v_and_b32_e32 v0, 0x88, v30
	v_cmp_eq_u32_e32 vcc, s4, v0
	s_and_saveexec_b64 s[10:11], vcc
	s_cbranch_execz .LBB6_2209
; %bb.2200:
	v_add_u32_e32 v0, 6, v48
	v_and_b32_e32 v0, 7, v0
	v_mad_u64_u32 v[2:3], s[4:5], v0, 24, v[58:59]
	v_and_b32_e32 v4, 64, v30
	v_cmp_eq_u32_e64 s[4:5], 0, v4
	flat_load_dwordx2 v[0:1], v[2:3] offset:8 glc
	s_waitcnt vmcnt(0)
	s_mov_b32 s22, 0
	s_waitcnt lgkmcnt(0)
	v_cmp_ne_u64_e32 vcc, -1, v[0:1]
	s_and_b64 s[4:5], vcc, s[4:5]
	s_and_b64 exec, exec, s[4:5]
	s_cbranch_execz .LBB6_2209
; %bb.2201:
	s_mov_b64 s[4:5], 0
                                        ; implicit-def: $sgpr12_sgpr13
                                        ; implicit-def: $sgpr14_sgpr15
	s_branch .LBB6_2204
.LBB6_2202:                             ;   in Loop: Header=BB6_2204 Depth=1
	flat_load_dwordx2 v[4:5], v[2:3] offset:8 glc
	s_waitcnt vmcnt(0)
	s_andn2_b64 s[14:15], s[14:15], exec
	s_waitcnt lgkmcnt(0)
	v_cmp_eq_u64_e32 vcc, -1, v[4:5]
	s_orn2_b64 s[18:19], vcc, exec
.LBB6_2203:                             ;   in Loop: Header=BB6_2204 Depth=1
	s_or_b64 exec, exec, s[20:21]
	s_and_b64 s[16:17], exec, s[18:19]
	s_or_b64 s[4:5], s[16:17], s[4:5]
	s_andn2_b64 s[12:13], s[12:13], exec
	s_and_b64 s[16:17], s[14:15], exec
	s_or_b64 s[12:13], s[12:13], s[16:17]
	s_andn2_b64 exec, exec, s[4:5]
	s_cbranch_execz .LBB6_2207
.LBB6_2204:                             ; =>This Inner Loop Header: Depth=1
	s_cmpk_lt_i32 s22, 0x270f
	s_cselect_b64 s[16:17], -1, 0
	s_and_b64 vcc, exec, s[16:17]
	s_cbranch_vccnz .LBB6_2206
; %bb.2205:                             ;   in Loop: Header=BB6_2204 Depth=1
	s_trap 2
	ds_read_b64 v[0:1], v0
	s_andn2_b64 s[16:17], s[16:17], exec
	s_mov_b32 s22, 0
	s_waitcnt lgkmcnt(0)
	flat_load_dword v0, v[0:1] glc
	s_waitcnt vmcnt(0) lgkmcnt(0)
	buffer_wbinvl1_vol
	v_cmp_eq_u32_e32 vcc, 0, v0
	s_and_b64 s[18:19], vcc, exec
	s_or_b64 s[16:17], s[16:17], s[18:19]
	s_mov_b64 s[18:19], -1
	s_or_b64 s[14:15], s[14:15], exec
	s_and_saveexec_b64 s[20:21], s[16:17]
	s_cbranch_execz .LBB6_2203
	s_branch .LBB6_2202
.LBB6_2206:                             ;   in Loop: Header=BB6_2204 Depth=1
	s_add_i32 s22, s22, 1
                                        ; implicit-def: $vgpr0
	s_mov_b64 s[18:19], -1
	s_or_b64 s[14:15], s[14:15], exec
	s_and_saveexec_b64 s[20:21], s[16:17]
	s_cbranch_execz .LBB6_2203
	s_branch .LBB6_2202
.LBB6_2207:
	s_or_b64 exec, exec, s[4:5]
	s_and_saveexec_b64 s[4:5], s[12:13]
	s_xor_b64 s[4:5], exec, s[4:5]
	s_cbranch_execz .LBB6_2209
; %bb.2208:
	ds_write_b32 v0, v0
	s_trap 2
.LBB6_2209:
	s_or_b64 exec, exec, s[10:11]
	v_and_b32_e32 v0, 0x2000, v30
	v_cmp_ne_u32_e32 vcc, 0, v0
	s_and_saveexec_b64 s[4:5], vcc
	s_cbranch_execz .LBB6_2211
; %bb.2210:
	s_trap 2
	ds_read_b64 v[0:1], v0
	buffer_load_dword v2, off, s[0:3], s33 offset:260 ; 4-byte Folded Reload
	buffer_load_dword v3, off, s[0:3], s33 offset:264 ; 4-byte Folded Reload
	s_waitcnt vmcnt(0) lgkmcnt(0)
	flat_store_dwordx2 v[2:3], v[0:1] offset:16
.LBB6_2211:
	s_or_b64 exec, exec, s[4:5]
	s_waitcnt vmcnt(0)
	v_cmp_ne_u32_e32 vcc, 64, v17
	s_and_b64 exec, exec, vcc
	s_cbranch_execz .LBB6_2229
; %bb.2212:
	v_cmp_ne_u32_sdwa s[4:5], v17, v15 src0_sel:DWORD src1_sel:WORD_0
	s_and_saveexec_b64 s[10:11], s[4:5]
	s_xor_b64 s[4:5], exec, s[10:11]
	s_cbranch_execz .LBB6_2227
; %bb.2213:
	v_and_b32_e32 v0, 63, v31
	v_cmp_eq_u32_e32 vcc, 0, v0
	s_and_saveexec_b64 s[10:11], vcc
	s_cbranch_execz .LBB6_2226
; %bb.2214:
	s_mov_b64 s[14:15], exec
	v_mbcnt_lo_u32_b32 v0, s14, 0
	v_mbcnt_hi_u32_b32 v0, s15, v0
	v_cmp_eq_u32_e32 vcc, 0, v0
	s_waitcnt lgkmcnt(0)
	buffer_wbinvl1_vol
	s_and_saveexec_b64 s[12:13], vcc
	s_cbranch_execz .LBB6_2216
; %bb.2215:
	s_bcnt1_i32_b64 s14, s[14:15]
	v_mov_b32_e32 v0, s14
	v_mov_b32_e32 v1, 0
	ds_add_u64 v0, v[0:1]
	s_trap 2
.LBB6_2216:
	s_or_b64 exec, exec, s[12:13]
	v_lshrrev_b32_e32 v0, 6, v17
	s_trap 2
	ds_read_b64 v[2:3], v0
	s_waitcnt lgkmcnt(0)
	v_add_co_u32_e32 v0, vcc, v32, v0
	v_addc_co_u32_e32 v1, vcc, 0, v33, vcc
	v_cmp_lt_u64_e32 vcc, v[2:3], v[0:1]
	s_and_saveexec_b64 s[12:13], vcc
	s_cbranch_execz .LBB6_2225
; %bb.2217:
	s_mov_b32 s26, 0
	s_mov_b64 s[14:15], 0
                                        ; implicit-def: $sgpr16_sgpr17
                                        ; implicit-def: $sgpr18_sgpr19
	s_branch .LBB6_2219
.LBB6_2218:                             ;   in Loop: Header=BB6_2219 Depth=1
	s_or_b64 exec, exec, s[22:23]
	s_and_b64 s[20:21], exec, s[24:25]
	s_or_b64 s[14:15], s[20:21], s[14:15]
	s_andn2_b64 s[16:17], s[16:17], exec
	s_and_b64 s[20:21], s[18:19], exec
	s_or_b64 s[16:17], s[16:17], s[20:21]
	s_andn2_b64 exec, exec, s[14:15]
	s_cbranch_execz .LBB6_2223
.LBB6_2219:                             ; =>This Inner Loop Header: Depth=1
	s_add_i32 s26, s26, 1
	s_cmpk_lg_i32 s26, 0x2710
	s_cselect_b64 s[20:21], -1, 0
	s_and_b64 vcc, exec, s[20:21]
	s_cbranch_vccz .LBB6_2221
; %bb.2220:                             ;   in Loop: Header=BB6_2219 Depth=1
	s_mov_b64 s[24:25], -1
	s_or_b64 s[18:19], s[18:19], exec
	s_and_saveexec_b64 s[22:23], s[20:21]
	s_cbranch_execz .LBB6_2218
	s_branch .LBB6_2222
.LBB6_2221:                             ;   in Loop: Header=BB6_2219 Depth=1
	s_trap 2
	ds_read_b64 v[2:3], v0
	s_andn2_b64 s[20:21], s[20:21], exec
	s_mov_b32 s26, 0
	s_waitcnt lgkmcnt(0)
	flat_load_dword v2, v[2:3] glc
	s_waitcnt vmcnt(0) lgkmcnt(0)
	buffer_wbinvl1_vol
	v_cmp_eq_u32_e32 vcc, 0, v2
	s_and_b64 s[22:23], vcc, exec
	s_or_b64 s[20:21], s[20:21], s[22:23]
	s_mov_b64 s[24:25], -1
	s_or_b64 s[18:19], s[18:19], exec
	s_and_saveexec_b64 s[22:23], s[20:21]
	s_cbranch_execz .LBB6_2218
.LBB6_2222:                             ;   in Loop: Header=BB6_2219 Depth=1
	s_sleep 1
	s_trap 2
	ds_read_b64 v[2:3], v0
	s_waitcnt lgkmcnt(0)
	s_andn2_b64 s[18:19], s[18:19], exec
	v_cmp_ge_u64_e32 vcc, v[2:3], v[0:1]
	s_orn2_b64 s[24:25], vcc, exec
	s_branch .LBB6_2218
.LBB6_2223:
	s_or_b64 exec, exec, s[14:15]
	s_and_saveexec_b64 s[14:15], s[16:17]
	s_xor_b64 s[14:15], exec, s[14:15]
	s_cbranch_execz .LBB6_2225
; %bb.2224:
	v_mov_b32_e32 v0, 1
	ds_write_b32 v0, v0
	s_trap 2
.LBB6_2225:
	s_or_b64 exec, exec, s[12:13]
	;;#ASMSTART
	s_wakeup
	;;#ASMEND
.LBB6_2226:
	s_or_b64 exec, exec, s[10:11]
.LBB6_2227:
	s_andn2_saveexec_b64 s[4:5], s[4:5]
	s_cbranch_execz .LBB6_2229
; %bb.2228:
	s_waitcnt lgkmcnt(0)
	buffer_wbinvl1_vol
	s_barrier
.LBB6_2229:
	s_or_b64 exec, exec, s[6:7]
.LBB6_2230:
	s_andn2_saveexec_b64 s[26:27], s[44:45]
	s_cbranch_execz .LBB6_2232
; %bb.2231:
	s_getpc_b64 s[4:5]
	s_add_u32 s4, s4, __PRETTY_FUNCTION__._ZN10PrimitivesI12hip_bfloat1613FuncPreMulSumIS0_E12FanSymmetricILi1EELi0E11ProtoSimpleILi2ELi2ELi0ELi2ELi0ELi0EELi0ELb0ELi0ELi0ELi0EEC2EiiPKiS9_PKvPvmhhhP15ncclDevWorkCollP14ncclDevWorkP2pii@rel32@lo+4
	s_addc_u32 s5, s5, __PRETTY_FUNCTION__._ZN10PrimitivesI12hip_bfloat1613FuncPreMulSumIS0_E12FanSymmetricILi1EELi0E11ProtoSimpleILi2ELi2ELi0ELi2ELi0ELi0EELi0ELb0ELi0ELi0ELi0EEC2EiiPKiS9_PKvPvmhhhP15ncclDevWorkCollP14ncclDevWorkP2pii@rel32@hi+12
	s_getpc_b64 s[6:7]
	s_add_u32 s6, s6, __assert_fail@rel32@lo+4
	s_addc_u32 s7, s7, __assert_fail@rel32@hi+12
	v_mov_b32_e32 v0, s4
	v_mov_b32_e32 v1, s5
	s_swappc_b64 s[30:31], s[6:7]
	; divergent unreachable
.LBB6_2232:
	s_or_b64 exec, exec, s[26:27]
	buffer_load_dword v62, off, s[0:3], s33 ; 4-byte Folded Reload
	buffer_load_dword v61, off, s[0:3], s33 offset:4 ; 4-byte Folded Reload
	buffer_load_dword v60, off, s[0:3], s33 offset:8 ; 4-byte Folded Reload
	;; [unrolled: 1-line block ×14, first 2 shown]
	v_readlane_b32 s30, v63, 28
	v_readlane_b32 s31, v63, 29
	;; [unrolled: 1-line block ×30, first 2 shown]
	s_mov_b32 s32, s33
	v_readlane_b32 s4, v63, 30
	s_or_saveexec_b64 s[6:7], -1
	buffer_load_dword v63, off, s[0:3], s33 offset:268 ; 4-byte Folded Reload
	s_mov_b64 exec, s[6:7]
	s_mov_b32 s33, s4
	s_waitcnt vmcnt(0) lgkmcnt(0)
	s_setpc_b64 s[30:31]
.Lfunc_end6:
	.size	_ZN12_GLOBAL__N_17runRingI12hip_bfloat1613FuncPreMulSumIS1_E11ProtoSimpleILi2ELi2ELi0ELi2ELi0ELi0EELi0ELi0ELi2ELi0EEEviiP15ncclDevWorkColl, .Lfunc_end6-_ZN12_GLOBAL__N_17runRingI12hip_bfloat1613FuncPreMulSumIS1_E11ProtoSimpleILi2ELi2ELi0ELi2ELi0ELi0EELi0ELi0ELi2ELi0EEEviiP15ncclDevWorkColl
                                        ; -- End function
	.set .L_ZN12_GLOBAL__N_17runRingI12hip_bfloat1613FuncPreMulSumIS1_E11ProtoSimpleILi2ELi2ELi0ELi2ELi0ELi0EELi0ELi0ELi2ELi0EEEviiP15ncclDevWorkColl.num_vgpr, max(64, .L__assert_fail.num_vgpr)
	.set .L_ZN12_GLOBAL__N_17runRingI12hip_bfloat1613FuncPreMulSumIS1_E11ProtoSimpleILi2ELi2ELi0ELi2ELi0ELi0EELi0ELi0ELi2ELi0EEEviiP15ncclDevWorkColl.num_agpr, max(0, .L__assert_fail.num_agpr)
	.set .L_ZN12_GLOBAL__N_17runRingI12hip_bfloat1613FuncPreMulSumIS1_E11ProtoSimpleILi2ELi2ELi0ELi2ELi0ELi0EELi0ELi0ELi2ELi0EEEviiP15ncclDevWorkColl.numbered_sgpr, max(96, .L__assert_fail.numbered_sgpr)
	.set .L_ZN12_GLOBAL__N_17runRingI12hip_bfloat1613FuncPreMulSumIS1_E11ProtoSimpleILi2ELi2ELi0ELi2ELi0ELi0EELi0ELi0ELi2ELi0EEEviiP15ncclDevWorkColl.num_named_barrier, max(0, .L__assert_fail.num_named_barrier)
	.set .L_ZN12_GLOBAL__N_17runRingI12hip_bfloat1613FuncPreMulSumIS1_E11ProtoSimpleILi2ELi2ELi0ELi2ELi0ELi0EELi0ELi0ELi2ELi0EEEviiP15ncclDevWorkColl.private_seg_size, 288+max(.L__assert_fail.private_seg_size)
	.set .L_ZN12_GLOBAL__N_17runRingI12hip_bfloat1613FuncPreMulSumIS1_E11ProtoSimpleILi2ELi2ELi0ELi2ELi0ELi0EELi0ELi0ELi2ELi0EEEviiP15ncclDevWorkColl.uses_vcc, or(1, .L__assert_fail.uses_vcc)
	.set .L_ZN12_GLOBAL__N_17runRingI12hip_bfloat1613FuncPreMulSumIS1_E11ProtoSimpleILi2ELi2ELi0ELi2ELi0ELi0EELi0ELi0ELi2ELi0EEEviiP15ncclDevWorkColl.uses_flat_scratch, or(0, .L__assert_fail.uses_flat_scratch)
	.set .L_ZN12_GLOBAL__N_17runRingI12hip_bfloat1613FuncPreMulSumIS1_E11ProtoSimpleILi2ELi2ELi0ELi2ELi0ELi0EELi0ELi0ELi2ELi0EEEviiP15ncclDevWorkColl.has_dyn_sized_stack, or(0, .L__assert_fail.has_dyn_sized_stack)
	.set .L_ZN12_GLOBAL__N_17runRingI12hip_bfloat1613FuncPreMulSumIS1_E11ProtoSimpleILi2ELi2ELi0ELi2ELi0ELi0EELi0ELi0ELi2ELi0EEEviiP15ncclDevWorkColl.has_recursion, or(1, .L__assert_fail.has_recursion)
	.set .L_ZN12_GLOBAL__N_17runRingI12hip_bfloat1613FuncPreMulSumIS1_E11ProtoSimpleILi2ELi2ELi0ELi2ELi0ELi0EELi0ELi0ELi2ELi0EEEviiP15ncclDevWorkColl.has_indirect_call, or(0, .L__assert_fail.has_indirect_call)
	.section	.AMDGPU.csdata,"",@progbits
; Function info:
; codeLenInByte = 60588
; TotalNumSgprs: 100
; NumVgprs: 64
; ScratchSize: 352
; MemoryBound: 1
	.text
	.p2align	2                               ; -- Begin function _Z54ncclDevFunc_AllReduce_RING_SIMPLE_PreMulSum_bf16_0_0_2v
	.type	_Z54ncclDevFunc_AllReduce_RING_SIMPLE_PreMulSum_bf16_0_0_2v,@function
_Z54ncclDevFunc_AllReduce_RING_SIMPLE_PreMulSum_bf16_0_0_2v: ; @_Z54ncclDevFunc_AllReduce_RING_SIMPLE_PreMulSum_bf16_0_0_2v
; %bb.0:
	s_waitcnt vmcnt(0) expcnt(0) lgkmcnt(0)
	s_mov_b32 s4, s33
	s_mov_b32 s33, s32
	s_or_saveexec_b64 s[6:7], -1
	buffer_store_dword v43, off, s[0:3], s33 offset:16 ; 4-byte Folded Spill
	s_mov_b64 exec, s[6:7]
	v_writelane_b32 v43, s4, 36
	s_addk_i32 s32, 0x800
	buffer_store_dword v40, off, s[0:3], s33 offset:12 ; 4-byte Folded Spill
	buffer_store_dword v41, off, s[0:3], s33 offset:8 ; 4-byte Folded Spill
	;; [unrolled: 1-line block ×3, first 2 shown]
	buffer_store_dword v63, off, s[0:3], s33 ; 4-byte Folded Spill
	v_writelane_b32 v43, s34, 0
	v_writelane_b32 v43, s35, 1
	;; [unrolled: 1-line block ×36, first 2 shown]
	s_trap 2
	ds_read_b32 v0, v0
	v_mov_b32_e32 v40, v31
	v_and_b32_e32 v41, 0x3ff, v40
	s_mov_b32 s96, s12
	s_mov_b64 s[86:87], s[8:9]
	s_waitcnt lgkmcnt(0)
	v_cmp_lt_i32_e32 vcc, v41, v0
	s_and_saveexec_b64 s[4:5], vcc
	s_cbranch_execz .LBB7_5
; %bb.1:
	s_load_dword s6, s[86:87], 0x0
	v_mov_b32_e32 v1, 0
	s_mov_b32 s10, 0
	v_mov_b32_e32 v4, v41
                                        ; implicit-def: $vgpr3
	s_waitcnt lgkmcnt(0)
	s_cmp_lt_u32 s96, s6
	s_cselect_b32 s6, 12, 18
	s_add_u32 s6, s86, s6
	s_addc_u32 s7, s87, 0
	global_load_ushort v1, v1, s[6:7]
	s_trap 2
	ds_read_b32 v2, v0
	s_mov_b64 s[6:7], 0
	s_waitcnt vmcnt(0) lgkmcnt(0)
	v_mul_lo_u32 v2, v2, v1
	s_branch .LBB7_3
.LBB7_2:                                ;   in Loop: Header=BB7_3 Depth=1
	s_or_b64 exec, exec, s[8:9]
	v_add_u32_e32 v4, v4, v1
	v_cmp_ge_i32_e32 vcc, v4, v0
	s_or_b64 s[6:7], vcc, s[6:7]
	v_add_u32_e32 v3, v3, v2
	s_andn2_b64 exec, exec, s[6:7]
	s_cbranch_execz .LBB7_5
.LBB7_3:                                ; =>This Inner Loop Header: Depth=1
	ds_read_b32 v5, v3
	s_waitcnt lgkmcnt(0)
	v_and_b32_e32 v5, 0x1000000, v5
	v_cmp_ne_u32_e32 vcc, 0, v5
	s_and_saveexec_b64 s[8:9], vcc
	s_cbranch_execz .LBB7_2
; %bb.4:                                ;   in Loop: Header=BB7_3 Depth=1
	ds_read_b64 v[5:6], v3 offset:104
	s_waitcnt lgkmcnt(0)
	flat_load_ushort v5, v[5:6]
	v_mov_b32_e32 v6, s10
	s_waitcnt vmcnt(0) lgkmcnt(0)
	v_and_b32_e32 v5, 0xffff, v5
	ds_write_b64 v3, v[5:6] offset:104
	s_branch .LBB7_2
.LBB7_5:
	s_or_b64 exec, exec, s[4:5]
	s_waitcnt vmcnt(0) lgkmcnt(0)
	s_barrier
	s_trap 2
	ds_read_b32 v0, v0
	s_waitcnt lgkmcnt(0)
	v_cmp_gt_i32_e32 vcc, 1, v0
	s_cbranch_vccnz .LBB7_13
; %bb.6:
	s_mov_b32 s97, 0
	v_mov_b32_e32 v42, 6
	s_branch .LBB7_8
.LBB7_7:                                ;   in Loop: Header=BB7_8 Depth=1
	s_or_b64 exec, exec, s[98:99]
	s_trap 2
	ds_read_b32 v0, v0
	s_add_i32 s97, s97, 1
	s_waitcnt lgkmcnt(0)
	v_cmp_lt_i32_e32 vcc, s97, v0
	s_cbranch_vccz .LBB7_13
.LBB7_8:                                ; =>This Inner Loop Header: Depth=1
	s_trap 2
	ds_read_b32 v0, v0
	s_cmp_eq_u32 s97, 0
	s_cbranch_scc1 .LBB7_11
; %bb.9:                                ;   in Loop: Header=BB7_8 Depth=1
	s_trap 2
	s_waitcnt lgkmcnt(0)
	ds_read_b32 v1, v0
	s_waitcnt lgkmcnt(0)
	v_xor_b32_e32 v1, v1, v0
	v_and_b32_e32 v1, 0xff0000, v1
	v_cmp_eq_u32_e32 vcc, 0, v1
	s_cbranch_vccnz .LBB7_11
; %bb.10:                               ;   in Loop: Header=BB7_8 Depth=1
	s_barrier
	ds_read_b32 v0, v0
.LBB7_11:                               ;   in Loop: Header=BB7_8 Depth=1
	s_waitcnt lgkmcnt(0)
	v_lshlrev_b32_sdwa v1, v42, v0 dst_sel:DWORD dst_unused:UNUSED_PAD src0_sel:DWORD src1_sel:BYTE_2
	v_cmp_lt_u32_e32 vcc, v41, v1
	s_and_saveexec_b64 s[98:99], vcc
	s_cbranch_execz .LBB7_7
; %bb.12:                               ;   in Loop: Header=BB7_8 Depth=1
	s_mov_b64 s[4:5], src_shared_base
	s_getpc_b64 s[6:7]
	s_add_u32 s6, s6, _ZN12_GLOBAL__N_17runRingI12hip_bfloat1613FuncPreMulSumIS1_E11ProtoSimpleILi2ELi2ELi0ELi2ELi0ELi0EELi0ELi0ELi2ELi0EEEviiP15ncclDevWorkColl@rel32@lo+4
	s_addc_u32 s7, s7, _ZN12_GLOBAL__N_17runRingI12hip_bfloat1613FuncPreMulSumIS1_E11ProtoSimpleILi2ELi2ELi0ELi2ELi0ELi0EELi0ELi0ELi2ELi0EEEviiP15ncclDevWorkColl@rel32@hi+12
	s_mov_b64 s[8:9], s[86:87]
	s_mov_b32 s12, s96
	v_mov_b32_e32 v31, v40
	v_mov_b32_e32 v0, v41
	;; [unrolled: 1-line block ×3, first 2 shown]
	s_swappc_b64 s[30:31], s[6:7]
	s_branch .LBB7_7
.LBB7_13:
	buffer_load_dword v63, off, s[0:3], s33 ; 4-byte Folded Reload
	buffer_load_dword v42, off, s[0:3], s33 offset:4 ; 4-byte Folded Reload
	buffer_load_dword v41, off, s[0:3], s33 offset:8 ; 4-byte Folded Reload
	;; [unrolled: 1-line block ×3, first 2 shown]
	v_readlane_b32 s30, v43, 34
	v_readlane_b32 s31, v43, 35
	;; [unrolled: 1-line block ×36, first 2 shown]
	s_mov_b32 s32, s33
	v_readlane_b32 s4, v43, 36
	s_or_saveexec_b64 s[6:7], -1
	buffer_load_dword v43, off, s[0:3], s33 offset:16 ; 4-byte Folded Reload
	s_mov_b64 exec, s[6:7]
	s_mov_b32 s33, s4
	s_waitcnt vmcnt(0)
	s_setpc_b64 s[30:31]
.Lfunc_end7:
	.size	_Z54ncclDevFunc_AllReduce_RING_SIMPLE_PreMulSum_bf16_0_0_2v, .Lfunc_end7-_Z54ncclDevFunc_AllReduce_RING_SIMPLE_PreMulSum_bf16_0_0_2v
                                        ; -- End function
	.set .L_Z54ncclDevFunc_AllReduce_RING_SIMPLE_PreMulSum_bf16_0_0_2v.num_vgpr, max(64, .L_ZN12_GLOBAL__N_17runRingI12hip_bfloat1613FuncPreMulSumIS1_E11ProtoSimpleILi2ELi2ELi0ELi2ELi0ELi0EELi0ELi0ELi2ELi0EEEviiP15ncclDevWorkColl.num_vgpr)
	.set .L_Z54ncclDevFunc_AllReduce_RING_SIMPLE_PreMulSum_bf16_0_0_2v.num_agpr, max(0, .L_ZN12_GLOBAL__N_17runRingI12hip_bfloat1613FuncPreMulSumIS1_E11ProtoSimpleILi2ELi2ELi0ELi2ELi0ELi0EELi0ELi0ELi2ELi0EEEviiP15ncclDevWorkColl.num_agpr)
	.set .L_Z54ncclDevFunc_AllReduce_RING_SIMPLE_PreMulSum_bf16_0_0_2v.numbered_sgpr, max(100, .L_ZN12_GLOBAL__N_17runRingI12hip_bfloat1613FuncPreMulSumIS1_E11ProtoSimpleILi2ELi2ELi0ELi2ELi0ELi0EELi0ELi0ELi2ELi0EEEviiP15ncclDevWorkColl.numbered_sgpr)
	.set .L_Z54ncclDevFunc_AllReduce_RING_SIMPLE_PreMulSum_bf16_0_0_2v.num_named_barrier, max(0, .L_ZN12_GLOBAL__N_17runRingI12hip_bfloat1613FuncPreMulSumIS1_E11ProtoSimpleILi2ELi2ELi0ELi2ELi0ELi0EELi0ELi0ELi2ELi0EEEviiP15ncclDevWorkColl.num_named_barrier)
	.set .L_Z54ncclDevFunc_AllReduce_RING_SIMPLE_PreMulSum_bf16_0_0_2v.private_seg_size, 32+max(.L_ZN12_GLOBAL__N_17runRingI12hip_bfloat1613FuncPreMulSumIS1_E11ProtoSimpleILi2ELi2ELi0ELi2ELi0ELi0EELi0ELi0ELi2ELi0EEEviiP15ncclDevWorkColl.private_seg_size)
	.set .L_Z54ncclDevFunc_AllReduce_RING_SIMPLE_PreMulSum_bf16_0_0_2v.uses_vcc, or(1, .L_ZN12_GLOBAL__N_17runRingI12hip_bfloat1613FuncPreMulSumIS1_E11ProtoSimpleILi2ELi2ELi0ELi2ELi0ELi0EELi0ELi0ELi2ELi0EEEviiP15ncclDevWorkColl.uses_vcc)
	.set .L_Z54ncclDevFunc_AllReduce_RING_SIMPLE_PreMulSum_bf16_0_0_2v.uses_flat_scratch, or(0, .L_ZN12_GLOBAL__N_17runRingI12hip_bfloat1613FuncPreMulSumIS1_E11ProtoSimpleILi2ELi2ELi0ELi2ELi0ELi0EELi0ELi0ELi2ELi0EEEviiP15ncclDevWorkColl.uses_flat_scratch)
	.set .L_Z54ncclDevFunc_AllReduce_RING_SIMPLE_PreMulSum_bf16_0_0_2v.has_dyn_sized_stack, or(0, .L_ZN12_GLOBAL__N_17runRingI12hip_bfloat1613FuncPreMulSumIS1_E11ProtoSimpleILi2ELi2ELi0ELi2ELi0ELi0EELi0ELi0ELi2ELi0EEEviiP15ncclDevWorkColl.has_dyn_sized_stack)
	.set .L_Z54ncclDevFunc_AllReduce_RING_SIMPLE_PreMulSum_bf16_0_0_2v.has_recursion, or(1, .L_ZN12_GLOBAL__N_17runRingI12hip_bfloat1613FuncPreMulSumIS1_E11ProtoSimpleILi2ELi2ELi0ELi2ELi0ELi0EELi0ELi0ELi2ELi0EEEviiP15ncclDevWorkColl.has_recursion)
	.set .L_Z54ncclDevFunc_AllReduce_RING_SIMPLE_PreMulSum_bf16_0_0_2v.has_indirect_call, or(0, .L_ZN12_GLOBAL__N_17runRingI12hip_bfloat1613FuncPreMulSumIS1_E11ProtoSimpleILi2ELi2ELi0ELi2ELi0ELi0EELi0ELi0ELi2ELi0EEEviiP15ncclDevWorkColl.has_indirect_call)
	.section	.AMDGPU.csdata,"",@progbits
; Function info:
; codeLenInByte = 1184
; TotalNumSgprs: 104
; NumVgprs: 64
; ScratchSize: 384
; MemoryBound: 0
	.text
	.p2align	2                               ; -- Begin function _ZN12_GLOBAL__N_17runRingI12hip_bfloat1613FuncPreMulSumIS1_E11ProtoSimpleILi2ELi2ELi0ELi2ELi0ELi0EELi0ELi0ELi2ELi1EEEviiP15ncclDevWorkColl
	.type	_ZN12_GLOBAL__N_17runRingI12hip_bfloat1613FuncPreMulSumIS1_E11ProtoSimpleILi2ELi2ELi0ELi2ELi0ELi0EELi0ELi0ELi2ELi1EEEviiP15ncclDevWorkColl,@function
_ZN12_GLOBAL__N_17runRingI12hip_bfloat1613FuncPreMulSumIS1_E11ProtoSimpleILi2ELi2ELi0ELi2ELi0ELi0EELi0ELi0ELi2ELi1EEEviiP15ncclDevWorkColl: ; @_ZN12_GLOBAL__N_17runRingI12hip_bfloat1613FuncPreMulSumIS1_E11ProtoSimpleILi2ELi2ELi0ELi2ELi0ELi0EELi0ELi0ELi2ELi1EEEviiP15ncclDevWorkColl
; %bb.0:
	s_waitcnt vmcnt(0) expcnt(0) lgkmcnt(0)
	s_mov_b32 s4, s33
	s_mov_b32 s33, s32
	s_or_saveexec_b64 s[6:7], -1
	buffer_store_dword v63, off, s[0:3], s33 offset:484 ; 4-byte Folded Spill
	buffer_store_dword v62, off, s[0:3], s33 offset:488 ; 4-byte Folded Spill
	s_mov_b64 exec, s[6:7]
	v_writelane_b32 v63, s4, 34
	s_addk_i32 s32, 0x7c00
	buffer_store_dword v40, off, s[0:3], s33 offset:52 ; 4-byte Folded Spill
	buffer_store_dword v41, off, s[0:3], s33 offset:48 ; 4-byte Folded Spill
	;; [unrolled: 1-line block ×13, first 2 shown]
	buffer_store_dword v61, off, s[0:3], s33 ; 4-byte Folded Spill
	v_writelane_b32 v63, s34, 0
	v_writelane_b32 v63, s35, 1
	;; [unrolled: 1-line block ×34, first 2 shown]
	buffer_store_dword v0, off, s[0:3], s33 offset:304 ; 4-byte Folded Spill
	s_trap 2
	flat_load_dword v5, v[2:3]
	ds_read_b32 v6, v0
                                        ; implicit-def: $vgpr7_vgpr8
                                        ; kill: killed $vgpr7_vgpr8
                                        ; implicit-def: $vgpr7_vgpr8
                                        ; implicit-def: $vgpr18_vgpr19
	buffer_store_dword v7, off, s[0:3], s33 offset:424 ; 4-byte Folded Spill
	s_nop 0
	buffer_store_dword v8, off, s[0:3], s33 offset:428 ; 4-byte Folded Spill
	buffer_store_dword v9, off, s[0:3], s33 offset:432 ; 4-byte Folded Spill
	;; [unrolled: 1-line block ×3, first 2 shown]
	s_waitcnt lgkmcnt(0)
	v_readfirstlane_b32 s52, v6
	s_waitcnt vmcnt(0)
	v_cmp_ne_u32_sdwa s[4:5], v6, v5 src0_sel:DWORD src1_sel:BYTE_0
	s_and_saveexec_b64 s[6:7], s[4:5]
	s_xor_b64 s[4:5], exec, s[6:7]
	s_cbranch_execz .LBB8_6
; %bb.1:
                                        ; implicit-def: $vgpr7_vgpr8
	v_not_b32_sdwa v4, v5 dst_sel:DWORD dst_unused:UNUSED_PAD src0_sel:BYTE_0
	v_cmp_ne_u32_sdwa s[6:7], v6, v5 src0_sel:DWORD src1_sel:BYTE_1
                                        ; kill: killed $vgpr7_vgpr8
                                        ; implicit-def: $vgpr7_vgpr8
                                        ; implicit-def: $vgpr18_vgpr19
	buffer_store_dword v7, off, s[0:3], s33 offset:424 ; 4-byte Folded Spill
	s_nop 0
	buffer_store_dword v8, off, s[0:3], s33 offset:428 ; 4-byte Folded Spill
	buffer_store_dword v9, off, s[0:3], s33 offset:432 ; 4-byte Folded Spill
	;; [unrolled: 1-line block ×3, first 2 shown]
	s_and_saveexec_b64 s[10:11], s[6:7]
	s_xor_b64 s[6:7], exec, s[10:11]
	s_cbranch_execz .LBB8_3
; %bb.2:
	flat_load_dwordx4 v[7:10], v[2:3] offset:72
	flat_load_dwordx2 v[11:12], v[2:3] offset:96
	v_add_u32_e32 v4, v6, v4
	v_ashrrev_i32_e32 v5, 31, v4
	s_waitcnt vmcnt(0) lgkmcnt(0)
	v_mul_lo_u32 v5, v9, v5
	v_mad_u64_u32 v[6:7], s[10:11], v9, v4, v[7:8]
	v_mul_lo_u32 v4, v10, v4
	v_lshrrev_b64 v[18:19], 13, v[11:12]
	v_add3_u32 v7, v4, v7, v5
	buffer_store_dword v6, off, s[0:3], s33 offset:440 ; 4-byte Folded Spill
	s_nop 0
	buffer_store_dword v7, off, s[0:3], s33 offset:444 ; 4-byte Folded Spill
	v_mov_b32_e32 v4, v9
	v_mov_b32_e32 v5, v10
	buffer_store_dword v4, off, s[0:3], s33 offset:424 ; 4-byte Folded Spill
	s_nop 0
	buffer_store_dword v5, off, s[0:3], s33 offset:428 ; 4-byte Folded Spill
	buffer_store_dword v6, off, s[0:3], s33 offset:432 ; 4-byte Folded Spill
	;; [unrolled: 1-line block ×3, first 2 shown]
                                        ; implicit-def: $vgpr5
                                        ; implicit-def: $vgpr4
.LBB8_3:
	s_andn2_saveexec_b64 s[6:7], s[6:7]
	s_cbranch_execz .LBB8_5
; %bb.4:
	flat_load_dwordx4 v[6:9], v[2:3] offset:72
	flat_load_dwordx4 v[10:13], v[2:3] offset:88
	v_add_u32_sdwa v0, v5, v4 dst_sel:DWORD dst_unused:UNUSED_PAD src0_sel:BYTE_1 src1_sel:DWORD
	v_ashrrev_i32_e32 v4, 31, v0
	s_waitcnt vmcnt(0) lgkmcnt(0)
	v_mul_lo_u32 v4, v8, v4
	v_mad_u64_u32 v[5:6], s[10:11], v8, v0, v[6:7]
	v_mul_lo_u32 v0, v9, v0
	v_lshrrev_b32_e32 v18, 2, v13
	v_add3_u32 v6, v0, v6, v4
	buffer_store_dword v5, off, s[0:3], s33 offset:440 ; 4-byte Folded Spill
	s_nop 0
	buffer_store_dword v6, off, s[0:3], s33 offset:444 ; 4-byte Folded Spill
	v_mov_b32_e32 v4, v10
	v_mov_b32_e32 v5, v11
	buffer_store_dword v4, off, s[0:3], s33 offset:424 ; 4-byte Folded Spill
	s_nop 0
	buffer_store_dword v5, off, s[0:3], s33 offset:428 ; 4-byte Folded Spill
	buffer_store_dword v6, off, s[0:3], s33 offset:432 ; 4-byte Folded Spill
	;; [unrolled: 1-line block ×3, first 2 shown]
.LBB8_5:
	s_or_b64 exec, exec, s[6:7]
.LBB8_6:
	s_andn2_saveexec_b64 s[4:5], s[4:5]
	s_cbranch_execz .LBB8_8
; %bb.7:
	flat_load_dwordx2 v[4:5], v[2:3] offset:96
	flat_load_dwordx2 v[6:7], v[2:3] offset:72
	s_waitcnt vmcnt(0) lgkmcnt(0)
	buffer_store_dword v6, off, s[0:3], s33 offset:424 ; 4-byte Folded Spill
	s_nop 0
	buffer_store_dword v7, off, s[0:3], s33 offset:428 ; 4-byte Folded Spill
	buffer_store_dword v8, off, s[0:3], s33 offset:432 ; 4-byte Folded Spill
	;; [unrolled: 1-line block ×3, first 2 shown]
	v_lshlrev_b64 v[18:19], 8, v[4:5]
	v_mov_b32_e32 v4, 0
	v_mov_b32_e32 v5, 0
	buffer_store_dword v4, off, s[0:3], s33 offset:440 ; 4-byte Folded Spill
	s_nop 0
	buffer_store_dword v5, off, s[0:3], s33 offset:444 ; 4-byte Folded Spill
.LBB8_8:
	s_or_b64 exec, exec, s[4:5]
	s_trap 2
	ds_read_b64 v[4:5], v0
	s_waitcnt lgkmcnt(0)
	v_cmp_ne_u32_e32 vcc, -1, v4
	v_cndmask_b32_e64 v19, 0, 1, vcc
	v_cmp_ne_u32_e32 vcc, -1, v5
	v_addc_co_u32_e64 v8, s[4:5], 0, v19, vcc
	v_lshlrev_b32_e32 v4, 1, v8
	v_cmp_le_u32_e64 s[4:5], v4, v1
	s_and_saveexec_b64 s[6:7], s[4:5]
	s_xor_b64 s[28:29], exec, s[6:7]
	s_cbranch_execz .LBB8_4453
; %bb.9:
	flat_load_dwordx4 v[10:13], v[2:3] offset:16
	flat_load_dwordx2 v[6:7], v[2:3] offset:104
	flat_load_ushort v5, v[2:3] offset:8
	flat_load_dword v4, v[2:3] offset:4
	s_trap 2
	s_load_dword s4, s[8:9], 0x0
	v_mov_b32_e32 v9, 0
	s_waitcnt lgkmcnt(0)
	s_cmp_lt_u32 s12, s4
	s_cselect_b32 s4, 12, 18
	s_add_u32 s4, s8, s4
	s_addc_u32 s5, s9, 0
	global_load_ushort v20, v9, s[4:5]
	ds_read_b32 v9, v0
	buffer_load_dword v0, off, s[0:3], s33 offset:304 ; 4-byte Folded Reload
	s_waitcnt lgkmcnt(0)
	v_readfirstlane_b32 s24, v9
	s_waitcnt vmcnt(0)
	v_cmp_ge_u32_e64 s[4:5], v0, v19
	v_mov_b32_e32 v0, 4
	s_and_saveexec_b64 s[6:7], s[4:5]
	s_cbranch_execz .LBB8_19
; %bb.10:
	buffer_load_dword v0, off, s[0:3], s33 offset:304 ; 4-byte Folded Reload
	s_waitcnt vmcnt(0)
	v_cmp_ge_u32_e64 s[4:5], v0, v8
                                        ; implicit-def: $vgpr0
	s_and_saveexec_b64 s[10:11], s[4:5]
	s_xor_b64 s[4:5], exec, s[10:11]
	s_cbranch_execz .LBB8_16
; %bb.11:
	buffer_load_dword v0, off, s[0:3], s33 offset:304 ; 4-byte Folded Reload
	v_cndmask_b32_e64 v9, 0, 1, vcc
	v_sub_u32_e32 v9, v1, v9
	s_waitcnt vmcnt(0)
	v_cmp_ge_u32_e32 vcc, v0, v9
	s_and_saveexec_b64 s[10:11], vcc
	s_xor_b64 s[10:11], exec, s[10:11]
; %bb.12:
                                        ; implicit-def: $vgpr8
; %bb.13:
	s_or_saveexec_b64 s[10:11], s[10:11]
	v_mov_b32_e32 v0, 16
	s_xor_b64 exec, exec, s[10:11]
	s_cbranch_execz .LBB8_15
; %bb.14:
	buffer_load_dword v0, off, s[0:3], s33 offset:304 ; 4-byte Folded Reload
	v_sub_u32_e32 v8, v1, v8
	s_waitcnt vmcnt(0)
	v_cmp_lt_i32_e32 vcc, v0, v8
	v_cndmask_b32_e64 v0, 32, 0, vcc
.LBB8_15:
	s_or_b64 exec, exec, s[10:11]
.LBB8_16:
	s_andn2_saveexec_b64 s[4:5], s[4:5]
; %bb.17:
	v_mov_b32_e32 v0, 8
; %bb.18:
	s_or_b64 exec, exec, s[4:5]
.LBB8_19:
	s_or_b64 exec, exec, s[6:7]
	v_and_b32_e32 v8, 36, v0
	v_cmp_ne_u32_e32 vcc, 0, v8
	v_mov_b32_e32 v8, -1
	buffer_store_dword v0, off, s[0:3], s33 offset:132 ; 4-byte Folded Spill
	s_and_saveexec_b64 s[4:5], vcc
	s_cbranch_execz .LBB8_21
; %bb.20:
	s_trap 2
	ds_read_b32 v8, v0
.LBB8_21:
	s_or_b64 exec, exec, s[4:5]
	buffer_load_dword v0, off, s[0:3], s33 offset:132 ; 4-byte Folded Reload
	s_waitcnt vmcnt(0)
	v_and_b32_e32 v9, 24, v0
	v_cmp_ne_u32_e64 s[4:5], 0, v9
	s_and_saveexec_b64 s[6:7], s[4:5]
	s_cbranch_execz .LBB8_23
; %bb.22:
	s_trap 2
	s_waitcnt lgkmcnt(0)
	ds_read_b32 v8, v0
.LBB8_23:
	s_or_b64 exec, exec, s[6:7]
	v_mov_b32_e32 v14, 0
	v_mov_b32_e32 v15, 0
	buffer_store_dword v14, off, s[0:3], s33 offset:456 ; 4-byte Folded Spill
	s_nop 0
	buffer_store_dword v15, off, s[0:3], s33 offset:460 ; 4-byte Folded Spill
	v_mov_b32_e32 v14, 0
	v_mov_b32_e32 v15, 0
	v_lshrrev_b64 v[4:5], 31, v[4:5]
	buffer_store_dword v14, off, s[0:3], s33 offset:216 ; 4-byte Folded Spill
	s_nop 0
	buffer_store_dword v15, off, s[0:3], s33 offset:220 ; 4-byte Folded Spill
	buffer_store_dword v16, off, s[0:3], s33 offset:224 ; 4-byte Folded Spill
	;; [unrolled: 1-line block ×3, first 2 shown]
                                        ; implicit-def: $vgpr14_vgpr15
	v_and_b32_e32 v4, 3, v4
	s_waitcnt lgkmcnt(0)
	v_ashrrev_i32_e32 v9, 31, v8
                                        ; kill: killed $vgpr14_vgpr15
                                        ; implicit-def: $vgpr14_vgpr15
                                        ; implicit-def: $vgpr0
                                        ; kill: killed $vgpr0
                                        ; kill: killed $vgpr14_vgpr15
                                        ; implicit-def: $vgpr14_vgpr15
                                        ; kill: killed $vgpr14_vgpr15
                                        ; implicit-def: $vgpr46_vgpr47
                                        ; implicit-def: $vgpr40_vgpr41
	s_and_saveexec_b64 s[4:5], vcc
	s_cbranch_execz .LBB8_33
; %bb.24:
	s_trap 2
	ds_read_b64 v[14:15], v0
	v_lshlrev_b64 v[16:17], 3, v[8:9]
	v_and_b32_e32 v5, 0xffff, v4
	s_movk_i32 s6, 0xa8
	s_waitcnt lgkmcnt(0)
	v_add_co_u32_e32 v14, vcc, v14, v16
	v_addc_co_u32_e32 v15, vcc, v15, v17, vcc
	flat_load_dwordx2 v[14:15], v[14:15]
                                        ; implicit-def: $vgpr16_vgpr17
                                        ; kill: killed $vgpr16_vgpr17
	s_waitcnt vmcnt(0) lgkmcnt(0)
	v_mad_u64_u32 v[14:15], s[6:7], v5, s6, v[14:15]
	flat_load_dword v5, v[14:15] offset:640
	s_waitcnt vmcnt(0) lgkmcnt(0)
	v_cmp_eq_u32_e32 vcc, 1, v5
	s_and_saveexec_b64 s[6:7], vcc
	s_cbranch_execz .LBB8_26
; %bb.25:
	flat_load_dwordx2 v[21:22], v[14:15] offset:648
	s_waitcnt vmcnt(0) lgkmcnt(0)
	flat_load_dwordx2 v[16:17], v[21:22]
	s_trap 2
	s_waitcnt vmcnt(0) lgkmcnt(0)
	ds_write_b64 v0, v[16:17]
	flat_load_dwordx2 v[16:17], v[21:22] offset:8
	s_waitcnt vmcnt(0) lgkmcnt(0)
	ds_write_b64 v0, v[16:17]
	buffer_store_dword v21, off, s[0:3], s33 offset:476 ; 4-byte Folded Spill
	s_nop 0
	buffer_store_dword v22, off, s[0:3], s33 offset:480 ; 4-byte Folded Spill
	flat_load_dwordx2 v[16:17], v[21:22] offset:16
	s_waitcnt vmcnt(0) lgkmcnt(0)
	ds_write_b64 v0, v[16:17]
	buffer_load_dword v0, off, s[0:3], s33 offset:132 ; 4-byte Folded Reload
	s_waitcnt vmcnt(0)
	v_or_b32_e32 v0, 0x2000, v0
	buffer_store_dword v0, off, s[0:3], s33 offset:132 ; 4-byte Folded Spill
.LBB8_26:
	s_or_b64 exec, exec, s[6:7]
	flat_load_dwordx2 v[16:17], v[14:15] offset:608
	buffer_load_dword v0, off, s[0:3], s33 offset:132 ; 4-byte Folded Reload
                                        ; implicit-def: $vgpr40_vgpr41
	s_waitcnt vmcnt(0) lgkmcnt(0)
	v_add_co_u32_e32 v16, vcc, 3, v16
	v_and_b32_e32 v5, 32, v0
	v_addc_co_u32_e32 v17, vcc, 0, v17, vcc
	v_and_b32_e32 v16, -4, v16
	v_cmp_ne_u32_e32 vcc, 0, v5
	buffer_store_dword v16, off, s[0:3], s33 offset:160 ; 4-byte Folded Spill
	s_nop 0
	buffer_store_dword v17, off, s[0:3], s33 offset:164 ; 4-byte Folded Spill
	s_and_saveexec_b64 s[6:7], vcc
	s_cbranch_execz .LBB8_28
; %bb.27:
	flat_load_dwordx2 v[40:41], v[14:15] offset:560
	buffer_load_dword v16, off, s[0:3], s33 offset:160 ; 4-byte Folded Reload
	buffer_load_dword v17, off, s[0:3], s33 offset:164 ; 4-byte Folded Reload
	s_waitcnt vmcnt(0) lgkmcnt(0)
	flat_store_dwordx2 v[40:41], v[16:17]
.LBB8_28:
	s_or_b64 exec, exec, s[6:7]
	v_add_co_u32_e32 v16, vcc, 0x1f8, v14
	v_addc_co_u32_e32 v17, vcc, 0, v15, vcc
	buffer_store_dword v16, off, s[0:3], s33 offset:456 ; 4-byte Folded Spill
	s_nop 0
	buffer_store_dword v17, off, s[0:3], s33 offset:460 ; 4-byte Folded Spill
	buffer_load_dword v0, off, s[0:3], s33 offset:132 ; 4-byte Folded Reload
	v_mov_b32_e32 v16, 0
	v_mov_b32_e32 v17, 0
	buffer_store_dword v16, off, s[0:3], s33 offset:216 ; 4-byte Folded Spill
	s_nop 0
	buffer_store_dword v17, off, s[0:3], s33 offset:220 ; 4-byte Folded Spill
	buffer_store_dword v18, off, s[0:3], s33 offset:224 ; 4-byte Folded Spill
	;; [unrolled: 1-line block ×3, first 2 shown]
                                        ; implicit-def: $vgpr16_vgpr17
                                        ; kill: killed $vgpr16_vgpr17
                                        ; implicit-def: $vgpr46_vgpr47
	s_waitcnt vmcnt(0)
	v_and_b32_e32 v5, 4, v0
	v_cmp_ne_u32_e32 vcc, 0, v5
                                        ; implicit-def: $vgpr0
                                        ; kill: killed $vgpr0
	s_and_saveexec_b64 s[6:7], vcc
	s_cbranch_execz .LBB8_32
; %bb.29:
	buffer_load_dword v0, off, s[0:3], s33 offset:132 ; 4-byte Folded Reload
	s_waitcnt vmcnt(0)
	v_and_b32_e32 v5, 0x800, v0
	v_cmp_eq_u32_e32 vcc, 0, v5
	s_and_saveexec_b64 s[10:11], vcc
	s_cbranch_execz .LBB8_31
; %bb.30:
	s_trap 2
	buffer_load_dword v16, off, s[0:3], s33 offset:456 ; 4-byte Folded Reload
	buffer_load_dword v17, off, s[0:3], s33 offset:460 ; 4-byte Folded Reload
	s_waitcnt vmcnt(0)
	ds_write_b64 v0, v[16:17]
.LBB8_31:
	s_or_b64 exec, exec, s[10:11]
	flat_load_dwordx2 v[40:41], v[14:15] offset:552
	s_waitcnt vmcnt(0) lgkmcnt(0)
	flat_load_dwordx2 v[46:47], v[40:41] glc
	flat_load_dword v5, v[14:15] offset:576
	flat_load_dwordx2 v[21:22], v[14:15] offset:600
	s_nop 0
	flat_load_dwordx2 v[14:15], v[14:15] offset:520
	s_waitcnt vmcnt(0) lgkmcnt(0)
	buffer_store_dword v14, off, s[0:3], s33 offset:208 ; 4-byte Folded Spill
	s_nop 0
	buffer_store_dword v15, off, s[0:3], s33 offset:212 ; 4-byte Folded Spill
	buffer_load_dword v0, off, s[0:3], s33 offset:132 ; 4-byte Folded Reload
	v_cmp_eq_u64_e32 vcc, 0, v[21:22]
	v_mov_b32_e32 v15, v21
	v_ashrrev_i32_e32 v5, 1, v5
	v_mov_b32_e32 v16, v22
	buffer_store_dword v5, off, s[0:3], s33 offset:256 ; 4-byte Folded Spill
	buffer_store_dword v15, off, s[0:3], s33 offset:216 ; 4-byte Folded Spill
	s_nop 0
	buffer_store_dword v16, off, s[0:3], s33 offset:220 ; 4-byte Folded Spill
	buffer_store_dword v17, off, s[0:3], s33 offset:224 ; 4-byte Folded Spill
	;; [unrolled: 1-line block ×3, first 2 shown]
	s_waitcnt vmcnt(5)
	v_or_b32_e32 v14, 0x100, v0
	v_cndmask_b32_e32 v0, v14, v0, vcc
	buffer_store_dword v0, off, s[0:3], s33 offset:132 ; 4-byte Folded Spill
.LBB8_32:
	s_or_b64 exec, exec, s[6:7]
.LBB8_33:
	s_or_b64 exec, exec, s[4:5]
	buffer_load_dword v0, off, s[0:3], s33 offset:132 ; 4-byte Folded Reload
                                        ; implicit-def: $vgpr14_vgpr15
                                        ; kill: killed $vgpr14_vgpr15
	s_waitcnt vmcnt(0)
	v_and_b32_e32 v5, 24, v0
	v_cmp_ne_u32_e32 vcc, 0, v5
	s_and_saveexec_b64 s[4:5], vcc
	s_cbranch_execz .LBB8_41
; %bb.34:
	s_trap 2
	ds_read_b64 v[14:15], v0
	v_lshlrev_b64 v[8:9], 3, v[8:9]
	v_and_b32_e32 v4, 0xffff, v4
	s_movk_i32 s6, 0xa8
	s_waitcnt lgkmcnt(0)
	v_add_co_u32_e32 v8, vcc, v14, v8
	v_addc_co_u32_e32 v9, vcc, v15, v9, vcc
	flat_load_dwordx2 v[8:9], v[8:9]
	s_waitcnt vmcnt(0) lgkmcnt(0)
	v_mad_u64_u32 v[4:5], s[6:7], v4, s6, v[8:9]
	buffer_store_dword v4, off, s[0:3], s33 offset:456 ; 4-byte Folded Spill
	s_nop 0
	buffer_store_dword v5, off, s[0:3], s33 offset:460 ; 4-byte Folded Spill
	buffer_load_dword v0, off, s[0:3], s33 offset:132 ; 4-byte Folded Reload
	flat_load_dwordx4 v[14:17], v[4:5] offset:96
	s_waitcnt vmcnt(0) lgkmcnt(0)
	buffer_store_dword v14, off, s[0:3], s33 offset:216 ; 4-byte Folded Spill
	s_nop 0
	buffer_store_dword v15, off, s[0:3], s33 offset:220 ; 4-byte Folded Spill
	buffer_store_dword v16, off, s[0:3], s33 offset:224 ; 4-byte Folded Spill
	;; [unrolled: 1-line block ×3, first 2 shown]
	v_or_b32_e32 v4, 0x100, v0
	v_cmp_eq_u64_e32 vcc, 0, v[14:15]
	v_cndmask_b32_e32 v0, v4, v0, vcc
	v_and_b32_e32 v4, 16, v0
	v_cmp_ne_u32_e32 vcc, 0, v4
	buffer_store_dword v0, off, s[0:3], s33 offset:132 ; 4-byte Folded Spill
                                        ; implicit-def: $vgpr4_vgpr5
                                        ; kill: killed $vgpr4_vgpr5
	s_and_saveexec_b64 s[6:7], vcc
	s_cbranch_execz .LBB8_36
; %bb.35:
	buffer_load_dword v4, off, s[0:3], s33 offset:456 ; 4-byte Folded Reload
	buffer_load_dword v5, off, s[0:3], s33 offset:460 ; 4-byte Folded Reload
	s_waitcnt vmcnt(0)
	flat_load_dwordx2 v[40:41], v[4:5] offset:48
	flat_load_dwordx2 v[8:9], v[4:5] offset:120
	s_waitcnt vmcnt(0) lgkmcnt(0)
	buffer_store_dword v8, off, s[0:3], s33 offset:232 ; 4-byte Folded Spill
	s_nop 0
	buffer_store_dword v9, off, s[0:3], s33 offset:236 ; 4-byte Folded Spill
	flat_load_dwordx2 v[4:5], v[4:5] offset:16
	s_waitcnt vmcnt(0) lgkmcnt(0)
	buffer_store_dword v4, off, s[0:3], s33 offset:208 ; 4-byte Folded Spill
	s_nop 0
	buffer_store_dword v5, off, s[0:3], s33 offset:212 ; 4-byte Folded Spill
.LBB8_36:
	s_or_b64 exec, exec, s[6:7]
	buffer_load_dword v14, off, s[0:3], s33 offset:216 ; 4-byte Folded Reload
	buffer_load_dword v15, off, s[0:3], s33 offset:220 ; 4-byte Folded Reload
	;; [unrolled: 1-line block ×4, first 2 shown]
	s_waitcnt vmcnt(1)
	v_add_co_u32_e32 v4, vcc, 3, v16
	s_waitcnt vmcnt(0)
	v_addc_co_u32_e32 v5, vcc, 0, v17, vcc
	v_and_b32_e32 v4, -4, v4
	buffer_store_dword v4, off, s[0:3], s33 offset:160 ; 4-byte Folded Spill
	s_nop 0
	buffer_store_dword v5, off, s[0:3], s33 offset:164 ; 4-byte Folded Spill
	buffer_load_dword v0, off, s[0:3], s33 offset:132 ; 4-byte Folded Reload
	s_waitcnt vmcnt(0)
	v_and_b32_e32 v4, 8, v0
	v_cmp_ne_u32_e32 vcc, 0, v4
	s_and_saveexec_b64 s[6:7], vcc
	s_cbranch_execz .LBB8_40
; %bb.37:
	buffer_load_dword v0, off, s[0:3], s33 offset:132 ; 4-byte Folded Reload
	s_waitcnt vmcnt(0)
	v_and_b32_e32 v4, 0x800, v0
	v_cmp_eq_u32_e32 vcc, 0, v4
	s_and_saveexec_b64 s[10:11], vcc
	s_cbranch_execz .LBB8_39
; %bb.38:
	s_trap 2
	buffer_load_dword v4, off, s[0:3], s33 offset:456 ; 4-byte Folded Reload
	buffer_load_dword v5, off, s[0:3], s33 offset:460 ; 4-byte Folded Reload
	s_waitcnt vmcnt(0)
	ds_write_b64 v0, v[4:5]
.LBB8_39:
	s_or_b64 exec, exec, s[10:11]
	buffer_load_dword v8, off, s[0:3], s33 offset:456 ; 4-byte Folded Reload
	buffer_load_dword v9, off, s[0:3], s33 offset:460 ; 4-byte Folded Reload
	s_waitcnt vmcnt(0)
	flat_load_dwordx2 v[40:41], v[8:9] offset:56
	s_waitcnt vmcnt(0) lgkmcnt(0)
	flat_load_dwordx2 v[46:47], v[40:41] glc
	flat_load_dword v4, v[8:9] offset:72
	s_nop 0
	flat_load_dwordx2 v[8:9], v[8:9] offset:16
	s_waitcnt vmcnt(0) lgkmcnt(0)
	buffer_store_dword v8, off, s[0:3], s33 offset:208 ; 4-byte Folded Spill
	s_nop 0
	buffer_store_dword v9, off, s[0:3], s33 offset:212 ; 4-byte Folded Spill
	v_ashrrev_i32_e32 v0, 1, v4
	buffer_store_dword v0, off, s[0:3], s33 offset:256 ; 4-byte Folded Spill
.LBB8_40:
	s_or_b64 exec, exec, s[6:7]
.LBB8_41:
	s_or_b64 exec, exec, s[4:5]
	buffer_load_dword v0, off, s[0:3], s33 offset:304 ; 4-byte Folded Reload
	s_waitcnt vmcnt(0)
	v_cmp_eq_u32_e64 s[4:5], 0, v0
	s_and_saveexec_b64 s[6:7], s[4:5]
	s_cbranch_execz .LBB8_43
; %bb.42:
	flat_load_dwordx2 v[4:5], v[2:3] offset:32
	v_mov_b32_e32 v8, v12
	v_mov_b32_e32 v9, v13
	ds_write2_b64 v0, v[8:9], v[10:11] offset1:1
	s_trap 2
	s_waitcnt vmcnt(0) lgkmcnt(0)
	ds_write_b64 v0, v[4:5]
	ds_write_b64 v0, v[6:7]
.LBB8_43:
	s_or_b64 exec, exec, s[6:7]
	v_mov_b32_e32 v4, 0
	v_mov_b32_e32 v5, 0
	buffer_store_dword v4, off, s[0:3], s33 offset:144 ; 4-byte Folded Spill
	s_nop 0
	buffer_store_dword v5, off, s[0:3], s33 offset:148 ; 4-byte Folded Spill
	buffer_load_dword v4, off, s[0:3], s33 offset:424 ; 4-byte Folded Reload
	s_nop 0
	buffer_load_dword v5, off, s[0:3], s33 offset:428 ; 4-byte Folded Reload
	buffer_load_dword v6, off, s[0:3], s33 offset:432 ; 4-byte Folded Reload
	;; [unrolled: 1-line block ×3, first 2 shown]
	s_waitcnt vmcnt(0)
	v_cmp_lt_i64_e32 vcc, 0, v[4:5]
	s_mov_b64 s[6:7], exec
                                        ; implicit-def: $vgpr62 : SGPR spill to VGPR lane
	v_writelane_b32 v62, s6, 0
	v_writelane_b32 v62, s7, 1
	s_and_b64 s[6:7], s[6:7], vcc
	s_mov_b64 exec, s[6:7]
	s_cbranch_execz .LBB8_4419
; %bb.44:
	buffer_load_dword v4, off, s[0:3], s33 offset:304 ; 4-byte Folded Reload
	buffer_load_dword v5, off, s[0:3], s33 offset:256 ; 4-byte Folded Reload
	v_and_b32_e32 v9, 0x1fffff00, v18
	flat_load_dword v3, v[2:3] offset:4
	v_mov_b32_e32 v2, 0
	buffer_store_dword v31, off, s[0:3], s33 offset:468 ; 4-byte Folded Spill
	v_mov_b32_e32 v10, v2
	v_and_b32_e32 v0, 63, v31
	s_ashr_i32 s18, s24, 31
	v_cmp_eq_u32_e64 s[6:7], 64, v1
	v_cmp_ne_u32_e64 s[10:11], 64, v1
	v_cmp_ne_u32_sdwa s[56:57], v1, v20 src0_sel:DWORD src1_sel:WORD_0
	v_writelane_b32 v62, s28, 2
	s_movk_i32 s54, 0x1000
	s_lshr_b32 s25, s18, 29
	v_writelane_b32 v62, s29, 3
	s_add_i32 s28, s24, s25
	s_movk_i32 s27, 0x800
	s_movk_i32 s55, 0x400
	;; [unrolled: 1-line block ×3, first 2 shown]
	s_ashr_i32 s53, s52, 31
	s_ashr_i32 s29, s28, 4
	s_add_u32 s64, s52, -1
	s_addc_u32 s65, s53, -1
	s_add_i32 s66, s52, s52
	s_mov_b64 s[58:59], 0
	s_mov_b32 s87, 0x7f800000
	s_movk_i32 s96, 0x7fff
	s_mov_b32 s97, 0xffff0000
	s_movk_i32 s46, 0x108
	s_waitcnt vmcnt(0)
	v_and_b32_e32 v7, 63, v4
	v_ashrrev_i32_e32 v5, 31, v5
	buffer_store_dword v5, off, s[0:3], s33 offset:268 ; 4-byte Folded Spill
	s_trap 2
	buffer_store_dword v20, off, s[0:3], s33 offset:472 ; 4-byte Folded Spill
	buffer_store_dword v1, off, s[0:3], s33 offset:464 ; 4-byte Folded Spill
	buffer_load_dword v5, off, s[0:3], s33 offset:232 ; 4-byte Folded Reload
	buffer_load_dword v6, off, s[0:3], s33 offset:236 ; 4-byte Folded Reload
	s_nop 0
	buffer_store_dword v9, off, s[0:3], s33 offset:364 ; 4-byte Folded Spill
	s_nop 0
	buffer_store_dword v10, off, s[0:3], s33 offset:368 ; 4-byte Folded Spill
	v_cmp_ge_u32_e32 vcc, v4, v1
	v_lshrrev_b32_e32 v1, 6, v1
	v_lshrrev_b32_e32 v8, 6, v4
	v_mov_b32_e32 v4, 0xfffff000
	v_cmp_eq_u32_e64 s[18:19], 0, v7
	v_cmp_lt_u32_e64 s[20:21], v7, v19
	v_lshl_add_u32 v4, v1, 12, v4
	v_lshlrev_b32_e32 v11, 7, v1
	buffer_store_dword v7, off, s[0:3], s33 offset:272 ; 4-byte Folded Spill
	v_cmp_le_u32_e64 s[22:23], v7, v19
	buffer_store_dword v1, off, s[0:3], s33 offset:128 ; 4-byte Folded Spill
	buffer_store_dword v11, off, s[0:3], s33 offset:168 ; 4-byte Folded Spill
	;; [unrolled: 1-line block ×3, first 2 shown]
	v_add_u32_e32 v11, 0xffffff80, v11
	v_ashrrev_i32_e32 v12, 31, v11
	v_mad_i64_i32 v[9:10], s[16:17], v9, s52, 0
	s_waitcnt vmcnt(0)
	v_cmp_eq_u64_e64 s[12:13], 0, v[5:6]
	v_cmp_ne_u64_e64 s[14:15], 0, v[5:6]
	v_mov_b32_e32 v5, 0xfffff800
	v_cmp_eq_u32_e64 s[16:17], 0, v0
	v_lshlrev_b32_e32 v0, 4, v7
	v_lshlrev_b32_e32 v6, 10, v1
	v_lshl_add_u32 v7, v1, 11, v5
	v_lshl_or_b32 v1, v8, 12, v0
	v_lshl_or_b32 v0, v8, 11, v0
	v_ashrrev_i32_e32 v5, 31, v4
	buffer_store_dword v0, off, s[0:3], s33 offset:300 ; 4-byte Folded Spill
	v_add_co_u32_e64 v0, s[24:25], s54, v4
	buffer_store_dword v1, off, s[0:3], s33 offset:352 ; 4-byte Folded Spill
	buffer_store_dword v6, off, s[0:3], s33 offset:180 ; 4-byte Folded Spill
	;; [unrolled: 1-line block ×4, first 2 shown]
	s_nop 0
	buffer_store_dword v5, off, s[0:3], s33 offset:264 ; 4-byte Folded Spill
	v_ashrrev_i32_e32 v8, 31, v7
	v_add_u32_e32 v54, 0xfffffc00, v6
	v_ashrrev_i32_e32 v55, 31, v54
	v_addc_co_u32_e64 v0, s[24:25], 0, v5, s[24:25]
	buffer_store_dword v0, off, s[0:3], s33 offset:204 ; 4-byte Folded Spill
	v_add_co_u32_e64 v0, s[24:25], s27, v7
	buffer_store_dword v0, off, s[0:3], s33 offset:152 ; 4-byte Folded Spill
	buffer_store_dword v7, off, s[0:3], s33 offset:172 ; 4-byte Folded Spill
	s_nop 0
	buffer_store_dword v8, off, s[0:3], s33 offset:176 ; 4-byte Folded Spill
	v_addc_co_u32_e64 v0, s[24:25], 0, v8, s[24:25]
	buffer_store_dword v0, off, s[0:3], s33 offset:156 ; 4-byte Folded Spill
	v_add_co_u32_e64 v0, s[24:25], s55, v54
	buffer_store_dword v0, off, s[0:3], s33 offset:136 ; 4-byte Folded Spill
	v_addc_co_u32_e64 v0, s[24:25], 0, v55, s[24:25]
	buffer_store_dword v0, off, s[0:3], s33 offset:140 ; 4-byte Folded Spill
	v_add_co_u32_e64 v0, s[24:25], s26, v11
	buffer_store_dword v0, off, s[0:3], s33 offset:192 ; 4-byte Folded Spill
	buffer_store_dword v11, off, s[0:3], s33 offset:184 ; 4-byte Folded Spill
	s_nop 0
	buffer_store_dword v12, off, s[0:3], s33 offset:188 ; 4-byte Folded Spill
	v_addc_co_u32_e64 v0, s[24:25], 0, v12, s[24:25]
	s_not_b32 s24, s52
	s_cmp_gt_i32 s52, 0
	s_cselect_b32 s24, s24, -1
	s_ashr_i32 s25, s28, 31
	s_add_i32 s67, s24, s66
	s_lshr_b32 s24, s25, 28
	s_add_i32 s29, s29, s24
	s_ashr_i32 s68, s67, 31
	s_ashr_i32 s69, s29, 4
	s_cmp_gt_i32 s52, 2
	s_cselect_b64 s[60:61], -1, 0
	s_lshr_b32 s24, s33, 6
	s_add_i32 s70, s24, 0x70
	s_lshr_b32 s24, s33, 6
	buffer_store_dword v0, off, s[0:3], s33 offset:196 ; 4-byte Folded Spill
	s_add_i32 s71, s24, 0x50
	s_lshr_b32 s24, s33, 6
	s_waitcnt lgkmcnt(0)
	v_and_b32_e32 v0, 1, v3
	s_add_i32 s80, s24, 0x70
	v_cmp_eq_u32_e64 s[24:25], 1, v0
	v_mov_b32_e32 v0, 0
	v_mov_b32_e32 v1, 0
	buffer_store_dword v0, off, s[0:3], s33 offset:144 ; 4-byte Folded Spill
	s_nop 0
	buffer_store_dword v1, off, s[0:3], s33 offset:148 ; 4-byte Folded Spill
	buffer_load_dword v3, off, s[0:3], s33 offset:424 ; 4-byte Folded Reload
	buffer_load_dword v4, off, s[0:3], s33 offset:428 ; 4-byte Folded Reload
	;; [unrolled: 1-line block ×4, first 2 shown]
	s_lshr_b32 s26, s33, 6
	s_add_i32 s81, s26, 0x50
	s_lshr_b32 s26, s33, 6
	s_add_i32 s82, s26, 0x70
	s_lshr_b32 s26, s33, 6
	s_xor_b64 s[62:63], s[24:25], -1
	s_add_i32 s83, s26, 0x50
	s_add_i32 s26, s52, 1
	s_cmp_ge_i32 s26, s52
	s_cselect_b32 s27, s52, 0
	s_sub_i32 s84, s26, s27
	s_waitcnt vmcnt(0)
	v_mov_b32_e32 v5, 0
	s_ashr_i32 s85, s84, 31
	s_add_i32 s86, s52, -2
	s_xor_b64 s[72:73], vcc, -1
	s_ashr_i32 s74, s53, 31
	v_mov_b32_e32 v6, 0
	buffer_store_dword v9, off, s[0:3], s33 offset:448 ; 4-byte Folded Spill
	s_nop 0
	buffer_store_dword v10, off, s[0:3], s33 offset:452 ; 4-byte Folded Spill
	v_mov_b32_e32 v0, v3
	v_mov_b32_e32 v1, v4
	s_branch .LBB8_47
.LBB8_45:                               ;   in Loop: Header=BB8_47 Depth=1
	s_or_b64 exec, exec, s[40:41]
.LBB8_46:                               ;   in Loop: Header=BB8_47 Depth=1
	s_or_b64 exec, exec, s[28:29]
	buffer_load_dword v9, off, s[0:3], s33 offset:448 ; 4-byte Folded Reload
	buffer_load_dword v10, off, s[0:3], s33 offset:452 ; 4-byte Folded Reload
	;; [unrolled: 1-line block ×8, first 2 shown]
	s_waitcnt vmcnt(0)
	v_add_co_u32_e32 v0, vcc, v0, v9
	v_addc_co_u32_e32 v1, vcc, v1, v10, vcc
	v_mov_b32_e32 v6, v1
	v_mov_b32_e32 v5, v0
	;; [unrolled: 1-line block ×4, first 2 shown]
	v_cmp_ge_i64_e32 vcc, v[5:6], v[0:1]
	s_or_b64 s[58:59], vcc, s[58:59]
	s_andn2_b64 exec, exec, s[58:59]
	s_cbranch_execz .LBB8_4418
.LBB8_47:                               ; =>This Loop Header: Depth=1
                                        ;     Child Loop BB8_57 Depth 2
                                        ;       Child Loop BB8_65 Depth 3
                                        ;       Child Loop BB8_89 Depth 3
	;; [unrolled: 1-line block ×9, first 2 shown]
                                        ;     Child Loop BB8_816 Depth 2
                                        ;       Child Loop BB8_822 Depth 3
                                        ;       Child Loop BB8_846 Depth 3
	;; [unrolled: 1-line block ×3, first 2 shown]
                                        ;     Child Loop BB8_888 Depth 2
                                        ;       Child Loop BB8_891 Depth 3
                                        ;         Child Loop BB8_899 Depth 4
                                        ;         Child Loop BB8_927 Depth 4
	;; [unrolled: 1-line block ×5, first 2 shown]
                                        ;           Child Loop BB8_1372 Depth 5
                                        ;           Child Loop BB8_1441 Depth 5
                                        ;         Child Loop BB8_1582 Depth 4
                                        ;         Child Loop BB8_1785 Depth 4
                                        ;           Child Loop BB8_1786 Depth 5
                                        ;           Child Loop BB8_1799 Depth 5
                                        ;         Child Loop BB8_1826 Depth 4
                                        ;         Child Loop BB8_1845 Depth 4
                                        ;       Child Loop BB8_1864 Depth 3
                                        ;         Child Loop BB8_1870 Depth 4
                                        ;         Child Loop BB8_1898 Depth 4
	;; [unrolled: 1-line block ×3, first 2 shown]
                                        ;     Child Loop BB8_1939 Depth 2
                                        ;       Child Loop BB8_1947 Depth 3
                                        ;       Child Loop BB8_1975 Depth 3
	;; [unrolled: 1-line block ×5, first 2 shown]
                                        ;         Child Loop BB8_2418 Depth 4
                                        ;         Child Loop BB8_2485 Depth 4
	;; [unrolled: 1-line block ×4, first 2 shown]
                                        ;       Child Loop BB8_2625 Depth 3
                                        ;       Child Loop BB8_2633 Depth 3
	;; [unrolled: 1-line block ×3, first 2 shown]
                                        ;         Child Loop BB8_2839 Depth 4
                                        ;         Child Loop BB8_2850 Depth 4
                                        ;         Child Loop BB8_2854 Depth 4
                                        ;         Child Loop BB8_2864 Depth 4
                                        ;       Child Loop BB8_2877 Depth 3
                                        ;       Child Loop BB8_2889 Depth 3
                                        ;       Child Loop BB8_3286 Depth 3
                                        ;         Child Loop BB8_3287 Depth 4
                                        ;         Child Loop BB8_3356 Depth 4
                                        ;       Child Loop BB8_3497 Depth 3
                                        ;       Child Loop BB8_3700 Depth 3
                                        ;         Child Loop BB8_3701 Depth 4
                                        ;         Child Loop BB8_3714 Depth 4
                                        ;       Child Loop BB8_3742 Depth 3
                                        ;       Child Loop BB8_3765 Depth 3
                                        ;     Child Loop BB8_3783 Depth 2
                                        ;       Child Loop BB8_3789 Depth 3
                                        ;       Child Loop BB8_3817 Depth 3
                                        ;       Child Loop BB8_3840 Depth 3
                                        ;     Child Loop BB8_3859 Depth 2
                                        ;       Child Loop BB8_3862 Depth 3
                                        ;         Child Loop BB8_3870 Depth 4
                                        ;         Child Loop BB8_3898 Depth 4
	;; [unrolled: 1-line block ×5, first 2 shown]
                                        ;           Child Loop BB8_3960 Depth 5
                                        ;           Child Loop BB8_3965 Depth 5
                                        ;         Child Loop BB8_3971 Depth 4
                                        ;         Child Loop BB8_3979 Depth 4
	;; [unrolled: 1-line block ×3, first 2 shown]
                                        ;           Child Loop BB8_3991 Depth 5
                                        ;           Child Loop BB8_3996 Depth 5
                                        ;         Child Loop BB8_4000 Depth 4
                                        ;         Child Loop BB8_4012 Depth 4
	;; [unrolled: 1-line block ×7, first 2 shown]
                                        ;       Child Loop BB8_4104 Depth 3
                                        ;         Child Loop BB8_4110 Depth 4
                                        ;         Child Loop BB8_4138 Depth 4
                                        ;         Child Loop BB8_4161 Depth 4
                                        ;     Child Loop BB8_4183 Depth 2
                                        ;       Child Loop BB8_4191 Depth 3
                                        ;       Child Loop BB8_4215 Depth 3
	;; [unrolled: 1-line block ×9, first 2 shown]
                                        ;     Child Loop BB8_4352 Depth 2
                                        ;       Child Loop BB8_4358 Depth 3
                                        ;       Child Loop BB8_4382 Depth 3
	;; [unrolled: 1-line block ×3, first 2 shown]
	buffer_store_dword v5, off, s[0:3], s33 offset:404 ; 4-byte Folded Spill
	s_nop 0
	buffer_store_dword v6, off, s[0:3], s33 offset:408 ; 4-byte Folded Spill
	v_sub_co_u32_e32 v0, vcc, v0, v5
	v_subb_co_u32_e32 v1, vcc, v1, v6, vcc
	buffer_store_dword v0, off, s[0:3], s33 offset:356 ; 4-byte Folded Spill
	s_nop 0
	buffer_store_dword v1, off, s[0:3], s33 offset:360 ; 4-byte Folded Spill
	v_cmp_lt_i64_e32 vcc, v[0:1], v[9:10]
	s_and_saveexec_b64 s[28:29], vcc
	s_cbranch_execz .LBB8_53
; %bb.48:                               ;   in Loop: Header=BB8_47 Depth=1
	buffer_load_dword v4, off, s[0:3], s33 offset:356 ; 4-byte Folded Reload
	buffer_load_dword v5, off, s[0:3], s33 offset:360 ; 4-byte Folded Reload
	v_mov_b32_e32 v0, s65
	s_waitcnt vmcnt(0)
	v_add_co_u32_e32 v4, vcc, s64, v4
	s_waitcnt vmcnt(0)
	v_addc_co_u32_e32 v5, vcc, v0, v5, vcc
	v_or_b32_e32 v3, s53, v5
	v_cmp_ne_u64_e32 vcc, 0, v[2:3]
                                        ; implicit-def: $vgpr0_vgpr1
	s_and_saveexec_b64 s[26:27], vcc
	s_xor_b64 s[40:41], exec, s[26:27]
	s_cbranch_execz .LBB8_50
; %bb.49:                               ;   in Loop: Header=BB8_47 Depth=1
	s_add_u32 s26, s52, s74
	s_mov_b32 s75, s74
	s_addc_u32 s27, s53, s74
	s_xor_b64 s[42:43], s[26:27], s[74:75]
	v_cvt_f32_u32_e32 v0, s42
	v_cvt_f32_u32_e32 v1, s43
	s_sub_u32 s44, 0, s42
	s_subb_u32 s45, 0, s43
	v_ashrrev_i32_e32 v6, 31, v5
	v_mac_f32_e32 v0, 0x4f800000, v1
	v_rcp_f32_e32 v0, v0
	v_mul_f32_e32 v0, 0x5f7ffffc, v0
	v_mul_f32_e32 v1, 0x2f800000, v0
	v_trunc_f32_e32 v1, v1
	v_mac_f32_e32 v0, 0xcf800000, v1
	v_cvt_u32_f32_e32 v1, v1
	v_cvt_u32_f32_e32 v0, v0
	v_readfirstlane_b32 s47, v1
	v_readfirstlane_b32 s26, v0
	s_mul_i32 s27, s44, s47
	s_mul_hi_u32 s76, s44, s26
	s_mul_i32 s75, s45, s26
	s_add_i32 s27, s76, s27
	s_add_i32 s27, s27, s75
	s_mul_i32 s77, s44, s26
	s_mul_i32 s76, s26, s27
	s_mul_hi_u32 s78, s26, s77
	s_mul_hi_u32 s75, s26, s27
	s_add_u32 s76, s78, s76
	s_addc_u32 s75, 0, s75
	s_mul_hi_u32 s79, s47, s77
	s_mul_i32 s77, s47, s77
	s_add_u32 s76, s76, s77
	s_mul_hi_u32 s78, s47, s27
	s_addc_u32 s75, s75, s79
	s_addc_u32 s76, s78, 0
	s_mul_i32 s27, s47, s27
	s_add_u32 s27, s75, s27
	s_addc_u32 s75, 0, s76
	s_add_u32 s76, s26, s27
	s_cselect_b64 s[26:27], -1, 0
	s_cmp_lg_u64 s[26:27], 0
	s_addc_u32 s47, s47, s75
	s_mul_i32 s26, s44, s47
	s_mul_hi_u32 s27, s44, s76
	s_add_i32 s26, s27, s26
	s_mul_i32 s45, s45, s76
	s_add_i32 s26, s26, s45
	s_mul_i32 s44, s44, s76
	s_mul_hi_u32 s45, s47, s44
	s_mul_i32 s75, s47, s44
	s_mul_i32 s78, s76, s26
	s_mul_hi_u32 s44, s76, s44
	s_mul_hi_u32 s77, s76, s26
	s_add_u32 s44, s44, s78
	s_addc_u32 s77, 0, s77
	s_add_u32 s44, s44, s75
	s_mul_hi_u32 s27, s47, s26
	s_addc_u32 s44, s77, s45
	s_addc_u32 s27, s27, 0
	s_mul_i32 s26, s47, s26
	s_add_u32 s26, s44, s26
	s_addc_u32 s44, 0, s27
	s_add_u32 s45, s76, s26
	s_cselect_b64 s[26:27], -1, 0
	s_cmp_lg_u64 s[26:27], 0
	v_add_co_u32_e32 v0, vcc, v4, v6
	s_addc_u32 s44, s47, s44
	v_addc_co_u32_e32 v3, vcc, v5, v6, vcc
	v_xor_b32_e32 v5, v0, v6
	v_mad_u64_u32 v[0:1], s[26:27], v5, s44, 0
	v_mul_hi_u32 v4, v5, s45
	v_xor_b32_e32 v7, v3, v6
	v_add_co_u32_e32 v8, vcc, v4, v0
	v_addc_co_u32_e32 v9, vcc, 0, v1, vcc
	v_mad_u64_u32 v[0:1], s[26:27], v7, s45, 0
	v_mad_u64_u32 v[3:4], s[26:27], v7, s44, 0
	v_add_co_u32_e32 v0, vcc, v8, v0
	v_addc_co_u32_e32 v0, vcc, v9, v1, vcc
	v_addc_co_u32_e32 v1, vcc, 0, v4, vcc
	v_add_co_u32_e32 v3, vcc, v0, v3
	v_addc_co_u32_e32 v4, vcc, 0, v1, vcc
	v_mul_lo_u32 v8, s43, v3
	v_mul_lo_u32 v9, s42, v4
	v_mad_u64_u32 v[0:1], s[26:27], s42, v3, 0
	v_add3_u32 v1, v1, v9, v8
	v_sub_u32_e32 v8, v7, v1
	v_mov_b32_e32 v9, s43
	v_sub_co_u32_e32 v0, vcc, v5, v0
	v_subb_co_u32_e64 v5, s[26:27], v8, v9, vcc
	v_subrev_co_u32_e64 v8, s[26:27], s42, v0
	v_subbrev_co_u32_e64 v5, s[26:27], 0, v5, s[26:27]
	v_cmp_le_u32_e64 s[26:27], s43, v5
	v_cndmask_b32_e64 v9, 0, -1, s[26:27]
	v_cmp_le_u32_e64 s[26:27], s42, v8
	v_cndmask_b32_e64 v8, 0, -1, s[26:27]
	v_cmp_eq_u32_e64 s[26:27], s43, v5
	v_cndmask_b32_e64 v5, v9, v8, s[26:27]
	v_add_co_u32_e64 v8, s[26:27], 2, v3
	v_subb_co_u32_e32 v1, vcc, v7, v1, vcc
	v_addc_co_u32_e64 v9, s[26:27], 0, v4, s[26:27]
	v_cmp_le_u32_e32 vcc, s43, v1
	v_add_co_u32_e64 v10, s[26:27], 1, v3
	v_cndmask_b32_e64 v7, 0, -1, vcc
	v_cmp_le_u32_e32 vcc, s42, v0
	v_addc_co_u32_e64 v11, s[26:27], 0, v4, s[26:27]
	v_cndmask_b32_e64 v0, 0, -1, vcc
	v_cmp_eq_u32_e32 vcc, s43, v1
	v_cmp_ne_u32_e64 s[26:27], 0, v5
	v_cndmask_b32_e32 v0, v7, v0, vcc
	v_cndmask_b32_e64 v5, v11, v9, s[26:27]
	v_cmp_ne_u32_e32 vcc, 0, v0
	v_cndmask_b32_e64 v1, v10, v8, s[26:27]
	v_cndmask_b32_e32 v0, v4, v5, vcc
	v_cndmask_b32_e32 v1, v3, v1, vcc
	v_xor_b32_e32 v3, s74, v6
	v_xor_b32_e32 v4, v0, v3
	;; [unrolled: 1-line block ×3, first 2 shown]
	v_sub_co_u32_e32 v0, vcc, v0, v3
	v_subb_co_u32_e32 v1, vcc, v4, v3, vcc
                                        ; implicit-def: $vgpr4
.LBB8_50:                               ;   in Loop: Header=BB8_47 Depth=1
	s_andn2_saveexec_b64 s[40:41], s[40:41]
	s_cbranch_execz .LBB8_52
; %bb.51:                               ;   in Loop: Header=BB8_47 Depth=1
	v_cvt_f32_u32_e32 v0, s52
	s_sub_i32 s26, 0, s52
	v_rcp_iflag_f32_e32 v0, v0
	v_mul_f32_e32 v0, 0x4f7ffffe, v0
	v_cvt_u32_f32_e32 v0, v0
	v_mul_lo_u32 v1, s26, v0
	v_mul_hi_u32 v1, v0, v1
	v_add_u32_e32 v0, v0, v1
	v_mul_hi_u32 v0, v4, v0
	v_mul_lo_u32 v1, v0, s52
	v_sub_u32_e32 v1, v4, v1
	v_cmp_le_u32_e32 vcc, s52, v1
	v_subrev_u32_e32 v3, s52, v1
	v_cndmask_b32_e32 v1, v1, v3, vcc
	v_cmp_le_u32_e64 s[26:27], s52, v1
	v_add_u32_e32 v1, 1, v0
	v_cndmask_b32_e32 v0, v0, v1, vcc
	v_add_u32_e32 v1, 1, v0
	v_cndmask_b32_e64 v0, v0, v1, s[26:27]
	v_mov_b32_e32 v1, v2
.LBB8_52:                               ;   in Loop: Header=BB8_47 Depth=1
	s_or_b64 exec, exec, s[40:41]
	v_add_co_u32_e32 v0, vcc, 7, v0
	v_addc_co_u32_e32 v1, vcc, 0, v1, vcc
	v_and_b32_e32 v0, -8, v0
	buffer_store_dword v0, off, s[0:3], s33 offset:364 ; 4-byte Folded Spill
	s_nop 0
	buffer_store_dword v1, off, s[0:3], s33 offset:368 ; 4-byte Folded Spill
.LBB8_53:                               ;   in Loop: Header=BB8_47 Depth=1
	s_or_b64 exec, exec, s[28:29]
	buffer_load_dword v5, off, s[0:3], s33 offset:364 ; 4-byte Folded Reload
	buffer_load_dword v6, off, s[0:3], s33 offset:368 ; 4-byte Folded Reload
	v_mov_b32_e32 v50, 0
	s_waitcnt vmcnt(0)
	v_mul_lo_u32 v1, v5, s68
	s_waitcnt vmcnt(0)
	v_mul_lo_u32 v0, v6, s67
	v_mad_u64_u32 v[3:4], s[26:27], v5, s67, 0
	v_add3_u32 v4, v4, v1, v0
	buffer_load_dword v0, off, s[0:3], s33 offset:440 ; 4-byte Folded Reload
	buffer_load_dword v1, off, s[0:3], s33 offset:444 ; 4-byte Folded Reload
	;; [unrolled: 1-line block ×4, first 2 shown]
	s_waitcnt vmcnt(0)
	v_add_co_u32_e32 v0, vcc, v7, v0
	s_waitcnt vmcnt(0)
	v_addc_co_u32_e32 v1, vcc, v8, v1, vcc
	buffer_store_dword v0, off, s[0:3], s33 offset:292 ; 4-byte Folded Spill
	s_nop 0
	buffer_store_dword v1, off, s[0:3], s33 offset:296 ; 4-byte Folded Spill
	buffer_load_dword v0, off, s[0:3], s33 offset:356 ; 4-byte Folded Reload
	s_nop 0
	buffer_load_dword v1, off, s[0:3], s33 offset:360 ; 4-byte Folded Reload
	s_waitcnt vmcnt(0)
	v_sub_co_u32_e32 v0, vcc, v0, v3
	s_waitcnt vmcnt(0)
	v_subb_co_u32_e32 v1, vcc, v1, v4, vcc
	v_cmp_lt_i64_e32 vcc, v[5:6], v[0:1]
	v_cndmask_b32_e32 v1, v0, v5, vcc
	v_max_i32_e32 v39, 0, v1
	v_add_u32_e32 v5, 31, v39
	v_lshrrev_b32_e32 v5, 1, v5
	v_and_b32_e32 v5, 0x3ffffff0, v5
	v_cmp_lt_i32_e32 vcc, 0, v1
	v_mov_b32_e32 v0, 0
	v_max_i32_e32 v48, s69, v5
	s_and_b64 s[26:27], s[72:73], vcc
	s_and_saveexec_b64 s[28:29], s[26:27]
	s_cbranch_execz .LBB8_812
; %bb.54:                               ;   in Loop: Header=BB8_47 Depth=1
	s_mov_b32 s47, 1
	s_mov_b64 s[42:43], -1
	v_mov_b32_e32 v50, 0
	v_lshlrev_b64 v[52:53], 1, v[3:4]
	s_mov_b64 s[40:41], 0
	buffer_store_dword v39, off, s[0:3], s33 offset:412 ; 4-byte Folded Spill
	buffer_store_dword v52, off, s[0:3], s33 offset:416 ; 4-byte Folded Spill
	s_nop 0
	buffer_store_dword v53, off, s[0:3], s33 offset:420 ; 4-byte Folded Spill
	s_branch .LBB8_57
.LBB8_55:                               ;   in Loop: Header=BB8_57 Depth=2
	s_or_b64 exec, exec, s[76:77]
	buffer_load_dword v0, off, s[0:3], s33 offset:160 ; 4-byte Folded Reload
	buffer_load_dword v1, off, s[0:3], s33 offset:164 ; 4-byte Folded Reload
	s_waitcnt vmcnt(0)
	v_add_co_u32_e32 v0, vcc, 2, v0
	v_addc_co_u32_e32 v1, vcc, 0, v1, vcc
	buffer_store_dword v0, off, s[0:3], s33 offset:160 ; 4-byte Folded Spill
	s_nop 0
	buffer_store_dword v1, off, s[0:3], s33 offset:164 ; 4-byte Folded Spill
	flat_store_dwordx2 v[40:41], v[0:1]
.LBB8_56:                               ;   in Loop: Header=BB8_57 Depth=2
	s_or_b64 exec, exec, s[26:27]
	v_add_u32_e32 v50, v48, v50
	v_cmp_ge_i32_e32 vcc, v50, v39
	s_xor_b64 s[26:27], s[42:43], -1
	s_or_b64 s[26:27], s[26:27], vcc
	s_and_b64 s[26:27], exec, s[26:27]
	s_or_b64 s[40:41], s[26:27], s[40:41]
	s_mov_b64 s[42:43], 0
	v_mov_b32_e32 v0, s47
	s_mov_b32 s47, 2
	s_andn2_b64 exec, exec, s[40:41]
	s_cbranch_execz .LBB8_811
.LBB8_57:                               ;   Parent Loop BB8_47 Depth=1
                                        ; =>  This Loop Header: Depth=2
                                        ;       Child Loop BB8_65 Depth 3
                                        ;       Child Loop BB8_89 Depth 3
                                        ;       Child Loop BB8_108 Depth 3
                                        ;       Child Loop BB8_133 Depth 3
                                        ;       Child Loop BB8_529 Depth 3
                                        ;       Child Loop BB8_641 Depth 3
                                        ;       Child Loop BB8_748 Depth 3
                                        ;       Child Loop BB8_774 Depth 3
                                        ;       Child Loop BB8_798 Depth 3
	s_and_saveexec_b64 s[26:27], s[4:5]
	s_cbranch_execz .LBB8_59
; %bb.58:                               ;   in Loop: Header=BB8_57 Depth=2
	s_trap 2
	ds_read_b64 v[0:1], v0
	buffer_load_dword v3, off, s[0:3], s33 offset:292 ; 4-byte Folded Reload
	buffer_load_dword v4, off, s[0:3], s33 offset:296 ; 4-byte Folded Reload
	v_ashrrev_i32_e32 v51, 31, v50
	s_waitcnt vmcnt(0)
	v_lshlrev_b64 v[3:4], 1, v[3:4]
	s_waitcnt lgkmcnt(0)
	v_add_co_u32_e32 v0, vcc, v0, v3
	v_addc_co_u32_e32 v1, vcc, v1, v4, vcc
	v_add_co_u32_e32 v3, vcc, v0, v52
	v_addc_co_u32_e32 v4, vcc, v1, v53, vcc
	v_lshlrev_b64 v[0:1], 1, v[50:51]
	v_add_co_u32_e32 v0, vcc, v3, v0
	v_addc_co_u32_e32 v1, vcc, v4, v1, vcc
	v_mov_b32_e32 v3, v2
	ds_write_b64 v0, v[0:1]
	ds_write_b64 v0, v[2:3]
.LBB8_59:                               ;   in Loop: Header=BB8_57 Depth=2
	s_or_b64 exec, exec, s[26:27]
	v_sub_u32_e32 v0, v39, v50
	v_min_i32_e32 v48, v48, v0
	buffer_load_dword v0, off, s[0:3], s33 offset:132 ; 4-byte Folded Reload
	s_waitcnt vmcnt(0)
	v_and_b32_e32 v0, 8, v0
	v_cmp_ne_u32_e32 vcc, 0, v0
	s_and_saveexec_b64 s[76:77], vcc
	s_cbranch_execz .LBB8_81
; %bb.60:                               ;   in Loop: Header=BB8_57 Depth=2
	buffer_load_dword v3, off, s[0:3], s33 offset:160 ; 4-byte Folded Reload
	buffer_load_dword v4, off, s[0:3], s33 offset:164 ; 4-byte Folded Reload
	s_waitcnt lgkmcnt(0)
	v_add_co_u32_e32 v0, vcc, 8, v46
	v_addc_co_u32_e32 v1, vcc, 0, v47, vcc
	s_waitcnt vmcnt(1)
	v_add_co_u32_e32 v6, vcc, 2, v3
	s_waitcnt vmcnt(0)
	v_addc_co_u32_e32 v7, vcc, 0, v4, vcc
	v_cmp_lt_u64_e32 vcc, v[0:1], v[6:7]
	s_and_saveexec_b64 s[78:79], vcc
	s_cbranch_execz .LBB8_72
; %bb.61:                               ;   in Loop: Header=BB8_57 Depth=2
	buffer_load_dword v0, off, s[0:3], s33 offset:132 ; 4-byte Folded Reload
	s_mov_b32 s75, 0
	s_mov_b64 s[88:89], 0
                                        ; implicit-def: $sgpr90_sgpr91
                                        ; implicit-def: $sgpr92_sgpr93
                                        ; implicit-def: $sgpr94_sgpr95
	s_waitcnt vmcnt(0)
	v_and_b32_e32 v0, 64, v0
	v_cmp_eq_u32_e32 vcc, 0, v0
	s_branch .LBB8_65
.LBB8_62:                               ;   in Loop: Header=BB8_65 Depth=3
	s_waitcnt vmcnt(0) lgkmcnt(0)
	v_add_co_u32_e64 v3, s[26:27], 8, v46
	v_addc_co_u32_e64 v4, s[26:27], 0, v47, s[26:27]
	v_cmp_ge_u64_e64 s[26:27], v[3:4], v[6:7]
	s_or_b64 s[36:37], s[36:37], exec
	s_orn2_b64 s[34:35], s[26:27], exec
.LBB8_63:                               ;   in Loop: Header=BB8_65 Depth=3
	s_or_b64 exec, exec, s[48:49]
	s_andn2_b64 s[26:27], s[94:95], exec
	s_and_b64 s[44:45], s[36:37], exec
	s_or_b64 s[94:95], s[26:27], s[44:45]
	s_andn2_b64 s[26:27], s[92:93], exec
	s_and_b64 s[44:45], s[34:35], exec
	s_or_b64 s[92:93], s[26:27], s[44:45]
.LBB8_64:                               ;   in Loop: Header=BB8_65 Depth=3
	s_or_b64 exec, exec, s[30:31]
	s_and_b64 s[26:27], exec, s[92:93]
	s_or_b64 s[88:89], s[26:27], s[88:89]
	s_andn2_b64 s[26:27], s[90:91], exec
	s_and_b64 s[44:45], s[94:95], exec
	s_or_b64 s[90:91], s[26:27], s[44:45]
	s_andn2_b64 exec, exec, s[88:89]
	s_cbranch_execz .LBB8_69
.LBB8_65:                               ;   Parent Loop BB8_47 Depth=1
                                        ;     Parent Loop BB8_57 Depth=2
                                        ; =>    This Inner Loop Header: Depth=3
	s_sleep 1
	s_waitcnt vmcnt(0) lgkmcnt(0)
	flat_load_dwordx2 v[46:47], v[40:41] glc
	s_or_b64 s[94:95], s[94:95], exec
	s_or_b64 s[92:93], s[92:93], exec
                                        ; implicit-def: $vgpr0
	s_and_saveexec_b64 s[30:31], vcc
	s_cbranch_execz .LBB8_64
; %bb.66:                               ;   in Loop: Header=BB8_65 Depth=3
	s_cmpk_lt_i32 s75, 0x270f
	s_cselect_b64 s[38:39], -1, 0
	s_cmpk_gt_i32 s75, 0x270e
	s_mov_b64 s[34:35], -1
	s_cbranch_scc0 .LBB8_68
; %bb.67:                               ;   in Loop: Header=BB8_65 Depth=3
	s_trap 2
	ds_read_b64 v[0:1], v0
	s_andn2_b64 s[44:45], s[38:39], exec
	s_mov_b32 s75, 0
	s_mov_b64 s[36:37], 0
	s_waitcnt vmcnt(0) lgkmcnt(0)
	flat_load_dword v0, v[0:1] glc
	s_waitcnt vmcnt(0) lgkmcnt(0)
	buffer_wbinvl1_vol
	v_cmp_eq_u32_e64 s[26:27], 0, v0
	s_and_b64 s[26:27], s[26:27], exec
	s_or_b64 s[38:39], s[44:45], s[26:27]
	s_and_saveexec_b64 s[48:49], s[38:39]
	s_cbranch_execz .LBB8_63
	s_branch .LBB8_62
.LBB8_68:                               ;   in Loop: Header=BB8_65 Depth=3
	s_add_i32 s75, s75, 1
	s_mov_b64 s[36:37], -1
                                        ; implicit-def: $vgpr0
	s_and_saveexec_b64 s[48:49], s[38:39]
	s_cbranch_execz .LBB8_63
	s_branch .LBB8_62
.LBB8_69:                               ;   in Loop: Header=BB8_57 Depth=2
	s_or_b64 exec, exec, s[88:89]
	s_xor_b64 s[26:27], s[90:91], -1
	s_and_saveexec_b64 s[44:45], s[26:27]
	s_xor_b64 s[26:27], exec, s[44:45]
	s_cbranch_execz .LBB8_71
; %bb.70:                               ;   in Loop: Header=BB8_57 Depth=2
	s_waitcnt lgkmcnt(0)
	ds_write_b32 v0, v0
	s_trap 2
	buffer_load_dword v0, off, s[0:3], s33 offset:132 ; 4-byte Folded Reload
	s_waitcnt vmcnt(0)
	v_or_b32_e32 v0, 64, v0
	buffer_store_dword v0, off, s[0:3], s33 offset:132 ; 4-byte Folded Spill
.LBB8_71:                               ;   in Loop: Header=BB8_57 Depth=2
	s_or_b64 exec, exec, s[26:27]
.LBB8_72:                               ;   in Loop: Header=BB8_57 Depth=2
	s_or_b64 exec, exec, s[78:79]
	;;#ASMSTART
	s_wakeup
	;;#ASMEND
	buffer_load_dword v0, off, s[0:3], s33 offset:132 ; 4-byte Folded Reload
	s_mov_b64 s[26:27], -1
                                        ; implicit-def: $vgpr8_vgpr9
	s_waitcnt vmcnt(0)
	v_and_b32_e32 v0, 0x100, v0
	v_cmp_ne_u32_e32 vcc, 0, v0
	buffer_load_dword v0, off, s[0:3], s33 offset:160 ; 4-byte Folded Reload
	buffer_load_dword v1, off, s[0:3], s33 offset:164 ; 4-byte Folded Reload
	s_waitcnt vmcnt(0)
	v_and_b32_e32 v0, 7, v0
	s_and_saveexec_b64 s[78:79], vcc
	s_cbranch_execz .LBB8_76
; %bb.73:                               ;   in Loop: Header=BB8_57 Depth=2
	buffer_load_dword v8, off, s[0:3], s33 offset:216 ; 4-byte Folded Reload
	buffer_load_dword v9, off, s[0:3], s33 offset:220 ; 4-byte Folded Reload
	buffer_load_dword v10, off, s[0:3], s33 offset:224 ; 4-byte Folded Reload
	buffer_load_dword v11, off, s[0:3], s33 offset:228 ; 4-byte Folded Reload
	v_ashrrev_i32_e32 v49, 31, v48
	s_waitcnt vmcnt(0)
	v_mad_u64_u32 v[3:4], s[26:27], v0, 24, v[8:9]
	v_lshlrev_b64 v[8:9], 1, v[48:49]
	flat_load_dword v1, v[3:4]
	s_nop 0
	flat_store_dwordx2 v[3:4], v[8:9] offset:8
                                        ; implicit-def: $vgpr8_vgpr9
	s_waitcnt vmcnt(0) lgkmcnt(0)
	v_cmp_ne_u32_e32 vcc, 1, v1
	v_cmp_eq_u32_e64 s[26:27], 1, v1
	s_and_saveexec_b64 s[88:89], s[26:27]
	s_cbranch_execz .LBB8_75
; %bb.74:                               ;   in Loop: Header=BB8_57 Depth=2
	flat_load_dword v3, v[3:4] offset:4 glc
	s_waitcnt vmcnt(0) lgkmcnt(0)
	v_ashrrev_i32_e32 v4, 31, v3
	v_lshrrev_b64 v[8:9], 1, v[3:4]
.LBB8_75:                               ;   in Loop: Header=BB8_57 Depth=2
	s_or_b64 exec, exec, s[88:89]
	s_orn2_b64 s[26:27], vcc, exec
.LBB8_76:                               ;   in Loop: Header=BB8_57 Depth=2
	s_or_b64 exec, exec, s[78:79]
	s_and_saveexec_b64 s[78:79], s[26:27]
	s_cbranch_execz .LBB8_78
; %bb.77:                               ;   in Loop: Header=BB8_57 Depth=2
	buffer_load_dword v1, off, s[0:3], s33 offset:256 ; 4-byte Folded Reload
	s_waitcnt vmcnt(0)
	v_mad_i64_i32 v[8:9], s[26:27], v0, v1, 0
.LBB8_78:                               ;   in Loop: Header=BB8_57 Depth=2
	s_or_b64 exec, exec, s[78:79]
	buffer_load_dword v3, off, s[0:3], s33 offset:208 ; 4-byte Folded Reload
	buffer_load_dword v4, off, s[0:3], s33 offset:212 ; 4-byte Folded Reload
	v_lshlrev_b64 v[0:1], 1, v[8:9]
	s_waitcnt vmcnt(0)
	v_add_co_u32_e32 v0, vcc, v3, v0
	v_addc_co_u32_e32 v1, vcc, v4, v1, vcc
	ds_write_b64 v0, v[0:1] offset:784
	buffer_load_dword v0, off, s[0:3], s33 offset:132 ; 4-byte Folded Reload
	s_waitcnt vmcnt(0)
	v_and_b32_e32 v0, 0x2000, v0
	v_cmp_ne_u32_e32 vcc, 0, v0
	s_and_saveexec_b64 s[26:27], vcc
	s_cbranch_execz .LBB8_80
; %bb.79:                               ;   in Loop: Header=BB8_57 Depth=2
	ds_read_b64 v[0:1], v0 offset:872
	s_waitcnt lgkmcnt(0)
	v_add_co_u32_e32 v0, vcc, 1, v0
	v_addc_co_u32_e32 v1, vcc, 0, v1, vcc
	ds_write_b64 v0, v[0:1] offset:872
.LBB8_80:                               ;   in Loop: Header=BB8_57 Depth=2
	s_or_b64 exec, exec, s[26:27]
	buffer_store_dword v6, off, s[0:3], s33 offset:160 ; 4-byte Folded Spill
	s_nop 0
	buffer_store_dword v7, off, s[0:3], s33 offset:164 ; 4-byte Folded Spill
.LBB8_81:                               ;   in Loop: Header=BB8_57 Depth=2
	s_or_b64 exec, exec, s[76:77]
	s_and_saveexec_b64 s[26:27], s[10:11]
	s_cbranch_execz .LBB8_100
; %bb.82:                               ;   in Loop: Header=BB8_57 Depth=2
	s_and_saveexec_b64 s[44:45], s[56:57]
	s_xor_b64 s[76:77], exec, s[44:45]
	s_cbranch_execz .LBB8_97
; %bb.83:                               ;   in Loop: Header=BB8_57 Depth=2
	s_and_saveexec_b64 s[78:79], s[16:17]
	s_cbranch_execz .LBB8_96
; %bb.84:                               ;   in Loop: Header=BB8_57 Depth=2
	s_mov_b64 s[90:91], exec
	v_mbcnt_lo_u32_b32 v0, s90, 0
	v_mbcnt_hi_u32_b32 v0, s91, v0
	v_cmp_eq_u32_e32 vcc, 0, v0
	s_waitcnt vmcnt(0) lgkmcnt(0)
	buffer_wbinvl1_vol
	s_and_saveexec_b64 s[88:89], vcc
	s_cbranch_execz .LBB8_86
; %bb.85:                               ;   in Loop: Header=BB8_57 Depth=2
	s_bcnt1_i32_b64 s44, s[90:91]
	v_mov_b32_e32 v0, s44
	v_mov_b32_e32 v1, v2
	ds_add_u64 v0, v[0:1]
	s_trap 2
.LBB8_86:                               ;   in Loop: Header=BB8_57 Depth=2
	s_or_b64 exec, exec, s[88:89]
	s_trap 2
	ds_read_b64 v[0:1], v0
	s_waitcnt lgkmcnt(0)
	buffer_load_dword v3, off, s[0:3], s33 offset:128 ; 4-byte Folded Reload
	buffer_load_dword v4, off, s[0:3], s33 offset:144 ; 4-byte Folded Reload
	;; [unrolled: 1-line block ×3, first 2 shown]
	s_waitcnt vmcnt(1)
	v_add_co_u32_e32 v4, vcc, v4, v3
	s_waitcnt vmcnt(0)
	v_addc_co_u32_e32 v5, vcc, 0, v5, vcc
	buffer_store_dword v4, off, s[0:3], s33 offset:144 ; 4-byte Folded Spill
	s_nop 0
	buffer_store_dword v5, off, s[0:3], s33 offset:148 ; 4-byte Folded Spill
	v_cmp_lt_u64_e32 vcc, v[0:1], v[4:5]
	s_and_saveexec_b64 s[88:89], vcc
	s_cbranch_execz .LBB8_95
; %bb.87:                               ;   in Loop: Header=BB8_57 Depth=2
	s_mov_b32 s44, 0
	s_mov_b64 s[90:91], 0
                                        ; implicit-def: $sgpr92_sgpr93
                                        ; implicit-def: $sgpr94_sgpr95
	s_branch .LBB8_89
.LBB8_88:                               ;   in Loop: Header=BB8_89 Depth=3
	s_or_b64 exec, exec, s[34:35]
	s_and_b64 vcc, exec, vcc
	s_or_b64 s[90:91], vcc, s[90:91]
	s_andn2_b64 s[92:93], s[92:93], exec
	s_and_b64 vcc, s[94:95], exec
	s_or_b64 s[92:93], s[92:93], vcc
	s_andn2_b64 exec, exec, s[90:91]
	s_cbranch_execz .LBB8_93
.LBB8_89:                               ;   Parent Loop BB8_47 Depth=1
                                        ;     Parent Loop BB8_57 Depth=2
                                        ; =>    This Inner Loop Header: Depth=3
	s_add_i32 s44, s44, 1
	s_cmpk_lg_i32 s44, 0x2710
	s_cselect_b64 s[30:31], -1, 0
	s_and_b64 vcc, exec, s[30:31]
	s_cbranch_vccz .LBB8_91
; %bb.90:                               ;   in Loop: Header=BB8_89 Depth=3
	s_mov_b64 vcc, -1
	s_or_b64 s[94:95], s[94:95], exec
	s_and_saveexec_b64 s[34:35], s[30:31]
	s_cbranch_execz .LBB8_88
	s_branch .LBB8_92
.LBB8_91:                               ;   in Loop: Header=BB8_89 Depth=3
	s_trap 2
	ds_read_b64 v[0:1], v0
	s_andn2_b64 s[30:31], s[30:31], exec
	s_mov_b32 s44, 0
	s_waitcnt vmcnt(0) lgkmcnt(0)
	flat_load_dword v0, v[0:1] glc
	s_waitcnt vmcnt(0) lgkmcnt(0)
	buffer_wbinvl1_vol
	v_cmp_eq_u32_e32 vcc, 0, v0
	s_and_b64 vcc, vcc, exec
	s_or_b64 s[30:31], s[30:31], vcc
	s_mov_b64 vcc, -1
	s_or_b64 s[94:95], s[94:95], exec
	s_and_saveexec_b64 s[34:35], s[30:31]
	s_cbranch_execz .LBB8_88
.LBB8_92:                               ;   in Loop: Header=BB8_89 Depth=3
	s_sleep 1
	s_trap 2
	ds_read_b64 v[0:1], v0
	s_waitcnt lgkmcnt(0)
	buffer_load_dword v3, off, s[0:3], s33 offset:144 ; 4-byte Folded Reload
	buffer_load_dword v4, off, s[0:3], s33 offset:148 ; 4-byte Folded Reload
	s_andn2_b64 s[94:95], s[94:95], exec
	s_waitcnt vmcnt(0)
	v_cmp_ge_u64_e32 vcc, v[0:1], v[3:4]
	s_orn2_b64 vcc, vcc, exec
	s_branch .LBB8_88
.LBB8_93:                               ;   in Loop: Header=BB8_57 Depth=2
	s_or_b64 exec, exec, s[90:91]
	s_and_saveexec_b64 s[44:45], s[92:93]
	s_xor_b64 s[44:45], exec, s[44:45]
	s_cbranch_execz .LBB8_95
; %bb.94:                               ;   in Loop: Header=BB8_57 Depth=2
	v_mov_b32_e32 v0, 1
	ds_write_b32 v0, v0
	s_trap 2
.LBB8_95:                               ;   in Loop: Header=BB8_57 Depth=2
	s_or_b64 exec, exec, s[88:89]
	;;#ASMSTART
	s_wakeup
	;;#ASMEND
.LBB8_96:                               ;   in Loop: Header=BB8_57 Depth=2
	s_or_b64 exec, exec, s[78:79]
.LBB8_97:                               ;   in Loop: Header=BB8_57 Depth=2
	s_andn2_saveexec_b64 s[76:77], s[76:77]
	s_cbranch_execz .LBB8_99
; %bb.98:                               ;   in Loop: Header=BB8_57 Depth=2
	s_waitcnt vmcnt(0) lgkmcnt(0)
	buffer_wbinvl1_vol
	s_barrier
.LBB8_99:                               ;   in Loop: Header=BB8_57 Depth=2
	s_or_b64 exec, exec, s[76:77]
.LBB8_100:                              ;   in Loop: Header=BB8_57 Depth=2
	s_or_b64 exec, exec, s[26:27]
	s_trap 2
	buffer_load_dword v1, off, s[0:3], s33 offset:132 ; 4-byte Folded Reload
	ds_read_b32 v0, v0
	s_xor_b64 s[26:27], s[6:7], -1
	s_waitcnt vmcnt(0)
	v_and_b32_e32 v1, 0x4000, v1
	v_cmp_ne_u32_e32 vcc, 0, v1
	s_and_b64 s[44:45], s[26:27], vcc
	s_and_saveexec_b64 s[26:27], s[44:45]
	s_cbranch_execz .LBB8_119
; %bb.101:                              ;   in Loop: Header=BB8_57 Depth=2
	s_and_saveexec_b64 s[44:45], s[56:57]
	s_xor_b64 s[76:77], exec, s[44:45]
	s_cbranch_execz .LBB8_116
; %bb.102:                              ;   in Loop: Header=BB8_57 Depth=2
	s_and_saveexec_b64 s[78:79], s[16:17]
	s_cbranch_execz .LBB8_115
; %bb.103:                              ;   in Loop: Header=BB8_57 Depth=2
	s_mov_b64 s[90:91], exec
	v_mbcnt_lo_u32_b32 v1, s90, 0
	v_mbcnt_hi_u32_b32 v1, s91, v1
	v_cmp_eq_u32_e32 vcc, 0, v1
	s_waitcnt lgkmcnt(0)
	buffer_wbinvl1_vol
	s_and_saveexec_b64 s[88:89], vcc
	s_cbranch_execz .LBB8_105
; %bb.104:                              ;   in Loop: Header=BB8_57 Depth=2
	s_bcnt1_i32_b64 s44, s[90:91]
	v_mov_b32_e32 v3, s44
	v_mov_b32_e32 v4, v2
	ds_add_u64 v0, v[3:4]
	s_trap 2
.LBB8_105:                              ;   in Loop: Header=BB8_57 Depth=2
	s_or_b64 exec, exec, s[88:89]
	s_trap 2
	ds_read_b64 v[3:4], v0
	s_waitcnt lgkmcnt(0)
	buffer_load_dword v1, off, s[0:3], s33 offset:128 ; 4-byte Folded Reload
	buffer_load_dword v5, off, s[0:3], s33 offset:144 ; 4-byte Folded Reload
	;; [unrolled: 1-line block ×3, first 2 shown]
	s_waitcnt vmcnt(1)
	v_add_co_u32_e32 v5, vcc, v5, v1
	s_waitcnt vmcnt(0)
	v_addc_co_u32_e32 v6, vcc, 0, v6, vcc
	buffer_store_dword v5, off, s[0:3], s33 offset:144 ; 4-byte Folded Spill
	s_nop 0
	buffer_store_dword v6, off, s[0:3], s33 offset:148 ; 4-byte Folded Spill
	v_cmp_lt_u64_e32 vcc, v[3:4], v[5:6]
	s_and_saveexec_b64 s[88:89], vcc
	s_cbranch_execz .LBB8_114
; %bb.106:                              ;   in Loop: Header=BB8_57 Depth=2
	s_mov_b32 s44, 0
	s_mov_b64 s[90:91], 0
                                        ; implicit-def: $sgpr92_sgpr93
                                        ; implicit-def: $sgpr94_sgpr95
	s_branch .LBB8_108
.LBB8_107:                              ;   in Loop: Header=BB8_108 Depth=3
	s_or_b64 exec, exec, s[34:35]
	s_and_b64 vcc, exec, vcc
	s_or_b64 s[90:91], vcc, s[90:91]
	s_andn2_b64 s[92:93], s[92:93], exec
	s_and_b64 vcc, s[94:95], exec
	s_or_b64 s[92:93], s[92:93], vcc
	s_andn2_b64 exec, exec, s[90:91]
	s_cbranch_execz .LBB8_112
.LBB8_108:                              ;   Parent Loop BB8_47 Depth=1
                                        ;     Parent Loop BB8_57 Depth=2
                                        ; =>    This Inner Loop Header: Depth=3
	s_add_i32 s44, s44, 1
	s_cmpk_lg_i32 s44, 0x2710
	s_cselect_b64 s[30:31], -1, 0
	s_and_b64 vcc, exec, s[30:31]
	s_cbranch_vccz .LBB8_110
; %bb.109:                              ;   in Loop: Header=BB8_108 Depth=3
	s_mov_b64 vcc, -1
	s_or_b64 s[94:95], s[94:95], exec
	s_and_saveexec_b64 s[34:35], s[30:31]
	s_cbranch_execz .LBB8_107
	s_branch .LBB8_111
.LBB8_110:                              ;   in Loop: Header=BB8_108 Depth=3
	s_trap 2
	ds_read_b64 v[3:4], v0
	s_andn2_b64 s[30:31], s[30:31], exec
	s_mov_b32 s44, 0
	s_waitcnt vmcnt(0) lgkmcnt(0)
	flat_load_dword v1, v[3:4] glc
	s_waitcnt vmcnt(0) lgkmcnt(0)
	buffer_wbinvl1_vol
	v_cmp_eq_u32_e32 vcc, 0, v1
	s_and_b64 vcc, vcc, exec
	s_or_b64 s[30:31], s[30:31], vcc
	s_mov_b64 vcc, -1
	s_or_b64 s[94:95], s[94:95], exec
	s_and_saveexec_b64 s[34:35], s[30:31]
	s_cbranch_execz .LBB8_107
.LBB8_111:                              ;   in Loop: Header=BB8_108 Depth=3
	s_sleep 1
	s_trap 2
	ds_read_b64 v[3:4], v0
	s_waitcnt lgkmcnt(0)
	buffer_load_dword v5, off, s[0:3], s33 offset:144 ; 4-byte Folded Reload
	buffer_load_dword v6, off, s[0:3], s33 offset:148 ; 4-byte Folded Reload
	s_andn2_b64 s[94:95], s[94:95], exec
	s_waitcnt vmcnt(0)
	v_cmp_ge_u64_e32 vcc, v[3:4], v[5:6]
	s_orn2_b64 vcc, vcc, exec
	s_branch .LBB8_107
.LBB8_112:                              ;   in Loop: Header=BB8_57 Depth=2
	s_or_b64 exec, exec, s[90:91]
	s_and_saveexec_b64 s[44:45], s[92:93]
	s_xor_b64 s[44:45], exec, s[44:45]
	s_cbranch_execz .LBB8_114
; %bb.113:                              ;   in Loop: Header=BB8_57 Depth=2
	v_mov_b32_e32 v1, 1
	ds_write_b32 v0, v1
	s_trap 2
.LBB8_114:                              ;   in Loop: Header=BB8_57 Depth=2
	s_or_b64 exec, exec, s[88:89]
	;;#ASMSTART
	s_wakeup
	;;#ASMEND
.LBB8_115:                              ;   in Loop: Header=BB8_57 Depth=2
	s_or_b64 exec, exec, s[78:79]
.LBB8_116:                              ;   in Loop: Header=BB8_57 Depth=2
	s_andn2_saveexec_b64 s[76:77], s[76:77]
	s_cbranch_execz .LBB8_118
; %bb.117:                              ;   in Loop: Header=BB8_57 Depth=2
	s_waitcnt vmcnt(0) lgkmcnt(0)
	buffer_wbinvl1_vol
	s_barrier
.LBB8_118:                              ;   in Loop: Header=BB8_57 Depth=2
	s_or_b64 exec, exec, s[76:77]
.LBB8_119:                              ;   in Loop: Header=BB8_57 Depth=2
	s_or_b64 exec, exec, s[26:27]
	s_trap 2
	s_waitcnt lgkmcnt(0)
	ds_read_b64 v[42:43], v0
	s_waitcnt lgkmcnt(0)
	v_cmp_eq_u64_e32 vcc, 0, v[42:43]
	s_cbranch_vccnz .LBB8_127
; %bb.120:                              ;   in Loop: Header=BB8_57 Depth=2
	s_trap 2
	ds_read_b64 v[7:8], v0
	s_waitcnt lgkmcnt(0)
	v_cmp_eq_u64_e32 vcc, 0, v[7:8]
	s_cbranch_vccnz .LBB8_127
; %bb.121:                              ;   in Loop: Header=BB8_57 Depth=2
	s_mov_b64 s[76:77], -1
	s_and_saveexec_b64 s[26:27], s[18:19]
	s_cbranch_execz .LBB8_123
; %bb.122:                              ;   in Loop: Header=BB8_57 Depth=2
	ds_read_b32 v1, v0 offset:720
	s_waitcnt lgkmcnt(0)
	v_and_b32_e32 v1, 15, v1
	v_cmp_eq_u32_e32 vcc, 0, v1
	s_orn2_b64 s[76:77], vcc, exec
.LBB8_123:                              ;   in Loop: Header=BB8_57 Depth=2
	s_or_b64 exec, exec, s[26:27]
	s_and_saveexec_b64 s[26:27], s[20:21]
	s_cbranch_execz .LBB8_125
; %bb.124:                              ;   in Loop: Header=BB8_57 Depth=2
	ds_read_b32 v1, v0 offset:784
	s_waitcnt lgkmcnt(0)
	v_and_b32_e32 v1, 15, v1
	v_cmp_eq_u32_e32 vcc, 0, v1
	s_and_b64 s[44:45], s[76:77], vcc
	s_andn2_b64 s[76:77], s[76:77], exec
	s_and_b64 s[44:45], s[44:45], exec
	s_or_b64 s[76:77], s[76:77], s[44:45]
.LBB8_125:                              ;   in Loop: Header=BB8_57 Depth=2
	s_or_b64 exec, exec, s[26:27]
	s_xor_b64 s[44:45], s[76:77], -1
	v_cmp_eq_u32_e64 s[26:27], 0, v0
	v_cndmask_b32_e64 v0, 0, 1, s[44:45]
	s_mov_b64 s[78:79], -1
	v_cmp_ne_u32_e32 vcc, 0, v0
	s_cbranch_vccz .LBB8_128
; %bb.126:                              ;   in Loop: Header=BB8_57 Depth=2
	s_mov_b64 s[78:79], 0
	s_mov_b64 s[76:77], -1
	s_branch .LBB8_129
.LBB8_127:                              ;   in Loop: Header=BB8_57 Depth=2
	s_mov_b64 s[26:27], 0
	s_and_saveexec_b64 s[76:77], s[10:11]
	s_cbranch_execnz .LBB8_767
	s_branch .LBB8_785
.LBB8_128:                              ;   in Loop: Header=BB8_57 Depth=2
	s_mov_b64 s[76:77], 0
.LBB8_129:                              ;   in Loop: Header=BB8_57 Depth=2
	v_cndmask_b32_e64 v49, 0, v48, s[26:27]
	v_lshlrev_b32_e32 v29, 1, v49
	s_andn2_b64 vcc, exec, s[78:79]
	v_mov_b32_e32 v4, 0
	s_cbranch_vccnz .LBB8_393
; %bb.130:                              ;   in Loop: Header=BB8_57 Depth=2
	v_ashrrev_i32_e32 v0, 31, v29
	v_lshrrev_b32_e32 v0, 20, v0
	v_add_u32_e32 v0, v29, v0
	v_ashrrev_i32_e32 v1, 12, v0
	buffer_load_dword v0, off, s[0:3], s33 offset:308 ; 4-byte Folded Reload
	s_mov_b64 s[78:79], 0
	buffer_store_dword v29, off, s[0:3], s33 offset:328 ; 4-byte Folded Spill
	buffer_store_dword v1, off, s[0:3], s33 offset:344 ; 4-byte Folded Spill
                                        ; implicit-def: $vgpr32_vgpr33
                                        ; implicit-def: $vgpr16_vgpr17
                                        ; implicit-def: $vgpr12_vgpr13
	s_waitcnt vmcnt(2)
	v_sub_u32_e32 v29, v1, v0
	buffer_load_dword v0, off, s[0:3], s33 offset:352 ; 4-byte Folded Reload
	s_waitcnt vmcnt(0)
	v_add_co_u32_e32 v44, vcc, v7, v0
	buffer_store_dword v7, off, s[0:3], s33 offset:336 ; 4-byte Folded Spill
	s_nop 0
	buffer_store_dword v8, off, s[0:3], s33 offset:340 ; 4-byte Folded Spill
	v_addc_co_u32_e32 v45, vcc, 0, v8, vcc
	v_cmp_lt_i32_e32 vcc, 0, v29
                                        ; implicit-def: $vgpr8_vgpr9
	s_and_saveexec_b64 s[26:27], vcc
	s_cbranch_execz .LBB8_395
; %bb.131:                              ;   in Loop: Header=BB8_57 Depth=2
	buffer_store_dword v49, off, s[0:3], s33 offset:388 ; 4-byte Folded Spill
	buffer_store_dword v50, off, s[0:3], s33 offset:380 ; 4-byte Folded Spill
	s_nop 0
	buffer_store_dword v51, off, s[0:3], s33 offset:384 ; 4-byte Folded Spill
	buffer_store_dword v48, off, s[0:3], s33 offset:372 ; 4-byte Folded Spill
	s_nop 0
	buffer_store_dword v49, off, s[0:3], s33 offset:376 ; 4-byte Folded Spill
	s_trap 2
	buffer_load_dword v1, off, s[0:3], s33 offset:352 ; 4-byte Folded Reload
	ds_read_b32 v0, v0
	s_mov_b64 s[90:91], 0
                                        ; implicit-def: $sgpr88_sgpr89
                                        ; implicit-def: $vgpr32_vgpr33
                                        ; implicit-def: $vgpr16_vgpr17
                                        ; implicit-def: $vgpr12_vgpr13
                                        ; implicit-def: $vgpr8_vgpr9
	s_waitcnt vmcnt(0)
	v_add_co_u32_e32 v6, vcc, v42, v1
	buffer_store_dword v42, off, s[0:3], s33 offset:396 ; 4-byte Folded Spill
	s_nop 0
	buffer_store_dword v43, off, s[0:3], s33 offset:400 ; 4-byte Folded Spill
	s_waitcnt lgkmcnt(0)
	v_lshlrev_b32_e32 v42, 16, v0
	v_addc_co_u32_e32 v7, vcc, 0, v43, vcc
	s_branch .LBB8_133
.LBB8_132:                              ;   in Loop: Header=BB8_133 Depth=3
	s_or_b64 exec, exec, s[92:93]
	v_lshrrev_b32_e32 v30, 16, v30
	v_and_or_b32 v49, v25, s97, v30
	v_lshrrev_b32_e32 v25, 16, v59
	v_and_or_b32 v48, v24, s97, v25
	;; [unrolled: 2-line block ×8, first 2 shown]
	buffer_load_dword v0, off, s[0:3], s33 offset:276 ; 4-byte Folded Reload
	s_waitcnt vmcnt(0)
	v_lshrrev_b32_e32 v0, 16, v0
	v_and_or_b32 v57, v4, s97, v0
	buffer_load_dword v0, off, s[0:3], s33 offset:240 ; 4-byte Folded Reload
	s_waitcnt vmcnt(0)
	v_lshrrev_b32_e32 v0, 16, v0
	v_and_or_b32 v56, v56, s97, v0
	;; [unrolled: 4-line block ×4, first 2 shown]
	v_lshrrev_b32_e32 v0, 16, v28
	v_and_or_b32 v21, v21, s97, v0
	v_lshrrev_b32_e32 v0, 16, v27
	v_and_or_b32 v20, v20, s97, v0
	;; [unrolled: 2-line block ×4, first 2 shown]
	global_store_dwordx4 v[44:45], v[56:59], off glc slc
	global_store_dwordx4 v[44:45], v[36:39], off offset:1024 glc slc
	global_store_dwordx4 v[44:45], v[48:51], off offset:2048 glc slc
	;; [unrolled: 1-line block ×3, first 2 shown]
	buffer_load_dword v3, off, s[0:3], s33 offset:260 ; 4-byte Folded Reload
	buffer_load_dword v4, off, s[0:3], s33 offset:264 ; 4-byte Folded Reload
	s_waitcnt vmcnt(1)
	v_cndmask_b32_e64 v1, 0, v3, s[90:91]
	s_waitcnt vmcnt(0)
	v_cndmask_b32_e64 v0, 0, v4, s[90:91]
	v_add_co_u32_e32 v6, vcc, v6, v1
	v_addc_co_u32_e32 v7, vcc, v7, v0, vcc
	buffer_load_dword v0, off, s[0:3], s33 offset:204 ; 4-byte Folded Reload
	buffer_load_dword v3, off, s[0:3], s33 offset:200 ; 4-byte Folded Reload
	v_mov_b32_e32 v1, 0x1000
	s_waitcnt vmcnt(1)
	v_cndmask_b32_e64 v0, 0, v0, s[90:91]
	s_waitcnt vmcnt(0)
	v_cndmask_b32_e64 v1, v1, v3, s[90:91]
	v_add_co_u32_e32 v44, vcc, v44, v1
	v_addc_co_u32_e32 v45, vcc, v45, v0, vcc
	buffer_load_dword v0, off, s[0:3], s33 offset:128 ; 4-byte Folded Reload
	s_waitcnt vmcnt(0)
	v_cndmask_b32_e64 v0, 0, v0, s[90:91]
	v_sub_u32_e32 v29, v29, v0
	v_cmp_gt_i32_e32 vcc, 1, v29
	s_or_b64 s[78:79], vcc, s[78:79]
	s_andn2_b64 s[44:45], s[88:89], exec
	s_and_b64 s[88:89], s[90:91], exec
	s_or_b64 s[88:89], s[44:45], s[88:89]
	s_andn2_b64 exec, exec, s[78:79]
	s_cbranch_execz .LBB8_394
.LBB8_133:                              ;   Parent Loop BB8_47 Depth=1
                                        ;     Parent Loop BB8_57 Depth=2
                                        ; =>    This Inner Loop Header: Depth=3
	global_load_dwordx4 v[48:51], v[6:7], off glc slc
	global_load_dwordx4 v[36:39], v[6:7], off offset:1024 glc slc
	global_load_dwordx4 v[24:27], v[6:7], off offset:2048 glc slc
	;; [unrolled: 1-line block ×3, first 2 shown]
	s_and_saveexec_b64 s[92:93], s[90:91]
	s_cbranch_execz .LBB8_263
; %bb.134:                              ;   in Loop: Header=BB8_133 Depth=3
	v_lshlrev_b32_e32 v0, 16, v32
	v_mul_f32_e32 v0, v42, v0
	v_and_b32_e32 v1, 0x7f800000, v0
	v_cmp_ne_u32_e32 vcc, s87, v1
                                        ; implicit-def: $vgpr56
	s_and_saveexec_b64 s[44:45], vcc
	s_xor_b64 s[90:91], exec, s[44:45]
; %bb.135:                              ;   in Loop: Header=BB8_133 Depth=3
	v_bfe_u32 v1, v0, 16, 1
	v_add3_u32 v56, v0, v1, s96
                                        ; implicit-def: $vgpr0
; %bb.136:                              ;   in Loop: Header=BB8_133 Depth=3
	s_andn2_saveexec_b64 s[90:91], s[90:91]
; %bb.137:                              ;   in Loop: Header=BB8_133 Depth=3
	v_or_b32_e32 v1, 0x10000, v0
	v_cmp_eq_u32_sdwa vcc, v0, v2 src0_sel:WORD_0 src1_sel:DWORD
	v_cndmask_b32_e32 v56, v1, v0, vcc
; %bb.138:                              ;   in Loop: Header=BB8_133 Depth=3
	s_or_b64 exec, exec, s[90:91]
	v_and_b32_e32 v0, 0xffff0000, v32
	v_mul_f32_e32 v0, v42, v0
	v_and_b32_e32 v1, 0x7f800000, v0
	v_cmp_ne_u32_e32 vcc, s87, v1
                                        ; implicit-def: $vgpr32
	s_and_saveexec_b64 s[44:45], vcc
	s_xor_b64 s[90:91], exec, s[44:45]
; %bb.139:                              ;   in Loop: Header=BB8_133 Depth=3
	v_bfe_u32 v1, v0, 16, 1
	v_add3_u32 v32, v0, v1, s96
                                        ; implicit-def: $vgpr0
; %bb.140:                              ;   in Loop: Header=BB8_133 Depth=3
	s_andn2_saveexec_b64 s[90:91], s[90:91]
; %bb.141:                              ;   in Loop: Header=BB8_133 Depth=3
	v_or_b32_e32 v1, 0x10000, v0
	v_cmp_eq_u32_sdwa vcc, v0, v2 src0_sel:WORD_0 src1_sel:DWORD
	v_cndmask_b32_e32 v32, v1, v0, vcc
; %bb.142:                              ;   in Loop: Header=BB8_133 Depth=3
	s_or_b64 exec, exec, s[90:91]
	v_lshlrev_b32_e32 v0, 16, v33
	v_mul_f32_e32 v0, v42, v0
	v_and_b32_e32 v1, 0x7f800000, v0
	v_cmp_ne_u32_e32 vcc, s87, v1
                                        ; implicit-def: $vgpr4
	s_and_saveexec_b64 s[44:45], vcc
	s_xor_b64 s[90:91], exec, s[44:45]
; %bb.143:                              ;   in Loop: Header=BB8_133 Depth=3
	v_bfe_u32 v1, v0, 16, 1
	v_add3_u32 v4, v0, v1, s96
                                        ; implicit-def: $vgpr0
; %bb.144:                              ;   in Loop: Header=BB8_133 Depth=3
	s_andn2_saveexec_b64 s[90:91], s[90:91]
; %bb.145:                              ;   in Loop: Header=BB8_133 Depth=3
	v_or_b32_e32 v1, 0x10000, v0
	v_cmp_eq_u32_sdwa vcc, v0, v2 src0_sel:WORD_0 src1_sel:DWORD
	v_cndmask_b32_e32 v4, v1, v0, vcc
; %bb.146:                              ;   in Loop: Header=BB8_133 Depth=3
	s_or_b64 exec, exec, s[90:91]
	v_and_b32_e32 v0, 0xffff0000, v33
	v_mul_f32_e32 v0, v42, v0
	v_and_b32_e32 v1, 0x7f800000, v0
	v_cmp_ne_u32_e32 vcc, s87, v1
                                        ; implicit-def: $vgpr33
	s_and_saveexec_b64 s[44:45], vcc
	s_xor_b64 s[90:91], exec, s[44:45]
; %bb.147:                              ;   in Loop: Header=BB8_133 Depth=3
	v_bfe_u32 v1, v0, 16, 1
	v_add3_u32 v33, v0, v1, s96
                                        ; implicit-def: $vgpr0
; %bb.148:                              ;   in Loop: Header=BB8_133 Depth=3
	s_andn2_saveexec_b64 s[90:91], s[90:91]
; %bb.149:                              ;   in Loop: Header=BB8_133 Depth=3
	v_or_b32_e32 v1, 0x10000, v0
	v_cmp_eq_u32_sdwa vcc, v0, v2 src0_sel:WORD_0 src1_sel:DWORD
	v_cndmask_b32_e32 v33, v1, v0, vcc
; %bb.150:                              ;   in Loop: Header=BB8_133 Depth=3
	s_or_b64 exec, exec, s[90:91]
	v_lshlrev_b32_e32 v0, 16, v34
	v_mul_f32_e32 v0, v42, v0
	v_and_b32_e32 v1, 0x7f800000, v0
	v_cmp_ne_u32_e32 vcc, s87, v1
                                        ; implicit-def: $vgpr1
	s_and_saveexec_b64 s[44:45], vcc
	s_xor_b64 s[90:91], exec, s[44:45]
; %bb.151:                              ;   in Loop: Header=BB8_133 Depth=3
	v_bfe_u32 v1, v0, 16, 1
	v_add3_u32 v1, v0, v1, s96
                                        ; implicit-def: $vgpr0
; %bb.152:                              ;   in Loop: Header=BB8_133 Depth=3
	s_andn2_saveexec_b64 s[90:91], s[90:91]
; %bb.153:                              ;   in Loop: Header=BB8_133 Depth=3
	v_or_b32_e32 v1, 0x10000, v0
	v_cmp_eq_u32_sdwa vcc, v0, v2 src0_sel:WORD_0 src1_sel:DWORD
	v_cndmask_b32_e32 v1, v1, v0, vcc
; %bb.154:                              ;   in Loop: Header=BB8_133 Depth=3
	s_or_b64 exec, exec, s[90:91]
	v_and_b32_e32 v0, 0xffff0000, v34
	v_mul_f32_e32 v0, v42, v0
	v_and_b32_e32 v3, 0x7f800000, v0
	v_cmp_ne_u32_e32 vcc, s87, v3
                                        ; implicit-def: $vgpr34
	s_and_saveexec_b64 s[44:45], vcc
	s_xor_b64 s[90:91], exec, s[44:45]
; %bb.155:                              ;   in Loop: Header=BB8_133 Depth=3
	v_bfe_u32 v3, v0, 16, 1
	v_add3_u32 v34, v0, v3, s96
                                        ; implicit-def: $vgpr0
; %bb.156:                              ;   in Loop: Header=BB8_133 Depth=3
	s_andn2_saveexec_b64 s[90:91], s[90:91]
; %bb.157:                              ;   in Loop: Header=BB8_133 Depth=3
	v_or_b32_e32 v3, 0x10000, v0
	v_cmp_eq_u32_sdwa vcc, v0, v2 src0_sel:WORD_0 src1_sel:DWORD
	v_cndmask_b32_e32 v34, v3, v0, vcc
; %bb.158:                              ;   in Loop: Header=BB8_133 Depth=3
	s_or_b64 exec, exec, s[90:91]
	v_lshlrev_b32_e32 v0, 16, v35
	v_mul_f32_e32 v0, v42, v0
	v_and_b32_e32 v3, 0x7f800000, v0
	v_cmp_ne_u32_e32 vcc, s87, v3
                                        ; implicit-def: $vgpr3
	s_and_saveexec_b64 s[44:45], vcc
	s_xor_b64 s[90:91], exec, s[44:45]
; %bb.159:                              ;   in Loop: Header=BB8_133 Depth=3
	v_bfe_u32 v3, v0, 16, 1
	v_add3_u32 v3, v0, v3, s96
                                        ; implicit-def: $vgpr0
; %bb.160:                              ;   in Loop: Header=BB8_133 Depth=3
	s_andn2_saveexec_b64 s[90:91], s[90:91]
; %bb.161:                              ;   in Loop: Header=BB8_133 Depth=3
	v_or_b32_e32 v3, 0x10000, v0
	v_cmp_eq_u32_sdwa vcc, v0, v2 src0_sel:WORD_0 src1_sel:DWORD
	v_cndmask_b32_e32 v3, v3, v0, vcc
; %bb.162:                              ;   in Loop: Header=BB8_133 Depth=3
	s_or_b64 exec, exec, s[90:91]
	v_and_b32_e32 v0, 0xffff0000, v35
	v_mul_f32_e32 v0, v42, v0
	v_and_b32_e32 v5, 0x7f800000, v0
	v_cmp_ne_u32_e32 vcc, s87, v5
                                        ; implicit-def: $vgpr35
	s_and_saveexec_b64 s[44:45], vcc
	s_xor_b64 s[90:91], exec, s[44:45]
; %bb.163:                              ;   in Loop: Header=BB8_133 Depth=3
	v_bfe_u32 v5, v0, 16, 1
	v_add3_u32 v35, v0, v5, s96
                                        ; implicit-def: $vgpr0
; %bb.164:                              ;   in Loop: Header=BB8_133 Depth=3
	s_andn2_saveexec_b64 s[90:91], s[90:91]
; %bb.165:                              ;   in Loop: Header=BB8_133 Depth=3
	v_or_b32_e32 v5, 0x10000, v0
	v_cmp_eq_u32_sdwa vcc, v0, v2 src0_sel:WORD_0 src1_sel:DWORD
	v_cndmask_b32_e32 v35, v5, v0, vcc
; %bb.166:                              ;   in Loop: Header=BB8_133 Depth=3
	s_or_b64 exec, exec, s[90:91]
	v_lshlrev_b32_e32 v0, 16, v16
	v_mul_f32_e32 v0, v42, v0
	v_and_b32_e32 v5, 0x7f800000, v0
	v_cmp_ne_u32_e32 vcc, s87, v5
                                        ; implicit-def: $vgpr5
	s_and_saveexec_b64 s[44:45], vcc
	s_xor_b64 s[90:91], exec, s[44:45]
; %bb.167:                              ;   in Loop: Header=BB8_133 Depth=3
	v_bfe_u32 v5, v0, 16, 1
	v_add3_u32 v5, v0, v5, s96
                                        ; implicit-def: $vgpr0
; %bb.168:                              ;   in Loop: Header=BB8_133 Depth=3
	s_andn2_saveexec_b64 s[90:91], s[90:91]
; %bb.169:                              ;   in Loop: Header=BB8_133 Depth=3
	v_or_b32_e32 v5, 0x10000, v0
	v_cmp_eq_u32_sdwa vcc, v0, v2 src0_sel:WORD_0 src1_sel:DWORD
	v_cndmask_b32_e32 v5, v5, v0, vcc
; %bb.170:                              ;   in Loop: Header=BB8_133 Depth=3
	s_or_b64 exec, exec, s[90:91]
	v_and_b32_e32 v0, 0xffff0000, v16
	v_mul_f32_e32 v0, v42, v0
	v_and_b32_e32 v16, 0x7f800000, v0
	v_cmp_ne_u32_e32 vcc, s87, v16
                                        ; implicit-def: $vgpr16
	s_and_saveexec_b64 s[44:45], vcc
	s_xor_b64 s[90:91], exec, s[44:45]
; %bb.171:                              ;   in Loop: Header=BB8_133 Depth=3
	v_bfe_u32 v16, v0, 16, 1
	v_add3_u32 v16, v0, v16, s96
                                        ; implicit-def: $vgpr0
; %bb.172:                              ;   in Loop: Header=BB8_133 Depth=3
	s_andn2_saveexec_b64 s[90:91], s[90:91]
; %bb.173:                              ;   in Loop: Header=BB8_133 Depth=3
	v_or_b32_e32 v16, 0x10000, v0
	v_cmp_eq_u32_sdwa vcc, v0, v2 src0_sel:WORD_0 src1_sel:DWORD
	v_cndmask_b32_e32 v16, v16, v0, vcc
; %bb.174:                              ;   in Loop: Header=BB8_133 Depth=3
	s_or_b64 exec, exec, s[90:91]
	v_lshlrev_b32_e32 v0, 16, v17
	v_mul_f32_e32 v0, v42, v0
	v_and_b32_e32 v28, 0x7f800000, v0
	v_cmp_ne_u32_e32 vcc, s87, v28
                                        ; implicit-def: $vgpr60
	s_and_saveexec_b64 s[44:45], vcc
	s_xor_b64 s[90:91], exec, s[44:45]
; %bb.175:                              ;   in Loop: Header=BB8_133 Depth=3
	v_bfe_u32 v28, v0, 16, 1
	v_add3_u32 v60, v0, v28, s96
                                        ; implicit-def: $vgpr0
; %bb.176:                              ;   in Loop: Header=BB8_133 Depth=3
	s_andn2_saveexec_b64 s[90:91], s[90:91]
; %bb.177:                              ;   in Loop: Header=BB8_133 Depth=3
	v_or_b32_e32 v28, 0x10000, v0
	v_cmp_eq_u32_sdwa vcc, v0, v2 src0_sel:WORD_0 src1_sel:DWORD
	v_cndmask_b32_e32 v60, v28, v0, vcc
; %bb.178:                              ;   in Loop: Header=BB8_133 Depth=3
	s_or_b64 exec, exec, s[90:91]
	v_and_b32_e32 v0, 0xffff0000, v17
	v_mul_f32_e32 v0, v42, v0
	v_and_b32_e32 v17, 0x7f800000, v0
	v_cmp_ne_u32_e32 vcc, s87, v17
                                        ; implicit-def: $vgpr17
	s_and_saveexec_b64 s[44:45], vcc
	s_xor_b64 s[90:91], exec, s[44:45]
; %bb.179:                              ;   in Loop: Header=BB8_133 Depth=3
	v_bfe_u32 v17, v0, 16, 1
	v_add3_u32 v17, v0, v17, s96
                                        ; implicit-def: $vgpr0
; %bb.180:                              ;   in Loop: Header=BB8_133 Depth=3
	s_andn2_saveexec_b64 s[90:91], s[90:91]
; %bb.181:                              ;   in Loop: Header=BB8_133 Depth=3
	v_or_b32_e32 v17, 0x10000, v0
	v_cmp_eq_u32_sdwa vcc, v0, v2 src0_sel:WORD_0 src1_sel:DWORD
	v_cndmask_b32_e32 v17, v17, v0, vcc
; %bb.182:                              ;   in Loop: Header=BB8_133 Depth=3
	s_or_b64 exec, exec, s[90:91]
	v_lshlrev_b32_e32 v0, 16, v18
	v_mul_f32_e32 v0, v42, v0
	v_and_b32_e32 v28, 0x7f800000, v0
	v_cmp_ne_u32_e32 vcc, s87, v28
                                        ; implicit-def: $vgpr61
	s_and_saveexec_b64 s[44:45], vcc
	s_xor_b64 s[90:91], exec, s[44:45]
; %bb.183:                              ;   in Loop: Header=BB8_133 Depth=3
	v_bfe_u32 v28, v0, 16, 1
	v_add3_u32 v61, v0, v28, s96
                                        ; implicit-def: $vgpr0
; %bb.184:                              ;   in Loop: Header=BB8_133 Depth=3
	s_andn2_saveexec_b64 s[90:91], s[90:91]
; %bb.185:                              ;   in Loop: Header=BB8_133 Depth=3
	v_or_b32_e32 v28, 0x10000, v0
	v_cmp_eq_u32_sdwa vcc, v0, v2 src0_sel:WORD_0 src1_sel:DWORD
	v_cndmask_b32_e32 v61, v28, v0, vcc
; %bb.186:                              ;   in Loop: Header=BB8_133 Depth=3
	s_or_b64 exec, exec, s[90:91]
	v_and_b32_e32 v0, 0xffff0000, v18
	v_mul_f32_e32 v0, v42, v0
	v_and_b32_e32 v18, 0x7f800000, v0
	v_cmp_ne_u32_e32 vcc, s87, v18
                                        ; implicit-def: $vgpr18
	s_and_saveexec_b64 s[44:45], vcc
	s_xor_b64 s[90:91], exec, s[44:45]
; %bb.187:                              ;   in Loop: Header=BB8_133 Depth=3
	v_bfe_u32 v18, v0, 16, 1
	v_add3_u32 v18, v0, v18, s96
                                        ; implicit-def: $vgpr0
; %bb.188:                              ;   in Loop: Header=BB8_133 Depth=3
	s_andn2_saveexec_b64 s[90:91], s[90:91]
; %bb.189:                              ;   in Loop: Header=BB8_133 Depth=3
	v_or_b32_e32 v18, 0x10000, v0
	v_cmp_eq_u32_sdwa vcc, v0, v2 src0_sel:WORD_0 src1_sel:DWORD
	v_cndmask_b32_e32 v18, v18, v0, vcc
; %bb.190:                              ;   in Loop: Header=BB8_133 Depth=3
	s_or_b64 exec, exec, s[90:91]
	v_lshlrev_b32_e32 v0, 16, v19
	v_mul_f32_e32 v0, v42, v0
	v_and_b32_e32 v28, 0x7f800000, v0
	v_cmp_ne_u32_e32 vcc, s87, v28
                                        ; implicit-def: $vgpr58
	s_and_saveexec_b64 s[44:45], vcc
	s_xor_b64 s[90:91], exec, s[44:45]
; %bb.191:                              ;   in Loop: Header=BB8_133 Depth=3
	v_bfe_u32 v28, v0, 16, 1
	v_add3_u32 v58, v0, v28, s96
                                        ; implicit-def: $vgpr0
; %bb.192:                              ;   in Loop: Header=BB8_133 Depth=3
	s_andn2_saveexec_b64 s[90:91], s[90:91]
; %bb.193:                              ;   in Loop: Header=BB8_133 Depth=3
	v_or_b32_e32 v28, 0x10000, v0
	v_cmp_eq_u32_sdwa vcc, v0, v2 src0_sel:WORD_0 src1_sel:DWORD
	v_cndmask_b32_e32 v58, v28, v0, vcc
; %bb.194:                              ;   in Loop: Header=BB8_133 Depth=3
	s_or_b64 exec, exec, s[90:91]
	v_and_b32_e32 v0, 0xffff0000, v19
	v_mul_f32_e32 v0, v42, v0
	v_and_b32_e32 v19, 0x7f800000, v0
	v_cmp_ne_u32_e32 vcc, s87, v19
                                        ; implicit-def: $vgpr19
	s_and_saveexec_b64 s[44:45], vcc
	s_xor_b64 s[90:91], exec, s[44:45]
; %bb.195:                              ;   in Loop: Header=BB8_133 Depth=3
	v_bfe_u32 v19, v0, 16, 1
	v_add3_u32 v19, v0, v19, s96
                                        ; implicit-def: $vgpr0
; %bb.196:                              ;   in Loop: Header=BB8_133 Depth=3
	s_andn2_saveexec_b64 s[90:91], s[90:91]
; %bb.197:                              ;   in Loop: Header=BB8_133 Depth=3
	v_or_b32_e32 v19, 0x10000, v0
	v_cmp_eq_u32_sdwa vcc, v0, v2 src0_sel:WORD_0 src1_sel:DWORD
	v_cndmask_b32_e32 v19, v19, v0, vcc
; %bb.198:                              ;   in Loop: Header=BB8_133 Depth=3
	s_or_b64 exec, exec, s[90:91]
	v_lshlrev_b32_e32 v0, 16, v12
	v_mul_f32_e32 v0, v42, v0
	v_and_b32_e32 v28, 0x7f800000, v0
	v_cmp_ne_u32_e32 vcc, s87, v28
                                        ; implicit-def: $vgpr59
	s_and_saveexec_b64 s[44:45], vcc
	s_xor_b64 s[90:91], exec, s[44:45]
; %bb.199:                              ;   in Loop: Header=BB8_133 Depth=3
	v_bfe_u32 v28, v0, 16, 1
	v_add3_u32 v59, v0, v28, s96
                                        ; implicit-def: $vgpr0
; %bb.200:                              ;   in Loop: Header=BB8_133 Depth=3
	s_andn2_saveexec_b64 s[90:91], s[90:91]
; %bb.201:                              ;   in Loop: Header=BB8_133 Depth=3
	v_or_b32_e32 v28, 0x10000, v0
	v_cmp_eq_u32_sdwa vcc, v0, v2 src0_sel:WORD_0 src1_sel:DWORD
	v_cndmask_b32_e32 v59, v28, v0, vcc
; %bb.202:                              ;   in Loop: Header=BB8_133 Depth=3
	s_or_b64 exec, exec, s[90:91]
	v_and_b32_e32 v0, 0xffff0000, v12
	v_mul_f32_e32 v0, v42, v0
	v_and_b32_e32 v12, 0x7f800000, v0
	v_cmp_ne_u32_e32 vcc, s87, v12
                                        ; implicit-def: $vgpr12
	s_and_saveexec_b64 s[44:45], vcc
	s_xor_b64 s[90:91], exec, s[44:45]
; %bb.203:                              ;   in Loop: Header=BB8_133 Depth=3
	v_bfe_u32 v12, v0, 16, 1
	v_add3_u32 v12, v0, v12, s96
                                        ; implicit-def: $vgpr0
; %bb.204:                              ;   in Loop: Header=BB8_133 Depth=3
	s_andn2_saveexec_b64 s[90:91], s[90:91]
; %bb.205:                              ;   in Loop: Header=BB8_133 Depth=3
	v_or_b32_e32 v12, 0x10000, v0
	v_cmp_eq_u32_sdwa vcc, v0, v2 src0_sel:WORD_0 src1_sel:DWORD
	v_cndmask_b32_e32 v12, v12, v0, vcc
; %bb.206:                              ;   in Loop: Header=BB8_133 Depth=3
	s_or_b64 exec, exec, s[90:91]
	v_lshlrev_b32_e32 v0, 16, v13
	v_mul_f32_e32 v0, v42, v0
	v_and_b32_e32 v28, 0x7f800000, v0
	v_cmp_ne_u32_e32 vcc, s87, v28
                                        ; implicit-def: $vgpr30
	s_and_saveexec_b64 s[44:45], vcc
	s_xor_b64 s[90:91], exec, s[44:45]
; %bb.207:                              ;   in Loop: Header=BB8_133 Depth=3
	v_bfe_u32 v28, v0, 16, 1
	v_add3_u32 v30, v0, v28, s96
                                        ; implicit-def: $vgpr0
; %bb.208:                              ;   in Loop: Header=BB8_133 Depth=3
	s_andn2_saveexec_b64 s[90:91], s[90:91]
; %bb.209:                              ;   in Loop: Header=BB8_133 Depth=3
	v_or_b32_e32 v28, 0x10000, v0
	v_cmp_eq_u32_sdwa vcc, v0, v2 src0_sel:WORD_0 src1_sel:DWORD
	v_cndmask_b32_e32 v30, v28, v0, vcc
; %bb.210:                              ;   in Loop: Header=BB8_133 Depth=3
	s_or_b64 exec, exec, s[90:91]
	v_and_b32_e32 v0, 0xffff0000, v13
	v_mul_f32_e32 v0, v42, v0
	v_and_b32_e32 v13, 0x7f800000, v0
	v_cmp_ne_u32_e32 vcc, s87, v13
                                        ; implicit-def: $vgpr13
	s_and_saveexec_b64 s[44:45], vcc
	s_xor_b64 s[90:91], exec, s[44:45]
; %bb.211:                              ;   in Loop: Header=BB8_133 Depth=3
	v_bfe_u32 v13, v0, 16, 1
	v_add3_u32 v13, v0, v13, s96
                                        ; implicit-def: $vgpr0
; %bb.212:                              ;   in Loop: Header=BB8_133 Depth=3
	s_andn2_saveexec_b64 s[90:91], s[90:91]
; %bb.213:                              ;   in Loop: Header=BB8_133 Depth=3
	v_or_b32_e32 v13, 0x10000, v0
	v_cmp_eq_u32_sdwa vcc, v0, v2 src0_sel:WORD_0 src1_sel:DWORD
	v_cndmask_b32_e32 v13, v13, v0, vcc
; %bb.214:                              ;   in Loop: Header=BB8_133 Depth=3
	s_or_b64 exec, exec, s[90:91]
	v_lshlrev_b32_e32 v0, 16, v14
	v_mul_f32_e32 v0, v42, v0
	v_and_b32_e32 v28, 0x7f800000, v0
	v_cmp_ne_u32_e32 vcc, s87, v28
                                        ; implicit-def: $vgpr31
	s_and_saveexec_b64 s[44:45], vcc
	s_xor_b64 s[90:91], exec, s[44:45]
; %bb.215:                              ;   in Loop: Header=BB8_133 Depth=3
	v_bfe_u32 v28, v0, 16, 1
	v_add3_u32 v31, v0, v28, s96
                                        ; implicit-def: $vgpr0
; %bb.216:                              ;   in Loop: Header=BB8_133 Depth=3
	s_andn2_saveexec_b64 s[90:91], s[90:91]
; %bb.217:                              ;   in Loop: Header=BB8_133 Depth=3
	v_or_b32_e32 v28, 0x10000, v0
	v_cmp_eq_u32_sdwa vcc, v0, v2 src0_sel:WORD_0 src1_sel:DWORD
	v_cndmask_b32_e32 v31, v28, v0, vcc
; %bb.218:                              ;   in Loop: Header=BB8_133 Depth=3
	s_or_b64 exec, exec, s[90:91]
	v_and_b32_e32 v0, 0xffff0000, v14
	v_mul_f32_e32 v0, v42, v0
	v_and_b32_e32 v14, 0x7f800000, v0
	v_cmp_ne_u32_e32 vcc, s87, v14
                                        ; implicit-def: $vgpr14
	s_and_saveexec_b64 s[44:45], vcc
	s_xor_b64 s[90:91], exec, s[44:45]
; %bb.219:                              ;   in Loop: Header=BB8_133 Depth=3
	v_bfe_u32 v14, v0, 16, 1
	v_add3_u32 v14, v0, v14, s96
                                        ; implicit-def: $vgpr0
; %bb.220:                              ;   in Loop: Header=BB8_133 Depth=3
	s_andn2_saveexec_b64 s[90:91], s[90:91]
; %bb.221:                              ;   in Loop: Header=BB8_133 Depth=3
	v_or_b32_e32 v14, 0x10000, v0
	v_cmp_eq_u32_sdwa vcc, v0, v2 src0_sel:WORD_0 src1_sel:DWORD
	v_cndmask_b32_e32 v14, v14, v0, vcc
; %bb.222:                              ;   in Loop: Header=BB8_133 Depth=3
	s_or_b64 exec, exec, s[90:91]
	v_lshlrev_b32_e32 v0, 16, v15
	v_mul_f32_e32 v0, v42, v0
	v_and_b32_e32 v28, 0x7f800000, v0
	v_cmp_ne_u32_e32 vcc, s87, v28
                                        ; implicit-def: $vgpr57
	s_and_saveexec_b64 s[44:45], vcc
	s_xor_b64 s[90:91], exec, s[44:45]
; %bb.223:                              ;   in Loop: Header=BB8_133 Depth=3
	v_bfe_u32 v28, v0, 16, 1
	v_add3_u32 v57, v0, v28, s96
                                        ; implicit-def: $vgpr0
; %bb.224:                              ;   in Loop: Header=BB8_133 Depth=3
	s_andn2_saveexec_b64 s[90:91], s[90:91]
; %bb.225:                              ;   in Loop: Header=BB8_133 Depth=3
	v_or_b32_e32 v28, 0x10000, v0
	v_cmp_eq_u32_sdwa vcc, v0, v2 src0_sel:WORD_0 src1_sel:DWORD
	v_cndmask_b32_e32 v57, v28, v0, vcc
; %bb.226:                              ;   in Loop: Header=BB8_133 Depth=3
	s_or_b64 exec, exec, s[90:91]
	v_and_b32_e32 v0, 0xffff0000, v15
	v_mul_f32_e32 v0, v42, v0
	v_and_b32_e32 v15, 0x7f800000, v0
	v_cmp_ne_u32_e32 vcc, s87, v15
                                        ; implicit-def: $vgpr15
	s_and_saveexec_b64 s[44:45], vcc
	s_xor_b64 s[90:91], exec, s[44:45]
; %bb.227:                              ;   in Loop: Header=BB8_133 Depth=3
	v_bfe_u32 v15, v0, 16, 1
	v_add3_u32 v15, v0, v15, s96
                                        ; implicit-def: $vgpr0
; %bb.228:                              ;   in Loop: Header=BB8_133 Depth=3
	s_andn2_saveexec_b64 s[90:91], s[90:91]
; %bb.229:                              ;   in Loop: Header=BB8_133 Depth=3
	v_or_b32_e32 v15, 0x10000, v0
	v_cmp_eq_u32_sdwa vcc, v0, v2 src0_sel:WORD_0 src1_sel:DWORD
	v_cndmask_b32_e32 v15, v15, v0, vcc
; %bb.230:                              ;   in Loop: Header=BB8_133 Depth=3
	s_or_b64 exec, exec, s[90:91]
	v_lshlrev_b32_e32 v0, 16, v8
	v_mul_f32_e32 v28, v42, v0
	v_and_b32_e32 v0, 0x7f800000, v28
	v_cmp_ne_u32_e32 vcc, s87, v0
                                        ; implicit-def: $vgpr0
	s_and_saveexec_b64 s[44:45], vcc
	s_xor_b64 s[90:91], exec, s[44:45]
; %bb.231:                              ;   in Loop: Header=BB8_133 Depth=3
	v_bfe_u32 v0, v28, 16, 1
	v_add3_u32 v0, v28, v0, s96
                                        ; implicit-def: $vgpr28
; %bb.232:                              ;   in Loop: Header=BB8_133 Depth=3
	s_andn2_saveexec_b64 s[90:91], s[90:91]
; %bb.233:                              ;   in Loop: Header=BB8_133 Depth=3
	v_or_b32_e32 v0, 0x10000, v28
	v_cmp_eq_u32_sdwa vcc, v28, v2 src0_sel:WORD_0 src1_sel:DWORD
	v_cndmask_b32_e32 v0, v0, v28, vcc
; %bb.234:                              ;   in Loop: Header=BB8_133 Depth=3
	s_or_b64 exec, exec, s[90:91]
	v_and_b32_e32 v8, 0xffff0000, v8
	v_mul_f32_e32 v28, v42, v8
	v_and_b32_e32 v8, 0x7f800000, v28
	v_cmp_ne_u32_e32 vcc, s87, v8
                                        ; implicit-def: $vgpr8
	s_and_saveexec_b64 s[44:45], vcc
	s_xor_b64 s[90:91], exec, s[44:45]
; %bb.235:                              ;   in Loop: Header=BB8_133 Depth=3
	v_bfe_u32 v8, v28, 16, 1
	v_add3_u32 v8, v28, v8, s96
                                        ; implicit-def: $vgpr28
; %bb.236:                              ;   in Loop: Header=BB8_133 Depth=3
	s_andn2_saveexec_b64 s[90:91], s[90:91]
; %bb.237:                              ;   in Loop: Header=BB8_133 Depth=3
	v_or_b32_e32 v8, 0x10000, v28
	v_cmp_eq_u32_sdwa vcc, v28, v2 src0_sel:WORD_0 src1_sel:DWORD
	v_cndmask_b32_e32 v8, v8, v28, vcc
; %bb.238:                              ;   in Loop: Header=BB8_133 Depth=3
	s_or_b64 exec, exec, s[90:91]
	v_lshlrev_b32_e32 v28, 16, v9
	v_mul_f32_e32 v52, v42, v28
	v_and_b32_e32 v28, 0x7f800000, v52
	v_cmp_ne_u32_e32 vcc, s87, v28
                                        ; implicit-def: $vgpr28
	s_and_saveexec_b64 s[44:45], vcc
	s_xor_b64 s[90:91], exec, s[44:45]
; %bb.239:                              ;   in Loop: Header=BB8_133 Depth=3
	v_bfe_u32 v28, v52, 16, 1
	v_add3_u32 v28, v52, v28, s96
                                        ; implicit-def: $vgpr52
; %bb.240:                              ;   in Loop: Header=BB8_133 Depth=3
	s_andn2_saveexec_b64 s[90:91], s[90:91]
; %bb.241:                              ;   in Loop: Header=BB8_133 Depth=3
	v_or_b32_e32 v28, 0x10000, v52
	v_cmp_eq_u32_sdwa vcc, v52, v2 src0_sel:WORD_0 src1_sel:DWORD
	v_cndmask_b32_e32 v28, v28, v52, vcc
; %bb.242:                              ;   in Loop: Header=BB8_133 Depth=3
	s_or_b64 exec, exec, s[90:91]
	v_and_b32_e32 v9, 0xffff0000, v9
	v_mul_f32_e32 v52, v42, v9
	v_and_b32_e32 v9, 0x7f800000, v52
	v_cmp_ne_u32_e32 vcc, s87, v9
                                        ; implicit-def: $vgpr9
	s_and_saveexec_b64 s[44:45], vcc
	s_xor_b64 s[90:91], exec, s[44:45]
; %bb.243:                              ;   in Loop: Header=BB8_133 Depth=3
	v_bfe_u32 v9, v52, 16, 1
	v_add3_u32 v9, v52, v9, s96
                                        ; implicit-def: $vgpr52
; %bb.244:                              ;   in Loop: Header=BB8_133 Depth=3
	s_andn2_saveexec_b64 s[90:91], s[90:91]
; %bb.245:                              ;   in Loop: Header=BB8_133 Depth=3
	v_or_b32_e32 v9, 0x10000, v52
	v_cmp_eq_u32_sdwa vcc, v52, v2 src0_sel:WORD_0 src1_sel:DWORD
	v_cndmask_b32_e32 v9, v9, v52, vcc
; %bb.246:                              ;   in Loop: Header=BB8_133 Depth=3
	s_or_b64 exec, exec, s[90:91]
	v_lshlrev_b32_e32 v52, 16, v10
	v_mul_f32_e32 v52, v42, v52
	v_and_b32_e32 v53, 0x7f800000, v52
	v_cmp_ne_u32_e32 vcc, s87, v53
                                        ; implicit-def: $vgpr43
	s_and_saveexec_b64 s[44:45], vcc
	s_xor_b64 s[90:91], exec, s[44:45]
; %bb.247:                              ;   in Loop: Header=BB8_133 Depth=3
	v_bfe_u32 v53, v52, 16, 1
	v_add3_u32 v43, v52, v53, s96
                                        ; implicit-def: $vgpr52
; %bb.248:                              ;   in Loop: Header=BB8_133 Depth=3
	s_andn2_saveexec_b64 s[90:91], s[90:91]
; %bb.249:                              ;   in Loop: Header=BB8_133 Depth=3
	v_or_b32_e32 v53, 0x10000, v52
	v_cmp_eq_u32_sdwa vcc, v52, v2 src0_sel:WORD_0 src1_sel:DWORD
	v_cndmask_b32_e32 v43, v53, v52, vcc
; %bb.250:                              ;   in Loop: Header=BB8_133 Depth=3
	s_or_b64 exec, exec, s[90:91]
	v_and_b32_e32 v10, 0xffff0000, v10
	v_mul_f32_e32 v52, v42, v10
	v_and_b32_e32 v10, 0x7f800000, v52
	v_cmp_ne_u32_e32 vcc, s87, v10
                                        ; implicit-def: $vgpr10
	s_and_saveexec_b64 s[44:45], vcc
	s_xor_b64 s[90:91], exec, s[44:45]
; %bb.251:                              ;   in Loop: Header=BB8_133 Depth=3
	v_bfe_u32 v10, v52, 16, 1
	v_add3_u32 v10, v52, v10, s96
                                        ; implicit-def: $vgpr52
; %bb.252:                              ;   in Loop: Header=BB8_133 Depth=3
	s_andn2_saveexec_b64 s[90:91], s[90:91]
; %bb.253:                              ;   in Loop: Header=BB8_133 Depth=3
	v_or_b32_e32 v10, 0x10000, v52
	v_cmp_eq_u32_sdwa vcc, v52, v2 src0_sel:WORD_0 src1_sel:DWORD
	v_cndmask_b32_e32 v10, v10, v52, vcc
; %bb.254:                              ;   in Loop: Header=BB8_133 Depth=3
	s_or_b64 exec, exec, s[90:91]
	v_lshlrev_b32_e32 v52, 16, v11
	v_mul_f32_e32 v53, v42, v52
	v_and_b32_e32 v52, 0x7f800000, v53
	v_cmp_ne_u32_e32 vcc, s87, v52
                                        ; implicit-def: $vgpr52
	s_and_saveexec_b64 s[44:45], vcc
	s_xor_b64 s[90:91], exec, s[44:45]
; %bb.255:                              ;   in Loop: Header=BB8_133 Depth=3
	v_bfe_u32 v52, v53, 16, 1
	v_add3_u32 v52, v53, v52, s96
                                        ; implicit-def: $vgpr53
; %bb.256:                              ;   in Loop: Header=BB8_133 Depth=3
	s_andn2_saveexec_b64 s[90:91], s[90:91]
; %bb.257:                              ;   in Loop: Header=BB8_133 Depth=3
	v_or_b32_e32 v52, 0x10000, v53
	v_cmp_eq_u32_sdwa vcc, v53, v2 src0_sel:WORD_0 src1_sel:DWORD
	v_cndmask_b32_e32 v52, v52, v53, vcc
; %bb.258:                              ;   in Loop: Header=BB8_133 Depth=3
	s_or_b64 exec, exec, s[90:91]
	v_and_b32_e32 v11, 0xffff0000, v11
	v_mul_f32_e32 v53, v42, v11
	v_and_b32_e32 v11, 0x7f800000, v53
	v_cmp_ne_u32_e32 vcc, s87, v11
                                        ; implicit-def: $vgpr11
	s_and_saveexec_b64 s[44:45], vcc
	s_xor_b64 s[90:91], exec, s[44:45]
; %bb.259:                              ;   in Loop: Header=BB8_133 Depth=3
	v_bfe_u32 v11, v53, 16, 1
	v_add3_u32 v11, v53, v11, s96
                                        ; implicit-def: $vgpr53
; %bb.260:                              ;   in Loop: Header=BB8_133 Depth=3
	s_andn2_saveexec_b64 s[90:91], s[90:91]
; %bb.261:                              ;   in Loop: Header=BB8_133 Depth=3
	v_or_b32_e32 v11, 0x10000, v53
	v_cmp_eq_u32_sdwa vcc, v53, v2 src0_sel:WORD_0 src1_sel:DWORD
	v_cndmask_b32_e32 v11, v11, v53, vcc
; %bb.262:                              ;   in Loop: Header=BB8_133 Depth=3
	s_or_b64 exec, exec, s[90:91]
	v_lshrrev_b32_e32 v30, 16, v30
	v_and_or_b32 v13, v13, s97, v30
	v_lshrrev_b32_e32 v30, 16, v59
	v_and_or_b32 v12, v12, s97, v30
	v_lshrrev_b32_e32 v30, 16, v31
	v_lshrrev_b32_e32 v5, 16, v5
	;; [unrolled: 1-line block ×5, first 2 shown]
	v_and_or_b32 v14, v14, s97, v30
	v_lshrrev_b32_e32 v30, 16, v57
	v_and_or_b32 v16, v16, s97, v5
	v_lshrrev_b32_e32 v5, 16, v61
	;; [unrolled: 2-line block ×7, first 2 shown]
	v_and_or_b32 v32, v32, s97, v4
	v_and_or_b32 v35, v35, s97, v1
	v_lshrrev_b32_e32 v1, 16, v28
	v_and_or_b32 v10, v10, s97, v0
	v_lshrrev_b32_e32 v0, 16, v52
	v_and_or_b32 v17, v17, s97, v30
	v_and_or_b32 v19, v19, s97, v5
	;; [unrolled: 1-line block ×4, first 2 shown]
	global_store_dwordx4 v[44:45], v[32:35], off glc slc
	global_store_dwordx4 v[44:45], v[16:19], off offset:1024 glc slc
	global_store_dwordx4 v[44:45], v[12:15], off offset:2048 glc slc
	;; [unrolled: 1-line block ×3, first 2 shown]
	buffer_load_dword v0, off, s[0:3], s33 offset:200 ; 4-byte Folded Reload
	s_waitcnt vmcnt(0)
	v_add_co_u32_e32 v44, vcc, v44, v0
	buffer_load_dword v0, off, s[0:3], s33 offset:204 ; 4-byte Folded Reload
	s_waitcnt vmcnt(0)
	v_addc_co_u32_e32 v45, vcc, v45, v0, vcc
.LBB8_263:                              ;   in Loop: Header=BB8_133 Depth=3
	s_or_b64 exec, exec, s[92:93]
	buffer_load_dword v0, off, s[0:3], s33 offset:200 ; 4-byte Folded Reload
	s_waitcnt vmcnt(0)
	v_add_co_u32_e32 v6, vcc, v6, v0
	buffer_load_dword v0, off, s[0:3], s33 offset:204 ; 4-byte Folded Reload
	s_waitcnt vmcnt(0)
	v_addc_co_u32_e32 v7, vcc, v7, v0, vcc
	buffer_load_dword v0, off, s[0:3], s33 offset:128 ; 4-byte Folded Reload
	s_waitcnt vmcnt(0)
	v_sub_u32_e32 v29, v29, v0
	v_cmp_lt_i32_e64 s[90:91], 0, v29
	s_and_saveexec_b64 s[92:93], s[90:91]
	s_cbranch_execz .LBB8_265
; %bb.264:                              ;   in Loop: Header=BB8_133 Depth=3
	global_load_dwordx4 v[32:35], v[6:7], off glc slc
	global_load_dwordx4 v[16:19], v[6:7], off offset:1024 glc slc
	global_load_dwordx4 v[12:15], v[6:7], off offset:2048 glc slc
	;; [unrolled: 1-line block ×3, first 2 shown]
	v_add_co_u32_e32 v6, vcc, 0x1000, v6
	v_addc_co_u32_e32 v7, vcc, 0, v7, vcc
.LBB8_265:                              ;   in Loop: Header=BB8_133 Depth=3
	s_or_b64 exec, exec, s[92:93]
	v_lshlrev_b32_e32 v0, 16, v48
	v_mul_f32_e32 v0, v42, v0
	v_and_b32_e32 v1, 0x7f800000, v0
	v_cmp_ne_u32_e32 vcc, s87, v1
                                        ; implicit-def: $vgpr1
                                        ; kill: killed $vgpr1
	s_and_saveexec_b64 s[44:45], vcc
	s_xor_b64 s[92:93], exec, s[44:45]
	s_cbranch_execz .LBB8_267
; %bb.266:                              ;   in Loop: Header=BB8_133 Depth=3
	v_bfe_u32 v1, v0, 16, 1
	v_add3_u32 v0, v0, v1, s96
	buffer_store_dword v0, off, s[0:3], s33 offset:240 ; 4-byte Folded Spill
                                        ; implicit-def: $vgpr0
.LBB8_267:                              ;   in Loop: Header=BB8_133 Depth=3
	s_andn2_saveexec_b64 s[92:93], s[92:93]
	s_cbranch_execz .LBB8_269
; %bb.268:                              ;   in Loop: Header=BB8_133 Depth=3
	v_or_b32_e32 v1, 0x10000, v0
	v_cmp_eq_u32_sdwa vcc, v0, v2 src0_sel:WORD_0 src1_sel:DWORD
	v_cndmask_b32_e32 v0, v1, v0, vcc
	buffer_store_dword v0, off, s[0:3], s33 offset:240 ; 4-byte Folded Spill
.LBB8_269:                              ;   in Loop: Header=BB8_133 Depth=3
	s_or_b64 exec, exec, s[92:93]
	v_and_b32_e32 v0, 0xffff0000, v48
	v_mul_f32_e32 v0, v42, v0
	v_and_b32_e32 v1, 0x7f800000, v0
	v_cmp_ne_u32_e32 vcc, s87, v1
                                        ; implicit-def: $vgpr56
	s_and_saveexec_b64 s[44:45], vcc
	s_xor_b64 s[92:93], exec, s[44:45]
; %bb.270:                              ;   in Loop: Header=BB8_133 Depth=3
	v_bfe_u32 v1, v0, 16, 1
	v_add3_u32 v56, v0, v1, s96
                                        ; implicit-def: $vgpr0
; %bb.271:                              ;   in Loop: Header=BB8_133 Depth=3
	s_andn2_saveexec_b64 s[92:93], s[92:93]
; %bb.272:                              ;   in Loop: Header=BB8_133 Depth=3
	v_or_b32_e32 v1, 0x10000, v0
	v_cmp_eq_u32_sdwa vcc, v0, v2 src0_sel:WORD_0 src1_sel:DWORD
	v_cndmask_b32_e32 v56, v1, v0, vcc
; %bb.273:                              ;   in Loop: Header=BB8_133 Depth=3
	s_or_b64 exec, exec, s[92:93]
	v_lshlrev_b32_e32 v0, 16, v49
	v_mul_f32_e32 v0, v42, v0
	v_and_b32_e32 v1, 0x7f800000, v0
	v_cmp_ne_u32_e32 vcc, s87, v1
                                        ; implicit-def: $vgpr1
                                        ; kill: killed $vgpr1
	s_and_saveexec_b64 s[44:45], vcc
	s_xor_b64 s[92:93], exec, s[44:45]
	s_cbranch_execz .LBB8_275
; %bb.274:                              ;   in Loop: Header=BB8_133 Depth=3
	v_bfe_u32 v1, v0, 16, 1
	v_add3_u32 v0, v0, v1, s96
	buffer_store_dword v0, off, s[0:3], s33 offset:276 ; 4-byte Folded Spill
                                        ; implicit-def: $vgpr0
.LBB8_275:                              ;   in Loop: Header=BB8_133 Depth=3
	s_andn2_saveexec_b64 s[92:93], s[92:93]
	s_cbranch_execz .LBB8_277
; %bb.276:                              ;   in Loop: Header=BB8_133 Depth=3
	v_or_b32_e32 v1, 0x10000, v0
	v_cmp_eq_u32_sdwa vcc, v0, v2 src0_sel:WORD_0 src1_sel:DWORD
	v_cndmask_b32_e32 v0, v1, v0, vcc
	buffer_store_dword v0, off, s[0:3], s33 offset:276 ; 4-byte Folded Spill
.LBB8_277:                              ;   in Loop: Header=BB8_133 Depth=3
	s_or_b64 exec, exec, s[92:93]
	v_and_b32_e32 v0, 0xffff0000, v49
	v_mul_f32_e32 v0, v42, v0
	v_and_b32_e32 v1, 0x7f800000, v0
	v_cmp_ne_u32_e32 vcc, s87, v1
                                        ; implicit-def: $vgpr4
	s_and_saveexec_b64 s[44:45], vcc
	s_xor_b64 s[92:93], exec, s[44:45]
; %bb.278:                              ;   in Loop: Header=BB8_133 Depth=3
	v_bfe_u32 v1, v0, 16, 1
	v_add3_u32 v4, v0, v1, s96
                                        ; implicit-def: $vgpr0
; %bb.279:                              ;   in Loop: Header=BB8_133 Depth=3
	s_andn2_saveexec_b64 s[92:93], s[92:93]
; %bb.280:                              ;   in Loop: Header=BB8_133 Depth=3
	v_or_b32_e32 v1, 0x10000, v0
	v_cmp_eq_u32_sdwa vcc, v0, v2 src0_sel:WORD_0 src1_sel:DWORD
	v_cndmask_b32_e32 v4, v1, v0, vcc
; %bb.281:                              ;   in Loop: Header=BB8_133 Depth=3
	s_or_b64 exec, exec, s[92:93]
	v_lshlrev_b32_e32 v0, 16, v50
	v_mul_f32_e32 v0, v42, v0
	v_and_b32_e32 v1, 0x7f800000, v0
	v_cmp_ne_u32_e32 vcc, s87, v1
                                        ; implicit-def: $vgpr1
                                        ; kill: killed $vgpr1
	s_and_saveexec_b64 s[44:45], vcc
	s_xor_b64 s[92:93], exec, s[44:45]
	s_cbranch_execz .LBB8_283
; %bb.282:                              ;   in Loop: Header=BB8_133 Depth=3
	v_bfe_u32 v1, v0, 16, 1
	v_add3_u32 v0, v0, v1, s96
	buffer_store_dword v0, off, s[0:3], s33 offset:312 ; 4-byte Folded Spill
                                        ; implicit-def: $vgpr0
.LBB8_283:                              ;   in Loop: Header=BB8_133 Depth=3
	s_andn2_saveexec_b64 s[92:93], s[92:93]
	s_cbranch_execz .LBB8_285
; %bb.284:                              ;   in Loop: Header=BB8_133 Depth=3
	v_or_b32_e32 v1, 0x10000, v0
	v_cmp_eq_u32_sdwa vcc, v0, v2 src0_sel:WORD_0 src1_sel:DWORD
	v_cndmask_b32_e32 v0, v1, v0, vcc
	buffer_store_dword v0, off, s[0:3], s33 offset:312 ; 4-byte Folded Spill
.LBB8_285:                              ;   in Loop: Header=BB8_133 Depth=3
	s_or_b64 exec, exec, s[92:93]
	v_and_b32_e32 v0, 0xffff0000, v50
	v_mul_f32_e32 v0, v42, v0
	v_and_b32_e32 v1, 0x7f800000, v0
	v_cmp_ne_u32_e32 vcc, s87, v1
                                        ; implicit-def: $vgpr1
	s_and_saveexec_b64 s[44:45], vcc
	s_xor_b64 s[92:93], exec, s[44:45]
; %bb.286:                              ;   in Loop: Header=BB8_133 Depth=3
	v_bfe_u32 v1, v0, 16, 1
	v_add3_u32 v1, v0, v1, s96
                                        ; implicit-def: $vgpr0
; %bb.287:                              ;   in Loop: Header=BB8_133 Depth=3
	s_andn2_saveexec_b64 s[92:93], s[92:93]
; %bb.288:                              ;   in Loop: Header=BB8_133 Depth=3
	v_or_b32_e32 v1, 0x10000, v0
	v_cmp_eq_u32_sdwa vcc, v0, v2 src0_sel:WORD_0 src1_sel:DWORD
	v_cndmask_b32_e32 v1, v1, v0, vcc
; %bb.289:                              ;   in Loop: Header=BB8_133 Depth=3
	s_or_b64 exec, exec, s[92:93]
	v_lshlrev_b32_e32 v0, 16, v51
	v_mul_f32_e32 v0, v42, v0
	v_and_b32_e32 v3, 0x7f800000, v0
	v_cmp_ne_u32_e32 vcc, s87, v3
                                        ; implicit-def: $vgpr3
                                        ; kill: killed $vgpr3
	s_and_saveexec_b64 s[44:45], vcc
	s_xor_b64 s[92:93], exec, s[44:45]
	s_cbranch_execz .LBB8_291
; %bb.290:                              ;   in Loop: Header=BB8_133 Depth=3
	v_bfe_u32 v3, v0, 16, 1
	v_add3_u32 v0, v0, v3, s96
	buffer_store_dword v0, off, s[0:3], s33 offset:320 ; 4-byte Folded Spill
                                        ; implicit-def: $vgpr0
.LBB8_291:                              ;   in Loop: Header=BB8_133 Depth=3
	s_andn2_saveexec_b64 s[92:93], s[92:93]
	s_cbranch_execz .LBB8_293
; %bb.292:                              ;   in Loop: Header=BB8_133 Depth=3
	v_or_b32_e32 v3, 0x10000, v0
	v_cmp_eq_u32_sdwa vcc, v0, v2 src0_sel:WORD_0 src1_sel:DWORD
	v_cndmask_b32_e32 v0, v3, v0, vcc
	buffer_store_dword v0, off, s[0:3], s33 offset:320 ; 4-byte Folded Spill
.LBB8_293:                              ;   in Loop: Header=BB8_133 Depth=3
	s_or_b64 exec, exec, s[92:93]
	v_and_b32_e32 v0, 0xffff0000, v51
	v_mul_f32_e32 v0, v42, v0
	v_and_b32_e32 v3, 0x7f800000, v0
	v_cmp_ne_u32_e32 vcc, s87, v3
                                        ; implicit-def: $vgpr3
	s_and_saveexec_b64 s[44:45], vcc
	s_xor_b64 s[92:93], exec, s[44:45]
; %bb.294:                              ;   in Loop: Header=BB8_133 Depth=3
	v_bfe_u32 v3, v0, 16, 1
	v_add3_u32 v3, v0, v3, s96
                                        ; implicit-def: $vgpr0
; %bb.295:                              ;   in Loop: Header=BB8_133 Depth=3
	s_andn2_saveexec_b64 s[92:93], s[92:93]
; %bb.296:                              ;   in Loop: Header=BB8_133 Depth=3
	v_or_b32_e32 v3, 0x10000, v0
	v_cmp_eq_u32_sdwa vcc, v0, v2 src0_sel:WORD_0 src1_sel:DWORD
	v_cndmask_b32_e32 v3, v3, v0, vcc
; %bb.297:                              ;   in Loop: Header=BB8_133 Depth=3
	s_or_b64 exec, exec, s[92:93]
	v_lshlrev_b32_e32 v0, 16, v36
	v_mul_f32_e32 v0, v42, v0
	v_and_b32_e32 v5, 0x7f800000, v0
	v_cmp_ne_u32_e32 vcc, s87, v5
                                        ; implicit-def: $vgpr5
	s_and_saveexec_b64 s[44:45], vcc
	s_xor_b64 s[92:93], exec, s[44:45]
; %bb.298:                              ;   in Loop: Header=BB8_133 Depth=3
	v_bfe_u32 v5, v0, 16, 1
	v_add3_u32 v5, v0, v5, s96
                                        ; implicit-def: $vgpr0
; %bb.299:                              ;   in Loop: Header=BB8_133 Depth=3
	s_andn2_saveexec_b64 s[92:93], s[92:93]
; %bb.300:                              ;   in Loop: Header=BB8_133 Depth=3
	v_or_b32_e32 v5, 0x10000, v0
	v_cmp_eq_u32_sdwa vcc, v0, v2 src0_sel:WORD_0 src1_sel:DWORD
	v_cndmask_b32_e32 v5, v5, v0, vcc
; %bb.301:                              ;   in Loop: Header=BB8_133 Depth=3
	s_or_b64 exec, exec, s[92:93]
	v_and_b32_e32 v0, 0xffff0000, v36
	v_mul_f32_e32 v0, v42, v0
	v_and_b32_e32 v28, 0x7f800000, v0
	v_cmp_ne_u32_e32 vcc, s87, v28
                                        ; implicit-def: $vgpr36
	s_and_saveexec_b64 s[44:45], vcc
	s_xor_b64 s[92:93], exec, s[44:45]
; %bb.302:                              ;   in Loop: Header=BB8_133 Depth=3
	v_bfe_u32 v28, v0, 16, 1
	v_add3_u32 v36, v0, v28, s96
                                        ; implicit-def: $vgpr0
; %bb.303:                              ;   in Loop: Header=BB8_133 Depth=3
	s_andn2_saveexec_b64 s[92:93], s[92:93]
; %bb.304:                              ;   in Loop: Header=BB8_133 Depth=3
	v_or_b32_e32 v28, 0x10000, v0
	v_cmp_eq_u32_sdwa vcc, v0, v2 src0_sel:WORD_0 src1_sel:DWORD
	v_cndmask_b32_e32 v36, v28, v0, vcc
; %bb.305:                              ;   in Loop: Header=BB8_133 Depth=3
	s_or_b64 exec, exec, s[92:93]
	v_lshlrev_b32_e32 v0, 16, v37
	v_mul_f32_e32 v0, v42, v0
	v_and_b32_e32 v28, 0x7f800000, v0
	v_cmp_ne_u32_e32 vcc, s87, v28
                                        ; implicit-def: $vgpr60
	s_and_saveexec_b64 s[44:45], vcc
	s_xor_b64 s[92:93], exec, s[44:45]
; %bb.306:                              ;   in Loop: Header=BB8_133 Depth=3
	v_bfe_u32 v28, v0, 16, 1
	v_add3_u32 v60, v0, v28, s96
                                        ; implicit-def: $vgpr0
; %bb.307:                              ;   in Loop: Header=BB8_133 Depth=3
	s_andn2_saveexec_b64 s[92:93], s[92:93]
; %bb.308:                              ;   in Loop: Header=BB8_133 Depth=3
	v_or_b32_e32 v28, 0x10000, v0
	v_cmp_eq_u32_sdwa vcc, v0, v2 src0_sel:WORD_0 src1_sel:DWORD
	v_cndmask_b32_e32 v60, v28, v0, vcc
; %bb.309:                              ;   in Loop: Header=BB8_133 Depth=3
	s_or_b64 exec, exec, s[92:93]
	v_and_b32_e32 v0, 0xffff0000, v37
	v_mul_f32_e32 v0, v42, v0
	v_and_b32_e32 v28, 0x7f800000, v0
	v_cmp_ne_u32_e32 vcc, s87, v28
                                        ; implicit-def: $vgpr37
	s_and_saveexec_b64 s[44:45], vcc
	s_xor_b64 s[92:93], exec, s[44:45]
; %bb.310:                              ;   in Loop: Header=BB8_133 Depth=3
	v_bfe_u32 v28, v0, 16, 1
	v_add3_u32 v37, v0, v28, s96
                                        ; implicit-def: $vgpr0
; %bb.311:                              ;   in Loop: Header=BB8_133 Depth=3
	s_andn2_saveexec_b64 s[92:93], s[92:93]
; %bb.312:                              ;   in Loop: Header=BB8_133 Depth=3
	v_or_b32_e32 v28, 0x10000, v0
	v_cmp_eq_u32_sdwa vcc, v0, v2 src0_sel:WORD_0 src1_sel:DWORD
	v_cndmask_b32_e32 v37, v28, v0, vcc
; %bb.313:                              ;   in Loop: Header=BB8_133 Depth=3
	s_or_b64 exec, exec, s[92:93]
	v_lshlrev_b32_e32 v0, 16, v38
	v_mul_f32_e32 v0, v42, v0
	v_and_b32_e32 v28, 0x7f800000, v0
	v_cmp_ne_u32_e32 vcc, s87, v28
                                        ; implicit-def: $vgpr61
	s_and_saveexec_b64 s[44:45], vcc
	s_xor_b64 s[92:93], exec, s[44:45]
; %bb.314:                              ;   in Loop: Header=BB8_133 Depth=3
	v_bfe_u32 v28, v0, 16, 1
	v_add3_u32 v61, v0, v28, s96
                                        ; implicit-def: $vgpr0
; %bb.315:                              ;   in Loop: Header=BB8_133 Depth=3
	s_andn2_saveexec_b64 s[92:93], s[92:93]
; %bb.316:                              ;   in Loop: Header=BB8_133 Depth=3
	v_or_b32_e32 v28, 0x10000, v0
	v_cmp_eq_u32_sdwa vcc, v0, v2 src0_sel:WORD_0 src1_sel:DWORD
	v_cndmask_b32_e32 v61, v28, v0, vcc
; %bb.317:                              ;   in Loop: Header=BB8_133 Depth=3
	s_or_b64 exec, exec, s[92:93]
	v_and_b32_e32 v0, 0xffff0000, v38
	v_mul_f32_e32 v0, v42, v0
	v_and_b32_e32 v28, 0x7f800000, v0
	v_cmp_ne_u32_e32 vcc, s87, v28
                                        ; implicit-def: $vgpr38
	s_and_saveexec_b64 s[44:45], vcc
	s_xor_b64 s[92:93], exec, s[44:45]
; %bb.318:                              ;   in Loop: Header=BB8_133 Depth=3
	v_bfe_u32 v28, v0, 16, 1
	v_add3_u32 v38, v0, v28, s96
                                        ; implicit-def: $vgpr0
; %bb.319:                              ;   in Loop: Header=BB8_133 Depth=3
	s_andn2_saveexec_b64 s[92:93], s[92:93]
; %bb.320:                              ;   in Loop: Header=BB8_133 Depth=3
	v_or_b32_e32 v28, 0x10000, v0
	v_cmp_eq_u32_sdwa vcc, v0, v2 src0_sel:WORD_0 src1_sel:DWORD
	v_cndmask_b32_e32 v38, v28, v0, vcc
; %bb.321:                              ;   in Loop: Header=BB8_133 Depth=3
	s_or_b64 exec, exec, s[92:93]
	v_lshlrev_b32_e32 v0, 16, v39
	v_mul_f32_e32 v0, v42, v0
	v_and_b32_e32 v28, 0x7f800000, v0
	v_cmp_ne_u32_e32 vcc, s87, v28
                                        ; implicit-def: $vgpr58
	s_and_saveexec_b64 s[44:45], vcc
	s_xor_b64 s[92:93], exec, s[44:45]
; %bb.322:                              ;   in Loop: Header=BB8_133 Depth=3
	v_bfe_u32 v28, v0, 16, 1
	v_add3_u32 v58, v0, v28, s96
                                        ; implicit-def: $vgpr0
; %bb.323:                              ;   in Loop: Header=BB8_133 Depth=3
	s_andn2_saveexec_b64 s[92:93], s[92:93]
; %bb.324:                              ;   in Loop: Header=BB8_133 Depth=3
	v_or_b32_e32 v28, 0x10000, v0
	v_cmp_eq_u32_sdwa vcc, v0, v2 src0_sel:WORD_0 src1_sel:DWORD
	v_cndmask_b32_e32 v58, v28, v0, vcc
; %bb.325:                              ;   in Loop: Header=BB8_133 Depth=3
	s_or_b64 exec, exec, s[92:93]
	v_and_b32_e32 v0, 0xffff0000, v39
	v_mul_f32_e32 v0, v42, v0
	v_and_b32_e32 v28, 0x7f800000, v0
	v_cmp_ne_u32_e32 vcc, s87, v28
                                        ; implicit-def: $vgpr39
	s_and_saveexec_b64 s[44:45], vcc
	s_xor_b64 s[92:93], exec, s[44:45]
; %bb.326:                              ;   in Loop: Header=BB8_133 Depth=3
	v_bfe_u32 v28, v0, 16, 1
	v_add3_u32 v39, v0, v28, s96
                                        ; implicit-def: $vgpr0
; %bb.327:                              ;   in Loop: Header=BB8_133 Depth=3
	s_andn2_saveexec_b64 s[92:93], s[92:93]
; %bb.328:                              ;   in Loop: Header=BB8_133 Depth=3
	v_or_b32_e32 v28, 0x10000, v0
	v_cmp_eq_u32_sdwa vcc, v0, v2 src0_sel:WORD_0 src1_sel:DWORD
	v_cndmask_b32_e32 v39, v28, v0, vcc
; %bb.329:                              ;   in Loop: Header=BB8_133 Depth=3
	s_or_b64 exec, exec, s[92:93]
	v_lshlrev_b32_e32 v0, 16, v24
	v_mul_f32_e32 v0, v42, v0
	v_and_b32_e32 v28, 0x7f800000, v0
	v_cmp_ne_u32_e32 vcc, s87, v28
                                        ; implicit-def: $vgpr59
	s_and_saveexec_b64 s[44:45], vcc
	s_xor_b64 s[92:93], exec, s[44:45]
; %bb.330:                              ;   in Loop: Header=BB8_133 Depth=3
	v_bfe_u32 v28, v0, 16, 1
	v_add3_u32 v59, v0, v28, s96
                                        ; implicit-def: $vgpr0
; %bb.331:                              ;   in Loop: Header=BB8_133 Depth=3
	s_andn2_saveexec_b64 s[92:93], s[92:93]
; %bb.332:                              ;   in Loop: Header=BB8_133 Depth=3
	v_or_b32_e32 v28, 0x10000, v0
	v_cmp_eq_u32_sdwa vcc, v0, v2 src0_sel:WORD_0 src1_sel:DWORD
	v_cndmask_b32_e32 v59, v28, v0, vcc
; %bb.333:                              ;   in Loop: Header=BB8_133 Depth=3
	s_or_b64 exec, exec, s[92:93]
	v_and_b32_e32 v0, 0xffff0000, v24
	v_mul_f32_e32 v0, v42, v0
	v_and_b32_e32 v24, 0x7f800000, v0
	v_cmp_ne_u32_e32 vcc, s87, v24
                                        ; implicit-def: $vgpr24
	s_and_saveexec_b64 s[44:45], vcc
	s_xor_b64 s[92:93], exec, s[44:45]
; %bb.334:                              ;   in Loop: Header=BB8_133 Depth=3
	v_bfe_u32 v24, v0, 16, 1
	v_add3_u32 v24, v0, v24, s96
                                        ; implicit-def: $vgpr0
; %bb.335:                              ;   in Loop: Header=BB8_133 Depth=3
	s_andn2_saveexec_b64 s[92:93], s[92:93]
; %bb.336:                              ;   in Loop: Header=BB8_133 Depth=3
	v_or_b32_e32 v24, 0x10000, v0
	v_cmp_eq_u32_sdwa vcc, v0, v2 src0_sel:WORD_0 src1_sel:DWORD
	v_cndmask_b32_e32 v24, v24, v0, vcc
; %bb.337:                              ;   in Loop: Header=BB8_133 Depth=3
	s_or_b64 exec, exec, s[92:93]
	v_lshlrev_b32_e32 v0, 16, v25
	v_mul_f32_e32 v0, v42, v0
	v_and_b32_e32 v28, 0x7f800000, v0
	v_cmp_ne_u32_e32 vcc, s87, v28
                                        ; implicit-def: $vgpr30
	s_and_saveexec_b64 s[44:45], vcc
	s_xor_b64 s[92:93], exec, s[44:45]
; %bb.338:                              ;   in Loop: Header=BB8_133 Depth=3
	v_bfe_u32 v28, v0, 16, 1
	v_add3_u32 v30, v0, v28, s96
                                        ; implicit-def: $vgpr0
; %bb.339:                              ;   in Loop: Header=BB8_133 Depth=3
	s_andn2_saveexec_b64 s[92:93], s[92:93]
; %bb.340:                              ;   in Loop: Header=BB8_133 Depth=3
	v_or_b32_e32 v28, 0x10000, v0
	v_cmp_eq_u32_sdwa vcc, v0, v2 src0_sel:WORD_0 src1_sel:DWORD
	v_cndmask_b32_e32 v30, v28, v0, vcc
; %bb.341:                              ;   in Loop: Header=BB8_133 Depth=3
	s_or_b64 exec, exec, s[92:93]
	v_and_b32_e32 v0, 0xffff0000, v25
	v_mul_f32_e32 v0, v42, v0
	v_and_b32_e32 v25, 0x7f800000, v0
	v_cmp_ne_u32_e32 vcc, s87, v25
                                        ; implicit-def: $vgpr25
	s_and_saveexec_b64 s[44:45], vcc
	s_xor_b64 s[92:93], exec, s[44:45]
; %bb.342:                              ;   in Loop: Header=BB8_133 Depth=3
	v_bfe_u32 v25, v0, 16, 1
	v_add3_u32 v25, v0, v25, s96
                                        ; implicit-def: $vgpr0
; %bb.343:                              ;   in Loop: Header=BB8_133 Depth=3
	s_andn2_saveexec_b64 s[92:93], s[92:93]
; %bb.344:                              ;   in Loop: Header=BB8_133 Depth=3
	v_or_b32_e32 v25, 0x10000, v0
	v_cmp_eq_u32_sdwa vcc, v0, v2 src0_sel:WORD_0 src1_sel:DWORD
	v_cndmask_b32_e32 v25, v25, v0, vcc
; %bb.345:                              ;   in Loop: Header=BB8_133 Depth=3
	s_or_b64 exec, exec, s[92:93]
	v_lshlrev_b32_e32 v0, 16, v26
	v_mul_f32_e32 v0, v42, v0
	v_and_b32_e32 v28, 0x7f800000, v0
	v_cmp_ne_u32_e32 vcc, s87, v28
                                        ; implicit-def: $vgpr31
	s_and_saveexec_b64 s[44:45], vcc
	s_xor_b64 s[92:93], exec, s[44:45]
; %bb.346:                              ;   in Loop: Header=BB8_133 Depth=3
	v_bfe_u32 v28, v0, 16, 1
	v_add3_u32 v31, v0, v28, s96
                                        ; implicit-def: $vgpr0
; %bb.347:                              ;   in Loop: Header=BB8_133 Depth=3
	s_andn2_saveexec_b64 s[92:93], s[92:93]
; %bb.348:                              ;   in Loop: Header=BB8_133 Depth=3
	v_or_b32_e32 v28, 0x10000, v0
	v_cmp_eq_u32_sdwa vcc, v0, v2 src0_sel:WORD_0 src1_sel:DWORD
	v_cndmask_b32_e32 v31, v28, v0, vcc
; %bb.349:                              ;   in Loop: Header=BB8_133 Depth=3
	s_or_b64 exec, exec, s[92:93]
	v_and_b32_e32 v0, 0xffff0000, v26
	v_mul_f32_e32 v0, v42, v0
	v_and_b32_e32 v26, 0x7f800000, v0
	v_cmp_ne_u32_e32 vcc, s87, v26
                                        ; implicit-def: $vgpr26
	s_and_saveexec_b64 s[44:45], vcc
	s_xor_b64 s[92:93], exec, s[44:45]
; %bb.350:                              ;   in Loop: Header=BB8_133 Depth=3
	v_bfe_u32 v26, v0, 16, 1
	v_add3_u32 v26, v0, v26, s96
                                        ; implicit-def: $vgpr0
; %bb.351:                              ;   in Loop: Header=BB8_133 Depth=3
	s_andn2_saveexec_b64 s[92:93], s[92:93]
; %bb.352:                              ;   in Loop: Header=BB8_133 Depth=3
	v_or_b32_e32 v26, 0x10000, v0
	v_cmp_eq_u32_sdwa vcc, v0, v2 src0_sel:WORD_0 src1_sel:DWORD
	v_cndmask_b32_e32 v26, v26, v0, vcc
; %bb.353:                              ;   in Loop: Header=BB8_133 Depth=3
	s_or_b64 exec, exec, s[92:93]
	v_lshlrev_b32_e32 v0, 16, v27
	v_mul_f32_e32 v0, v42, v0
	v_and_b32_e32 v28, 0x7f800000, v0
	v_cmp_ne_u32_e32 vcc, s87, v28
                                        ; implicit-def: $vgpr57
	s_and_saveexec_b64 s[44:45], vcc
	s_xor_b64 s[92:93], exec, s[44:45]
; %bb.354:                              ;   in Loop: Header=BB8_133 Depth=3
	v_bfe_u32 v28, v0, 16, 1
	v_add3_u32 v57, v0, v28, s96
                                        ; implicit-def: $vgpr0
; %bb.355:                              ;   in Loop: Header=BB8_133 Depth=3
	s_andn2_saveexec_b64 s[92:93], s[92:93]
; %bb.356:                              ;   in Loop: Header=BB8_133 Depth=3
	v_or_b32_e32 v28, 0x10000, v0
	v_cmp_eq_u32_sdwa vcc, v0, v2 src0_sel:WORD_0 src1_sel:DWORD
	v_cndmask_b32_e32 v57, v28, v0, vcc
; %bb.357:                              ;   in Loop: Header=BB8_133 Depth=3
	s_or_b64 exec, exec, s[92:93]
	v_and_b32_e32 v0, 0xffff0000, v27
	v_mul_f32_e32 v27, v42, v0
	v_and_b32_e32 v0, 0x7f800000, v27
	v_cmp_ne_u32_e32 vcc, s87, v0
                                        ; implicit-def: $vgpr0
	s_and_saveexec_b64 s[44:45], vcc
	s_xor_b64 s[92:93], exec, s[44:45]
; %bb.358:                              ;   in Loop: Header=BB8_133 Depth=3
	v_bfe_u32 v0, v27, 16, 1
	v_add3_u32 v0, v27, v0, s96
                                        ; implicit-def: $vgpr27
; %bb.359:                              ;   in Loop: Header=BB8_133 Depth=3
	s_andn2_saveexec_b64 s[92:93], s[92:93]
; %bb.360:                              ;   in Loop: Header=BB8_133 Depth=3
	v_or_b32_e32 v0, 0x10000, v27
	v_cmp_eq_u32_sdwa vcc, v27, v2 src0_sel:WORD_0 src1_sel:DWORD
	v_cndmask_b32_e32 v0, v0, v27, vcc
; %bb.361:                              ;   in Loop: Header=BB8_133 Depth=3
	s_or_b64 exec, exec, s[92:93]
	v_lshlrev_b32_e32 v27, 16, v20
	v_mul_f32_e32 v28, v42, v27
	v_and_b32_e32 v27, 0x7f800000, v28
	v_cmp_ne_u32_e32 vcc, s87, v27
                                        ; implicit-def: $vgpr27
	s_and_saveexec_b64 s[44:45], vcc
	s_xor_b64 s[92:93], exec, s[44:45]
; %bb.362:                              ;   in Loop: Header=BB8_133 Depth=3
	v_bfe_u32 v27, v28, 16, 1
	v_add3_u32 v27, v28, v27, s96
                                        ; implicit-def: $vgpr28
; %bb.363:                              ;   in Loop: Header=BB8_133 Depth=3
	s_andn2_saveexec_b64 s[92:93], s[92:93]
; %bb.364:                              ;   in Loop: Header=BB8_133 Depth=3
	v_or_b32_e32 v27, 0x10000, v28
	v_cmp_eq_u32_sdwa vcc, v28, v2 src0_sel:WORD_0 src1_sel:DWORD
	v_cndmask_b32_e32 v27, v27, v28, vcc
; %bb.365:                              ;   in Loop: Header=BB8_133 Depth=3
	s_or_b64 exec, exec, s[92:93]
	v_and_b32_e32 v20, 0xffff0000, v20
	v_mul_f32_e32 v28, v42, v20
	v_and_b32_e32 v20, 0x7f800000, v28
	v_cmp_ne_u32_e32 vcc, s87, v20
                                        ; implicit-def: $vgpr20
	s_and_saveexec_b64 s[44:45], vcc
	s_xor_b64 s[92:93], exec, s[44:45]
; %bb.366:                              ;   in Loop: Header=BB8_133 Depth=3
	v_bfe_u32 v20, v28, 16, 1
	v_add3_u32 v20, v28, v20, s96
                                        ; implicit-def: $vgpr28
; %bb.367:                              ;   in Loop: Header=BB8_133 Depth=3
	s_andn2_saveexec_b64 s[92:93], s[92:93]
; %bb.368:                              ;   in Loop: Header=BB8_133 Depth=3
	v_or_b32_e32 v20, 0x10000, v28
	v_cmp_eq_u32_sdwa vcc, v28, v2 src0_sel:WORD_0 src1_sel:DWORD
	v_cndmask_b32_e32 v20, v20, v28, vcc
; %bb.369:                              ;   in Loop: Header=BB8_133 Depth=3
	s_or_b64 exec, exec, s[92:93]
	v_lshlrev_b32_e32 v28, 16, v21
	v_mul_f32_e32 v52, v42, v28
	v_and_b32_e32 v28, 0x7f800000, v52
	v_cmp_ne_u32_e32 vcc, s87, v28
                                        ; implicit-def: $vgpr28
	s_and_saveexec_b64 s[44:45], vcc
	s_xor_b64 s[92:93], exec, s[44:45]
; %bb.370:                              ;   in Loop: Header=BB8_133 Depth=3
	v_bfe_u32 v28, v52, 16, 1
	v_add3_u32 v28, v52, v28, s96
                                        ; implicit-def: $vgpr52
; %bb.371:                              ;   in Loop: Header=BB8_133 Depth=3
	s_andn2_saveexec_b64 s[92:93], s[92:93]
; %bb.372:                              ;   in Loop: Header=BB8_133 Depth=3
	v_or_b32_e32 v28, 0x10000, v52
	v_cmp_eq_u32_sdwa vcc, v52, v2 src0_sel:WORD_0 src1_sel:DWORD
	v_cndmask_b32_e32 v28, v28, v52, vcc
; %bb.373:                              ;   in Loop: Header=BB8_133 Depth=3
	s_or_b64 exec, exec, s[92:93]
	v_and_b32_e32 v21, 0xffff0000, v21
	v_mul_f32_e32 v52, v42, v21
	v_and_b32_e32 v21, 0x7f800000, v52
	v_cmp_ne_u32_e32 vcc, s87, v21
                                        ; implicit-def: $vgpr21
	s_and_saveexec_b64 s[44:45], vcc
	s_xor_b64 s[92:93], exec, s[44:45]
; %bb.374:                              ;   in Loop: Header=BB8_133 Depth=3
	v_bfe_u32 v21, v52, 16, 1
	v_add3_u32 v21, v52, v21, s96
                                        ; implicit-def: $vgpr52
; %bb.375:                              ;   in Loop: Header=BB8_133 Depth=3
	s_andn2_saveexec_b64 s[92:93], s[92:93]
; %bb.376:                              ;   in Loop: Header=BB8_133 Depth=3
	v_or_b32_e32 v21, 0x10000, v52
	v_cmp_eq_u32_sdwa vcc, v52, v2 src0_sel:WORD_0 src1_sel:DWORD
	v_cndmask_b32_e32 v21, v21, v52, vcc
; %bb.377:                              ;   in Loop: Header=BB8_133 Depth=3
	s_or_b64 exec, exec, s[92:93]
	v_lshlrev_b32_e32 v48, 16, v22
	v_mul_f32_e32 v52, v42, v48
	v_and_b32_e32 v48, 0x7f800000, v52
	v_cmp_ne_u32_e32 vcc, s87, v48
                                        ; implicit-def: $vgpr43
	s_and_saveexec_b64 s[44:45], vcc
	s_xor_b64 s[92:93], exec, s[44:45]
; %bb.378:                              ;   in Loop: Header=BB8_133 Depth=3
	v_bfe_u32 v48, v52, 16, 1
	v_add3_u32 v43, v52, v48, s96
                                        ; implicit-def: $vgpr52
; %bb.379:                              ;   in Loop: Header=BB8_133 Depth=3
	s_andn2_saveexec_b64 s[92:93], s[92:93]
; %bb.380:                              ;   in Loop: Header=BB8_133 Depth=3
	v_or_b32_e32 v48, 0x10000, v52
	v_cmp_eq_u32_sdwa vcc, v52, v2 src0_sel:WORD_0 src1_sel:DWORD
	v_cndmask_b32_e32 v43, v48, v52, vcc
; %bb.381:                              ;   in Loop: Header=BB8_133 Depth=3
	s_or_b64 exec, exec, s[92:93]
	v_and_b32_e32 v22, 0xffff0000, v22
	v_mul_f32_e32 v52, v42, v22
	v_and_b32_e32 v22, 0x7f800000, v52
	v_cmp_ne_u32_e32 vcc, s87, v22
                                        ; implicit-def: $vgpr22
	s_and_saveexec_b64 s[44:45], vcc
	s_xor_b64 s[92:93], exec, s[44:45]
; %bb.382:                              ;   in Loop: Header=BB8_133 Depth=3
	v_bfe_u32 v22, v52, 16, 1
	v_add3_u32 v22, v52, v22, s96
                                        ; implicit-def: $vgpr52
; %bb.383:                              ;   in Loop: Header=BB8_133 Depth=3
	s_andn2_saveexec_b64 s[92:93], s[92:93]
; %bb.384:                              ;   in Loop: Header=BB8_133 Depth=3
	v_or_b32_e32 v22, 0x10000, v52
	v_cmp_eq_u32_sdwa vcc, v52, v2 src0_sel:WORD_0 src1_sel:DWORD
	v_cndmask_b32_e32 v22, v22, v52, vcc
; %bb.385:                              ;   in Loop: Header=BB8_133 Depth=3
	s_or_b64 exec, exec, s[92:93]
	v_lshlrev_b32_e32 v48, 16, v23
	v_mul_f32_e32 v53, v42, v48
	v_and_b32_e32 v48, 0x7f800000, v53
	v_cmp_ne_u32_e32 vcc, s87, v48
                                        ; implicit-def: $vgpr52
	s_and_saveexec_b64 s[44:45], vcc
	s_xor_b64 s[92:93], exec, s[44:45]
; %bb.386:                              ;   in Loop: Header=BB8_133 Depth=3
	v_bfe_u32 v48, v53, 16, 1
	v_add3_u32 v52, v53, v48, s96
                                        ; implicit-def: $vgpr53
; %bb.387:                              ;   in Loop: Header=BB8_133 Depth=3
	s_andn2_saveexec_b64 s[92:93], s[92:93]
; %bb.388:                              ;   in Loop: Header=BB8_133 Depth=3
	v_or_b32_e32 v48, 0x10000, v53
	v_cmp_eq_u32_sdwa vcc, v53, v2 src0_sel:WORD_0 src1_sel:DWORD
	v_cndmask_b32_e32 v52, v48, v53, vcc
; %bb.389:                              ;   in Loop: Header=BB8_133 Depth=3
	s_or_b64 exec, exec, s[92:93]
	v_and_b32_e32 v23, 0xffff0000, v23
	v_mul_f32_e32 v53, v42, v23
	v_and_b32_e32 v23, 0x7f800000, v53
	v_cmp_ne_u32_e32 vcc, s87, v23
                                        ; implicit-def: $vgpr23
	s_and_saveexec_b64 s[44:45], vcc
	s_xor_b64 s[92:93], exec, s[44:45]
; %bb.390:                              ;   in Loop: Header=BB8_133 Depth=3
	v_bfe_u32 v23, v53, 16, 1
	v_add3_u32 v23, v53, v23, s96
                                        ; implicit-def: $vgpr53
; %bb.391:                              ;   in Loop: Header=BB8_133 Depth=3
	s_andn2_saveexec_b64 s[92:93], s[92:93]
	s_cbranch_execz .LBB8_132
; %bb.392:                              ;   in Loop: Header=BB8_133 Depth=3
	v_or_b32_e32 v23, 0x10000, v53
	v_cmp_eq_u32_sdwa vcc, v53, v2 src0_sel:WORD_0 src1_sel:DWORD
	v_cndmask_b32_e32 v23, v23, v53, vcc
	s_branch .LBB8_132
.LBB8_393:                              ;   in Loop: Header=BB8_57 Depth=2
	buffer_load_dword v0, off, s[0:3], s33 offset:304 ; 4-byte Folded Reload
	buffer_load_dword v10, off, s[0:3], s33 offset:272 ; 4-byte Folded Reload
	s_and_saveexec_b64 s[26:27], s[76:77]
	s_cbranch_execnz .LBB8_638
	s_branch .LBB8_766
.LBB8_394:                              ;   in Loop: Header=BB8_57 Depth=2
	s_or_b64 exec, exec, s[78:79]
	buffer_load_dword v39, off, s[0:3], s33 offset:412 ; 4-byte Folded Reload
	buffer_load_dword v48, off, s[0:3], s33 offset:372 ; 4-byte Folded Reload
	;; [unrolled: 1-line block ×10, first 2 shown]
	s_and_b64 s[78:79], s[88:89], exec
.LBB8_395:                              ;   in Loop: Header=BB8_57 Depth=2
	s_or_b64 exec, exec, s[26:27]
	s_and_saveexec_b64 s[26:27], s[78:79]
	s_cbranch_execz .LBB8_525
; %bb.396:                              ;   in Loop: Header=BB8_57 Depth=2
	s_trap 2
	ds_read_b32 v0, v0
                                        ; implicit-def: $vgpr6
	s_waitcnt lgkmcnt(0)
	v_lshlrev_b32_e32 v20, 16, v0
	v_lshlrev_b32_e32 v0, 16, v32
	v_mul_f32_e32 v0, v0, v20
	v_and_b32_e32 v1, 0x7f800000, v0
	v_cmp_ne_u32_e32 vcc, s87, v1
	s_and_saveexec_b64 s[44:45], vcc
	s_xor_b64 s[78:79], exec, s[44:45]
; %bb.397:                              ;   in Loop: Header=BB8_57 Depth=2
	v_bfe_u32 v1, v0, 16, 1
	v_add3_u32 v6, v0, v1, s96
                                        ; implicit-def: $vgpr0
; %bb.398:                              ;   in Loop: Header=BB8_57 Depth=2
	s_andn2_saveexec_b64 s[78:79], s[78:79]
; %bb.399:                              ;   in Loop: Header=BB8_57 Depth=2
	v_or_b32_e32 v1, 0x10000, v0
	v_cmp_eq_u32_sdwa vcc, v0, v2 src0_sel:WORD_0 src1_sel:DWORD
	v_cndmask_b32_e32 v6, v1, v0, vcc
; %bb.400:                              ;   in Loop: Header=BB8_57 Depth=2
	s_or_b64 exec, exec, s[78:79]
	v_and_b32_e32 v0, 0xffff0000, v32
	v_mul_f32_e32 v0, v0, v20
	v_and_b32_e32 v1, 0x7f800000, v0
	v_cmp_ne_u32_e32 vcc, s87, v1
                                        ; implicit-def: $vgpr7
	s_and_saveexec_b64 s[44:45], vcc
	s_xor_b64 s[78:79], exec, s[44:45]
; %bb.401:                              ;   in Loop: Header=BB8_57 Depth=2
	v_bfe_u32 v1, v0, 16, 1
	v_add3_u32 v7, v0, v1, s96
                                        ; implicit-def: $vgpr0
; %bb.402:                              ;   in Loop: Header=BB8_57 Depth=2
	s_andn2_saveexec_b64 s[78:79], s[78:79]
; %bb.403:                              ;   in Loop: Header=BB8_57 Depth=2
	v_or_b32_e32 v1, 0x10000, v0
	v_cmp_eq_u32_sdwa vcc, v0, v2 src0_sel:WORD_0 src1_sel:DWORD
	v_cndmask_b32_e32 v7, v1, v0, vcc
; %bb.404:                              ;   in Loop: Header=BB8_57 Depth=2
	s_or_b64 exec, exec, s[78:79]
	v_lshlrev_b32_e32 v0, 16, v33
	v_mul_f32_e32 v0, v0, v20
	v_and_b32_e32 v1, 0x7f800000, v0
	v_cmp_ne_u32_e32 vcc, s87, v1
                                        ; implicit-def: $vgpr4
	s_and_saveexec_b64 s[44:45], vcc
	s_xor_b64 s[78:79], exec, s[44:45]
; %bb.405:                              ;   in Loop: Header=BB8_57 Depth=2
	v_bfe_u32 v1, v0, 16, 1
	v_add3_u32 v4, v0, v1, s96
                                        ; implicit-def: $vgpr0
; %bb.406:                              ;   in Loop: Header=BB8_57 Depth=2
	s_andn2_saveexec_b64 s[78:79], s[78:79]
; %bb.407:                              ;   in Loop: Header=BB8_57 Depth=2
	v_or_b32_e32 v1, 0x10000, v0
	v_cmp_eq_u32_sdwa vcc, v0, v2 src0_sel:WORD_0 src1_sel:DWORD
	v_cndmask_b32_e32 v4, v1, v0, vcc
; %bb.408:                              ;   in Loop: Header=BB8_57 Depth=2
	s_or_b64 exec, exec, s[78:79]
	v_and_b32_e32 v0, 0xffff0000, v33
	v_mul_f32_e32 v0, v0, v20
	v_and_b32_e32 v1, 0x7f800000, v0
	v_cmp_ne_u32_e32 vcc, s87, v1
                                        ; implicit-def: $vgpr21
	s_and_saveexec_b64 s[44:45], vcc
	s_xor_b64 s[78:79], exec, s[44:45]
; %bb.409:                              ;   in Loop: Header=BB8_57 Depth=2
	v_bfe_u32 v1, v0, 16, 1
	v_add3_u32 v21, v0, v1, s96
                                        ; implicit-def: $vgpr0
; %bb.410:                              ;   in Loop: Header=BB8_57 Depth=2
	s_andn2_saveexec_b64 s[78:79], s[78:79]
; %bb.411:                              ;   in Loop: Header=BB8_57 Depth=2
	v_or_b32_e32 v1, 0x10000, v0
	v_cmp_eq_u32_sdwa vcc, v0, v2 src0_sel:WORD_0 src1_sel:DWORD
	v_cndmask_b32_e32 v21, v1, v0, vcc
; %bb.412:                              ;   in Loop: Header=BB8_57 Depth=2
	s_or_b64 exec, exec, s[78:79]
	v_lshlrev_b32_e32 v0, 16, v34
	v_mul_f32_e32 v0, v0, v20
	v_and_b32_e32 v1, 0x7f800000, v0
	v_cmp_ne_u32_e32 vcc, s87, v1
                                        ; implicit-def: $vgpr1
	s_and_saveexec_b64 s[44:45], vcc
	s_xor_b64 s[78:79], exec, s[44:45]
; %bb.413:                              ;   in Loop: Header=BB8_57 Depth=2
	v_bfe_u32 v1, v0, 16, 1
	v_add3_u32 v1, v0, v1, s96
                                        ; implicit-def: $vgpr0
; %bb.414:                              ;   in Loop: Header=BB8_57 Depth=2
	s_andn2_saveexec_b64 s[78:79], s[78:79]
; %bb.415:                              ;   in Loop: Header=BB8_57 Depth=2
	v_or_b32_e32 v1, 0x10000, v0
	v_cmp_eq_u32_sdwa vcc, v0, v2 src0_sel:WORD_0 src1_sel:DWORD
	v_cndmask_b32_e32 v1, v1, v0, vcc
; %bb.416:                              ;   in Loop: Header=BB8_57 Depth=2
	s_or_b64 exec, exec, s[78:79]
	v_and_b32_e32 v0, 0xffff0000, v34
	v_mul_f32_e32 v0, v0, v20
	v_and_b32_e32 v3, 0x7f800000, v0
	v_cmp_ne_u32_e32 vcc, s87, v3
                                        ; implicit-def: $vgpr22
	s_and_saveexec_b64 s[44:45], vcc
	s_xor_b64 s[78:79], exec, s[44:45]
; %bb.417:                              ;   in Loop: Header=BB8_57 Depth=2
	v_bfe_u32 v3, v0, 16, 1
	v_add3_u32 v22, v0, v3, s96
                                        ; implicit-def: $vgpr0
; %bb.418:                              ;   in Loop: Header=BB8_57 Depth=2
	s_andn2_saveexec_b64 s[78:79], s[78:79]
; %bb.419:                              ;   in Loop: Header=BB8_57 Depth=2
	v_or_b32_e32 v3, 0x10000, v0
	v_cmp_eq_u32_sdwa vcc, v0, v2 src0_sel:WORD_0 src1_sel:DWORD
	v_cndmask_b32_e32 v22, v3, v0, vcc
; %bb.420:                              ;   in Loop: Header=BB8_57 Depth=2
	s_or_b64 exec, exec, s[78:79]
	v_lshlrev_b32_e32 v0, 16, v35
	v_mul_f32_e32 v0, v0, v20
	v_and_b32_e32 v3, 0x7f800000, v0
	v_cmp_ne_u32_e32 vcc, s87, v3
                                        ; implicit-def: $vgpr3
	s_and_saveexec_b64 s[44:45], vcc
	s_xor_b64 s[78:79], exec, s[44:45]
; %bb.421:                              ;   in Loop: Header=BB8_57 Depth=2
	v_bfe_u32 v3, v0, 16, 1
	v_add3_u32 v3, v0, v3, s96
                                        ; implicit-def: $vgpr0
; %bb.422:                              ;   in Loop: Header=BB8_57 Depth=2
	s_andn2_saveexec_b64 s[78:79], s[78:79]
; %bb.423:                              ;   in Loop: Header=BB8_57 Depth=2
	v_or_b32_e32 v3, 0x10000, v0
	v_cmp_eq_u32_sdwa vcc, v0, v2 src0_sel:WORD_0 src1_sel:DWORD
	v_cndmask_b32_e32 v3, v3, v0, vcc
; %bb.424:                              ;   in Loop: Header=BB8_57 Depth=2
	s_or_b64 exec, exec, s[78:79]
	v_and_b32_e32 v0, 0xffff0000, v35
	v_mul_f32_e32 v0, v0, v20
	v_and_b32_e32 v5, 0x7f800000, v0
	v_cmp_ne_u32_e32 vcc, s87, v5
                                        ; implicit-def: $vgpr23
	s_and_saveexec_b64 s[44:45], vcc
	s_xor_b64 s[78:79], exec, s[44:45]
; %bb.425:                              ;   in Loop: Header=BB8_57 Depth=2
	v_bfe_u32 v5, v0, 16, 1
	v_add3_u32 v23, v0, v5, s96
                                        ; implicit-def: $vgpr0
; %bb.426:                              ;   in Loop: Header=BB8_57 Depth=2
	s_andn2_saveexec_b64 s[78:79], s[78:79]
; %bb.427:                              ;   in Loop: Header=BB8_57 Depth=2
	v_or_b32_e32 v5, 0x10000, v0
	v_cmp_eq_u32_sdwa vcc, v0, v2 src0_sel:WORD_0 src1_sel:DWORD
	v_cndmask_b32_e32 v23, v5, v0, vcc
; %bb.428:                              ;   in Loop: Header=BB8_57 Depth=2
	s_or_b64 exec, exec, s[78:79]
	v_lshlrev_b32_e32 v0, 16, v16
	v_mul_f32_e32 v0, v0, v20
	v_and_b32_e32 v5, 0x7f800000, v0
	v_cmp_ne_u32_e32 vcc, s87, v5
                                        ; implicit-def: $vgpr5
	s_and_saveexec_b64 s[44:45], vcc
	s_xor_b64 s[78:79], exec, s[44:45]
; %bb.429:                              ;   in Loop: Header=BB8_57 Depth=2
	v_bfe_u32 v5, v0, 16, 1
	v_add3_u32 v5, v0, v5, s96
                                        ; implicit-def: $vgpr0
; %bb.430:                              ;   in Loop: Header=BB8_57 Depth=2
	s_andn2_saveexec_b64 s[78:79], s[78:79]
; %bb.431:                              ;   in Loop: Header=BB8_57 Depth=2
	v_or_b32_e32 v5, 0x10000, v0
	v_cmp_eq_u32_sdwa vcc, v0, v2 src0_sel:WORD_0 src1_sel:DWORD
	v_cndmask_b32_e32 v5, v5, v0, vcc
; %bb.432:                              ;   in Loop: Header=BB8_57 Depth=2
	s_or_b64 exec, exec, s[78:79]
	v_and_b32_e32 v0, 0xffff0000, v16
	v_mul_f32_e32 v0, v0, v20
	v_and_b32_e32 v16, 0x7f800000, v0
	v_cmp_ne_u32_e32 vcc, s87, v16
                                        ; implicit-def: $vgpr16
	s_and_saveexec_b64 s[44:45], vcc
	s_xor_b64 s[78:79], exec, s[44:45]
; %bb.433:                              ;   in Loop: Header=BB8_57 Depth=2
	v_bfe_u32 v16, v0, 16, 1
	v_add3_u32 v16, v0, v16, s96
                                        ; implicit-def: $vgpr0
; %bb.434:                              ;   in Loop: Header=BB8_57 Depth=2
	s_andn2_saveexec_b64 s[78:79], s[78:79]
; %bb.435:                              ;   in Loop: Header=BB8_57 Depth=2
	v_or_b32_e32 v16, 0x10000, v0
	v_cmp_eq_u32_sdwa vcc, v0, v2 src0_sel:WORD_0 src1_sel:DWORD
	v_cndmask_b32_e32 v16, v16, v0, vcc
; %bb.436:                              ;   in Loop: Header=BB8_57 Depth=2
	s_or_b64 exec, exec, s[78:79]
	v_lshlrev_b32_e32 v0, 16, v17
	v_mul_f32_e32 v0, v0, v20
	v_and_b32_e32 v24, 0x7f800000, v0
	v_cmp_ne_u32_e32 vcc, s87, v24
                                        ; implicit-def: $vgpr24
	s_and_saveexec_b64 s[44:45], vcc
	s_xor_b64 s[78:79], exec, s[44:45]
; %bb.437:                              ;   in Loop: Header=BB8_57 Depth=2
	v_bfe_u32 v24, v0, 16, 1
	v_add3_u32 v24, v0, v24, s96
                                        ; implicit-def: $vgpr0
; %bb.438:                              ;   in Loop: Header=BB8_57 Depth=2
	s_andn2_saveexec_b64 s[78:79], s[78:79]
; %bb.439:                              ;   in Loop: Header=BB8_57 Depth=2
	v_or_b32_e32 v24, 0x10000, v0
	v_cmp_eq_u32_sdwa vcc, v0, v2 src0_sel:WORD_0 src1_sel:DWORD
	v_cndmask_b32_e32 v24, v24, v0, vcc
; %bb.440:                              ;   in Loop: Header=BB8_57 Depth=2
	s_or_b64 exec, exec, s[78:79]
	v_and_b32_e32 v0, 0xffff0000, v17
	v_mul_f32_e32 v0, v0, v20
	v_and_b32_e32 v17, 0x7f800000, v0
	v_cmp_ne_u32_e32 vcc, s87, v17
                                        ; implicit-def: $vgpr17
	s_and_saveexec_b64 s[44:45], vcc
	s_xor_b64 s[78:79], exec, s[44:45]
; %bb.441:                              ;   in Loop: Header=BB8_57 Depth=2
	v_bfe_u32 v17, v0, 16, 1
	v_add3_u32 v17, v0, v17, s96
                                        ; implicit-def: $vgpr0
; %bb.442:                              ;   in Loop: Header=BB8_57 Depth=2
	s_andn2_saveexec_b64 s[78:79], s[78:79]
; %bb.443:                              ;   in Loop: Header=BB8_57 Depth=2
	v_or_b32_e32 v17, 0x10000, v0
	v_cmp_eq_u32_sdwa vcc, v0, v2 src0_sel:WORD_0 src1_sel:DWORD
	v_cndmask_b32_e32 v17, v17, v0, vcc
; %bb.444:                              ;   in Loop: Header=BB8_57 Depth=2
	s_or_b64 exec, exec, s[78:79]
	v_lshlrev_b32_e32 v0, 16, v18
	v_mul_f32_e32 v0, v0, v20
	v_and_b32_e32 v25, 0x7f800000, v0
	v_cmp_ne_u32_e32 vcc, s87, v25
                                        ; implicit-def: $vgpr25
	s_and_saveexec_b64 s[44:45], vcc
	s_xor_b64 s[78:79], exec, s[44:45]
; %bb.445:                              ;   in Loop: Header=BB8_57 Depth=2
	v_bfe_u32 v25, v0, 16, 1
	v_add3_u32 v25, v0, v25, s96
                                        ; implicit-def: $vgpr0
; %bb.446:                              ;   in Loop: Header=BB8_57 Depth=2
	s_andn2_saveexec_b64 s[78:79], s[78:79]
; %bb.447:                              ;   in Loop: Header=BB8_57 Depth=2
	v_or_b32_e32 v25, 0x10000, v0
	v_cmp_eq_u32_sdwa vcc, v0, v2 src0_sel:WORD_0 src1_sel:DWORD
	v_cndmask_b32_e32 v25, v25, v0, vcc
; %bb.448:                              ;   in Loop: Header=BB8_57 Depth=2
	s_or_b64 exec, exec, s[78:79]
	v_and_b32_e32 v0, 0xffff0000, v18
	v_mul_f32_e32 v0, v0, v20
	v_and_b32_e32 v18, 0x7f800000, v0
	v_cmp_ne_u32_e32 vcc, s87, v18
                                        ; implicit-def: $vgpr18
	s_and_saveexec_b64 s[44:45], vcc
	s_xor_b64 s[78:79], exec, s[44:45]
; %bb.449:                              ;   in Loop: Header=BB8_57 Depth=2
	v_bfe_u32 v18, v0, 16, 1
	v_add3_u32 v18, v0, v18, s96
                                        ; implicit-def: $vgpr0
; %bb.450:                              ;   in Loop: Header=BB8_57 Depth=2
	s_andn2_saveexec_b64 s[78:79], s[78:79]
; %bb.451:                              ;   in Loop: Header=BB8_57 Depth=2
	v_or_b32_e32 v18, 0x10000, v0
	v_cmp_eq_u32_sdwa vcc, v0, v2 src0_sel:WORD_0 src1_sel:DWORD
	v_cndmask_b32_e32 v18, v18, v0, vcc
; %bb.452:                              ;   in Loop: Header=BB8_57 Depth=2
	s_or_b64 exec, exec, s[78:79]
	v_lshlrev_b32_e32 v0, 16, v19
	v_mul_f32_e32 v0, v0, v20
	v_and_b32_e32 v26, 0x7f800000, v0
	v_cmp_ne_u32_e32 vcc, s87, v26
                                        ; implicit-def: $vgpr26
	s_and_saveexec_b64 s[44:45], vcc
	s_xor_b64 s[78:79], exec, s[44:45]
; %bb.453:                              ;   in Loop: Header=BB8_57 Depth=2
	v_bfe_u32 v26, v0, 16, 1
	v_add3_u32 v26, v0, v26, s96
                                        ; implicit-def: $vgpr0
; %bb.454:                              ;   in Loop: Header=BB8_57 Depth=2
	s_andn2_saveexec_b64 s[78:79], s[78:79]
; %bb.455:                              ;   in Loop: Header=BB8_57 Depth=2
	v_or_b32_e32 v26, 0x10000, v0
	v_cmp_eq_u32_sdwa vcc, v0, v2 src0_sel:WORD_0 src1_sel:DWORD
	v_cndmask_b32_e32 v26, v26, v0, vcc
; %bb.456:                              ;   in Loop: Header=BB8_57 Depth=2
	s_or_b64 exec, exec, s[78:79]
	v_and_b32_e32 v0, 0xffff0000, v19
	v_mul_f32_e32 v0, v0, v20
	v_and_b32_e32 v19, 0x7f800000, v0
	v_cmp_ne_u32_e32 vcc, s87, v19
                                        ; implicit-def: $vgpr19
	s_and_saveexec_b64 s[44:45], vcc
	s_xor_b64 s[78:79], exec, s[44:45]
; %bb.457:                              ;   in Loop: Header=BB8_57 Depth=2
	v_bfe_u32 v19, v0, 16, 1
	v_add3_u32 v19, v0, v19, s96
                                        ; implicit-def: $vgpr0
; %bb.458:                              ;   in Loop: Header=BB8_57 Depth=2
	s_andn2_saveexec_b64 s[78:79], s[78:79]
; %bb.459:                              ;   in Loop: Header=BB8_57 Depth=2
	v_or_b32_e32 v19, 0x10000, v0
	v_cmp_eq_u32_sdwa vcc, v0, v2 src0_sel:WORD_0 src1_sel:DWORD
	v_cndmask_b32_e32 v19, v19, v0, vcc
; %bb.460:                              ;   in Loop: Header=BB8_57 Depth=2
	s_or_b64 exec, exec, s[78:79]
	v_lshlrev_b32_e32 v0, 16, v12
	v_mul_f32_e32 v0, v0, v20
	v_and_b32_e32 v27, 0x7f800000, v0
	v_cmp_ne_u32_e32 vcc, s87, v27
                                        ; implicit-def: $vgpr27
	s_and_saveexec_b64 s[44:45], vcc
	s_xor_b64 s[78:79], exec, s[44:45]
; %bb.461:                              ;   in Loop: Header=BB8_57 Depth=2
	v_bfe_u32 v27, v0, 16, 1
	v_add3_u32 v27, v0, v27, s96
                                        ; implicit-def: $vgpr0
; %bb.462:                              ;   in Loop: Header=BB8_57 Depth=2
	s_andn2_saveexec_b64 s[78:79], s[78:79]
; %bb.463:                              ;   in Loop: Header=BB8_57 Depth=2
	v_or_b32_e32 v27, 0x10000, v0
	v_cmp_eq_u32_sdwa vcc, v0, v2 src0_sel:WORD_0 src1_sel:DWORD
	v_cndmask_b32_e32 v27, v27, v0, vcc
; %bb.464:                              ;   in Loop: Header=BB8_57 Depth=2
	s_or_b64 exec, exec, s[78:79]
	v_and_b32_e32 v0, 0xffff0000, v12
	v_mul_f32_e32 v0, v0, v20
	v_and_b32_e32 v12, 0x7f800000, v0
	v_cmp_ne_u32_e32 vcc, s87, v12
                                        ; implicit-def: $vgpr12
	s_and_saveexec_b64 s[44:45], vcc
	s_xor_b64 s[78:79], exec, s[44:45]
; %bb.465:                              ;   in Loop: Header=BB8_57 Depth=2
	v_bfe_u32 v12, v0, 16, 1
	v_add3_u32 v12, v0, v12, s96
                                        ; implicit-def: $vgpr0
; %bb.466:                              ;   in Loop: Header=BB8_57 Depth=2
	s_andn2_saveexec_b64 s[78:79], s[78:79]
; %bb.467:                              ;   in Loop: Header=BB8_57 Depth=2
	v_or_b32_e32 v12, 0x10000, v0
	v_cmp_eq_u32_sdwa vcc, v0, v2 src0_sel:WORD_0 src1_sel:DWORD
	v_cndmask_b32_e32 v12, v12, v0, vcc
; %bb.468:                              ;   in Loop: Header=BB8_57 Depth=2
	s_or_b64 exec, exec, s[78:79]
	v_lshlrev_b32_e32 v0, 16, v13
	v_mul_f32_e32 v0, v0, v20
	v_and_b32_e32 v28, 0x7f800000, v0
	v_cmp_ne_u32_e32 vcc, s87, v28
                                        ; implicit-def: $vgpr30
	s_and_saveexec_b64 s[44:45], vcc
	s_xor_b64 s[78:79], exec, s[44:45]
; %bb.469:                              ;   in Loop: Header=BB8_57 Depth=2
	v_bfe_u32 v28, v0, 16, 1
	v_add3_u32 v30, v0, v28, s96
                                        ; implicit-def: $vgpr0
; %bb.470:                              ;   in Loop: Header=BB8_57 Depth=2
	s_andn2_saveexec_b64 s[78:79], s[78:79]
; %bb.471:                              ;   in Loop: Header=BB8_57 Depth=2
	v_or_b32_e32 v28, 0x10000, v0
	v_cmp_eq_u32_sdwa vcc, v0, v2 src0_sel:WORD_0 src1_sel:DWORD
	v_cndmask_b32_e32 v30, v28, v0, vcc
; %bb.472:                              ;   in Loop: Header=BB8_57 Depth=2
	s_or_b64 exec, exec, s[78:79]
	v_and_b32_e32 v0, 0xffff0000, v13
	v_mul_f32_e32 v0, v0, v20
	v_and_b32_e32 v13, 0x7f800000, v0
	v_cmp_ne_u32_e32 vcc, s87, v13
                                        ; implicit-def: $vgpr13
	s_and_saveexec_b64 s[44:45], vcc
	s_xor_b64 s[78:79], exec, s[44:45]
; %bb.473:                              ;   in Loop: Header=BB8_57 Depth=2
	v_bfe_u32 v13, v0, 16, 1
	v_add3_u32 v13, v0, v13, s96
                                        ; implicit-def: $vgpr0
; %bb.474:                              ;   in Loop: Header=BB8_57 Depth=2
	s_andn2_saveexec_b64 s[78:79], s[78:79]
; %bb.475:                              ;   in Loop: Header=BB8_57 Depth=2
	v_or_b32_e32 v13, 0x10000, v0
	v_cmp_eq_u32_sdwa vcc, v0, v2 src0_sel:WORD_0 src1_sel:DWORD
	v_cndmask_b32_e32 v13, v13, v0, vcc
; %bb.476:                              ;   in Loop: Header=BB8_57 Depth=2
	s_or_b64 exec, exec, s[78:79]
	v_lshlrev_b32_e32 v0, 16, v14
	v_mul_f32_e32 v0, v0, v20
	v_and_b32_e32 v28, 0x7f800000, v0
	v_cmp_ne_u32_e32 vcc, s87, v28
                                        ; implicit-def: $vgpr31
	s_and_saveexec_b64 s[44:45], vcc
	s_xor_b64 s[78:79], exec, s[44:45]
; %bb.477:                              ;   in Loop: Header=BB8_57 Depth=2
	v_bfe_u32 v28, v0, 16, 1
	v_add3_u32 v31, v0, v28, s96
                                        ; implicit-def: $vgpr0
; %bb.478:                              ;   in Loop: Header=BB8_57 Depth=2
	s_andn2_saveexec_b64 s[78:79], s[78:79]
; %bb.479:                              ;   in Loop: Header=BB8_57 Depth=2
	v_or_b32_e32 v28, 0x10000, v0
	v_cmp_eq_u32_sdwa vcc, v0, v2 src0_sel:WORD_0 src1_sel:DWORD
	v_cndmask_b32_e32 v31, v28, v0, vcc
; %bb.480:                              ;   in Loop: Header=BB8_57 Depth=2
	s_or_b64 exec, exec, s[78:79]
	v_and_b32_e32 v0, 0xffff0000, v14
	v_mul_f32_e32 v0, v0, v20
	v_and_b32_e32 v14, 0x7f800000, v0
	v_cmp_ne_u32_e32 vcc, s87, v14
                                        ; implicit-def: $vgpr14
	s_and_saveexec_b64 s[44:45], vcc
	s_xor_b64 s[78:79], exec, s[44:45]
; %bb.481:                              ;   in Loop: Header=BB8_57 Depth=2
	v_bfe_u32 v14, v0, 16, 1
	v_add3_u32 v14, v0, v14, s96
                                        ; implicit-def: $vgpr0
; %bb.482:                              ;   in Loop: Header=BB8_57 Depth=2
	s_andn2_saveexec_b64 s[78:79], s[78:79]
; %bb.483:                              ;   in Loop: Header=BB8_57 Depth=2
	v_or_b32_e32 v14, 0x10000, v0
	v_cmp_eq_u32_sdwa vcc, v0, v2 src0_sel:WORD_0 src1_sel:DWORD
	v_cndmask_b32_e32 v14, v14, v0, vcc
; %bb.484:                              ;   in Loop: Header=BB8_57 Depth=2
	s_or_b64 exec, exec, s[78:79]
	v_lshlrev_b32_e32 v0, 16, v15
	v_mul_f32_e32 v0, v0, v20
	v_and_b32_e32 v28, 0x7f800000, v0
	v_cmp_ne_u32_e32 vcc, s87, v28
                                        ; implicit-def: $vgpr32
	s_and_saveexec_b64 s[44:45], vcc
	s_xor_b64 s[78:79], exec, s[44:45]
; %bb.485:                              ;   in Loop: Header=BB8_57 Depth=2
	v_bfe_u32 v28, v0, 16, 1
	v_add3_u32 v32, v0, v28, s96
                                        ; implicit-def: $vgpr0
; %bb.486:                              ;   in Loop: Header=BB8_57 Depth=2
	s_andn2_saveexec_b64 s[78:79], s[78:79]
; %bb.487:                              ;   in Loop: Header=BB8_57 Depth=2
	v_or_b32_e32 v28, 0x10000, v0
	v_cmp_eq_u32_sdwa vcc, v0, v2 src0_sel:WORD_0 src1_sel:DWORD
	v_cndmask_b32_e32 v32, v28, v0, vcc
; %bb.488:                              ;   in Loop: Header=BB8_57 Depth=2
	s_or_b64 exec, exec, s[78:79]
	v_and_b32_e32 v0, 0xffff0000, v15
	v_mul_f32_e32 v15, v0, v20
	v_and_b32_e32 v0, 0x7f800000, v15
	v_cmp_ne_u32_e32 vcc, s87, v0
                                        ; implicit-def: $vgpr0
	s_and_saveexec_b64 s[44:45], vcc
	s_xor_b64 s[78:79], exec, s[44:45]
; %bb.489:                              ;   in Loop: Header=BB8_57 Depth=2
	v_bfe_u32 v0, v15, 16, 1
	v_add3_u32 v0, v15, v0, s96
                                        ; implicit-def: $vgpr15
; %bb.490:                              ;   in Loop: Header=BB8_57 Depth=2
	s_andn2_saveexec_b64 s[78:79], s[78:79]
; %bb.491:                              ;   in Loop: Header=BB8_57 Depth=2
	v_or_b32_e32 v0, 0x10000, v15
	v_cmp_eq_u32_sdwa vcc, v15, v2 src0_sel:WORD_0 src1_sel:DWORD
	v_cndmask_b32_e32 v0, v0, v15, vcc
; %bb.492:                              ;   in Loop: Header=BB8_57 Depth=2
	s_or_b64 exec, exec, s[78:79]
	v_lshlrev_b32_e32 v15, 16, v8
	v_mul_f32_e32 v28, v15, v20
	v_and_b32_e32 v15, 0x7f800000, v28
	v_cmp_ne_u32_e32 vcc, s87, v15
                                        ; implicit-def: $vgpr15
	s_and_saveexec_b64 s[44:45], vcc
	s_xor_b64 s[78:79], exec, s[44:45]
; %bb.493:                              ;   in Loop: Header=BB8_57 Depth=2
	v_bfe_u32 v15, v28, 16, 1
	v_add3_u32 v15, v28, v15, s96
                                        ; implicit-def: $vgpr28
; %bb.494:                              ;   in Loop: Header=BB8_57 Depth=2
	s_andn2_saveexec_b64 s[78:79], s[78:79]
; %bb.495:                              ;   in Loop: Header=BB8_57 Depth=2
	v_or_b32_e32 v15, 0x10000, v28
	v_cmp_eq_u32_sdwa vcc, v28, v2 src0_sel:WORD_0 src1_sel:DWORD
	v_cndmask_b32_e32 v15, v15, v28, vcc
; %bb.496:                              ;   in Loop: Header=BB8_57 Depth=2
	s_or_b64 exec, exec, s[78:79]
	v_and_b32_e32 v8, 0xffff0000, v8
	v_mul_f32_e32 v28, v8, v20
	v_and_b32_e32 v8, 0x7f800000, v28
	v_cmp_ne_u32_e32 vcc, s87, v8
                                        ; implicit-def: $vgpr8
	s_and_saveexec_b64 s[44:45], vcc
	s_xor_b64 s[78:79], exec, s[44:45]
; %bb.497:                              ;   in Loop: Header=BB8_57 Depth=2
	v_bfe_u32 v8, v28, 16, 1
	v_add3_u32 v8, v28, v8, s96
                                        ; implicit-def: $vgpr28
; %bb.498:                              ;   in Loop: Header=BB8_57 Depth=2
	s_andn2_saveexec_b64 s[78:79], s[78:79]
; %bb.499:                              ;   in Loop: Header=BB8_57 Depth=2
	v_or_b32_e32 v8, 0x10000, v28
	v_cmp_eq_u32_sdwa vcc, v28, v2 src0_sel:WORD_0 src1_sel:DWORD
	v_cndmask_b32_e32 v8, v8, v28, vcc
; %bb.500:                              ;   in Loop: Header=BB8_57 Depth=2
	s_or_b64 exec, exec, s[78:79]
	v_lshlrev_b32_e32 v28, 16, v9
	v_mul_f32_e32 v33, v28, v20
	v_and_b32_e32 v28, 0x7f800000, v33
	v_cmp_ne_u32_e32 vcc, s87, v28
                                        ; implicit-def: $vgpr28
	s_and_saveexec_b64 s[44:45], vcc
	s_xor_b64 s[78:79], exec, s[44:45]
; %bb.501:                              ;   in Loop: Header=BB8_57 Depth=2
	v_bfe_u32 v28, v33, 16, 1
	v_add3_u32 v28, v33, v28, s96
                                        ; implicit-def: $vgpr33
; %bb.502:                              ;   in Loop: Header=BB8_57 Depth=2
	s_andn2_saveexec_b64 s[78:79], s[78:79]
; %bb.503:                              ;   in Loop: Header=BB8_57 Depth=2
	v_or_b32_e32 v28, 0x10000, v33
	v_cmp_eq_u32_sdwa vcc, v33, v2 src0_sel:WORD_0 src1_sel:DWORD
	v_cndmask_b32_e32 v28, v28, v33, vcc
; %bb.504:                              ;   in Loop: Header=BB8_57 Depth=2
	s_or_b64 exec, exec, s[78:79]
	v_and_b32_e32 v9, 0xffff0000, v9
	v_mul_f32_e32 v33, v9, v20
	v_and_b32_e32 v9, 0x7f800000, v33
	v_cmp_ne_u32_e32 vcc, s87, v9
                                        ; implicit-def: $vgpr9
	s_and_saveexec_b64 s[44:45], vcc
	s_xor_b64 s[78:79], exec, s[44:45]
; %bb.505:                              ;   in Loop: Header=BB8_57 Depth=2
	v_bfe_u32 v9, v33, 16, 1
	v_add3_u32 v9, v33, v9, s96
                                        ; implicit-def: $vgpr33
; %bb.506:                              ;   in Loop: Header=BB8_57 Depth=2
	s_andn2_saveexec_b64 s[78:79], s[78:79]
; %bb.507:                              ;   in Loop: Header=BB8_57 Depth=2
	v_or_b32_e32 v9, 0x10000, v33
	v_cmp_eq_u32_sdwa vcc, v33, v2 src0_sel:WORD_0 src1_sel:DWORD
	v_cndmask_b32_e32 v9, v9, v33, vcc
; %bb.508:                              ;   in Loop: Header=BB8_57 Depth=2
	s_or_b64 exec, exec, s[78:79]
	v_lshlrev_b32_e32 v33, 16, v10
	v_mul_f32_e32 v34, v33, v20
	v_and_b32_e32 v33, 0x7f800000, v34
	v_cmp_ne_u32_e32 vcc, s87, v33
                                        ; implicit-def: $vgpr33
	s_and_saveexec_b64 s[44:45], vcc
	s_xor_b64 s[78:79], exec, s[44:45]
; %bb.509:                              ;   in Loop: Header=BB8_57 Depth=2
	v_bfe_u32 v33, v34, 16, 1
	v_add3_u32 v33, v34, v33, s96
                                        ; implicit-def: $vgpr34
; %bb.510:                              ;   in Loop: Header=BB8_57 Depth=2
	s_andn2_saveexec_b64 s[78:79], s[78:79]
; %bb.511:                              ;   in Loop: Header=BB8_57 Depth=2
	v_or_b32_e32 v33, 0x10000, v34
	v_cmp_eq_u32_sdwa vcc, v34, v2 src0_sel:WORD_0 src1_sel:DWORD
	v_cndmask_b32_e32 v33, v33, v34, vcc
; %bb.512:                              ;   in Loop: Header=BB8_57 Depth=2
	s_or_b64 exec, exec, s[78:79]
	v_and_b32_e32 v10, 0xffff0000, v10
	v_mul_f32_e32 v34, v10, v20
	v_and_b32_e32 v10, 0x7f800000, v34
	v_cmp_ne_u32_e32 vcc, s87, v10
                                        ; implicit-def: $vgpr10
	s_and_saveexec_b64 s[44:45], vcc
	s_xor_b64 s[78:79], exec, s[44:45]
; %bb.513:                              ;   in Loop: Header=BB8_57 Depth=2
	v_bfe_u32 v10, v34, 16, 1
	v_add3_u32 v10, v34, v10, s96
                                        ; implicit-def: $vgpr34
; %bb.514:                              ;   in Loop: Header=BB8_57 Depth=2
	s_andn2_saveexec_b64 s[78:79], s[78:79]
; %bb.515:                              ;   in Loop: Header=BB8_57 Depth=2
	v_or_b32_e32 v10, 0x10000, v34
	v_cmp_eq_u32_sdwa vcc, v34, v2 src0_sel:WORD_0 src1_sel:DWORD
	v_cndmask_b32_e32 v10, v10, v34, vcc
; %bb.516:                              ;   in Loop: Header=BB8_57 Depth=2
	s_or_b64 exec, exec, s[78:79]
	v_lshlrev_b32_e32 v34, 16, v11
	v_mul_f32_e32 v35, v34, v20
	v_and_b32_e32 v34, 0x7f800000, v35
	v_cmp_ne_u32_e32 vcc, s87, v34
                                        ; implicit-def: $vgpr34
	s_and_saveexec_b64 s[44:45], vcc
	s_xor_b64 s[78:79], exec, s[44:45]
; %bb.517:                              ;   in Loop: Header=BB8_57 Depth=2
	v_bfe_u32 v34, v35, 16, 1
	v_add3_u32 v34, v35, v34, s96
                                        ; implicit-def: $vgpr35
; %bb.518:                              ;   in Loop: Header=BB8_57 Depth=2
	s_andn2_saveexec_b64 s[78:79], s[78:79]
; %bb.519:                              ;   in Loop: Header=BB8_57 Depth=2
	v_or_b32_e32 v34, 0x10000, v35
	v_cmp_eq_u32_sdwa vcc, v35, v2 src0_sel:WORD_0 src1_sel:DWORD
	v_cndmask_b32_e32 v34, v34, v35, vcc
; %bb.520:                              ;   in Loop: Header=BB8_57 Depth=2
	s_or_b64 exec, exec, s[78:79]
	v_and_b32_e32 v11, 0xffff0000, v11
	v_mul_f32_e32 v20, v11, v20
	v_and_b32_e32 v11, 0x7f800000, v20
	v_cmp_ne_u32_e32 vcc, s87, v11
                                        ; implicit-def: $vgpr11
	s_and_saveexec_b64 s[44:45], vcc
	s_xor_b64 s[78:79], exec, s[44:45]
; %bb.521:                              ;   in Loop: Header=BB8_57 Depth=2
	v_bfe_u32 v11, v20, 16, 1
	v_add3_u32 v11, v20, v11, s96
                                        ; implicit-def: $vgpr20
; %bb.522:                              ;   in Loop: Header=BB8_57 Depth=2
	s_andn2_saveexec_b64 s[78:79], s[78:79]
; %bb.523:                              ;   in Loop: Header=BB8_57 Depth=2
	v_or_b32_e32 v11, 0x10000, v20
	v_cmp_eq_u32_sdwa vcc, v20, v2 src0_sel:WORD_0 src1_sel:DWORD
	v_cndmask_b32_e32 v11, v11, v20, vcc
; %bb.524:                              ;   in Loop: Header=BB8_57 Depth=2
	s_or_b64 exec, exec, s[78:79]
	v_lshrrev_b32_e32 v20, 16, v30
	v_and_or_b32 v36, v13, s97, v20
	v_lshrrev_b32_e32 v13, 16, v27
	v_and_or_b32 v35, v12, s97, v13
	;; [unrolled: 2-line block ×16, first 2 shown]
	global_store_dwordx4 v[44:45], v[4:7], off glc slc
	global_store_dwordx4 v[44:45], v[16:19], off offset:1024 glc slc
	global_store_dwordx4 v[44:45], v[35:38], off offset:2048 glc slc
	;; [unrolled: 1-line block ×3, first 2 shown]
.LBB8_525:                              ;   in Loop: Header=BB8_57 Depth=2
	s_or_b64 exec, exec, s[26:27]
	buffer_load_dword v0, off, s[0:3], s33 offset:344 ; 4-byte Folded Reload
                                        ; implicit-def: $vgpr4
                                        ; implicit-def: $vgpr10
	s_waitcnt vmcnt(0)
	v_lshlrev_b32_e32 v18, 12, v0
	buffer_load_dword v0, off, s[0:3], s33 offset:328 ; 4-byte Folded Reload
	s_waitcnt vmcnt(0)
	v_cmp_ne_u32_e32 vcc, v0, v18
                                        ; implicit-def: $vgpr0
	s_and_saveexec_b64 s[78:79], vcc
	s_cbranch_execz .LBB8_637
; %bb.526:                              ;   in Loop: Header=BB8_57 Depth=2
	buffer_load_dword v0, off, s[0:3], s33 offset:328 ; 4-byte Folded Reload
	buffer_load_dword v1, off, s[0:3], s33 offset:272 ; 4-byte Folded Reload
	s_mov_b64 s[90:91], 0
                                        ; implicit-def: $vgpr8_vgpr9
	s_waitcnt vmcnt(1)
	v_sub_u32_e32 v3, v0, v18
	v_lshlrev_b32_e32 v0, 6, v29
	s_waitcnt vmcnt(0)
	v_sub_u32_e32 v0, v1, v0
	v_ashrrev_i32_e32 v1, 31, v0
	v_lshrrev_b32_e32 v1, 26, v1
	v_ashrrev_i32_e32 v5, 31, v3
	v_add_u32_e32 v1, v0, v1
	v_lshrrev_b32_e32 v5, 22, v5
	v_ashrrev_i32_e32 v4, 6, v1
	v_and_b32_e32 v1, 0xffffffc0, v1
	v_add_u32_e32 v5, v3, v5
	v_sub_u32_e32 v19, v0, v1
	v_and_b32_e32 v20, 0xfffffc00, v5
	v_lshlrev_b32_e32 v0, 4, v19
	v_sub_u32_e32 v22, v3, v20
	v_lshl_add_u32 v1, v4, 10, v0
	v_ashrrev_i32_e32 v6, 10, v5
	v_cmp_lt_i32_e64 s[26:27], 15, v22
	v_add_u32_e32 v0, v1, v18
	v_sub_u32_e32 v1, v3, v1
	v_addc_co_u32_e64 v3, vcc, 0, v6, s[26:27]
	v_sub_u32_e32 v21, v3, v4
	buffer_load_dword v4, off, s[0:3], s33 offset:336 ; 4-byte Folded Reload
	buffer_load_dword v5, off, s[0:3], s33 offset:340 ; 4-byte Folded Reload
	v_ashrrev_i32_e32 v3, 31, v0
	s_waitcnt vmcnt(1)
	v_add_co_u32_e32 v6, vcc, v0, v4
	s_waitcnt vmcnt(0)
	v_addc_co_u32_e32 v7, vcc, v3, v5, vcc
	v_cmp_lt_i32_e32 vcc, 15, v1
	s_and_saveexec_b64 s[88:89], vcc
	s_cbranch_execz .LBB8_600
; %bb.527:                              ;   in Loop: Header=BB8_57 Depth=2
	s_trap 2
	ds_read_b32 v4, v0
	v_add_co_u32_e32 v16, vcc, v0, v42
	v_addc_co_u32_e32 v17, vcc, v3, v43, vcc
	s_waitcnt lgkmcnt(0)
	v_lshlrev_b32_e32 v3, 16, v4
	s_mov_b64 s[94:95], 0
                                        ; implicit-def: $sgpr92_sgpr93
                                        ; implicit-def: $vgpr8_vgpr9
	s_branch .LBB8_529
.LBB8_528:                              ;   in Loop: Header=BB8_529 Depth=3
	s_or_b64 exec, exec, s[30:31]
	v_cmp_gt_i32_e32 vcc, 16, v1
	s_or_b64 s[90:91], vcc, s[90:91]
	s_andn2_b64 s[44:45], s[92:93], exec
	s_and_b64 s[92:93], s[94:95], exec
	s_or_b64 s[92:93], s[44:45], s[92:93]
	s_andn2_b64 exec, exec, s[90:91]
	s_cbranch_execz .LBB8_599
.LBB8_529:                              ;   Parent Loop BB8_47 Depth=1
                                        ;     Parent Loop BB8_57 Depth=2
                                        ; =>    This Inner Loop Header: Depth=3
	global_load_dwordx4 v[12:15], v[16:17], off glc slc
	s_and_saveexec_b64 s[30:31], s[94:95]
	s_cbranch_execz .LBB8_563
; %bb.530:                              ;   in Loop: Header=BB8_529 Depth=3
	v_lshlrev_b32_e32 v0, 16, v8
	v_mul_f32_e32 v4, v3, v0
	v_and_b32_e32 v0, 0x7f800000, v4
	v_cmp_ne_u32_e32 vcc, s87, v0
                                        ; implicit-def: $vgpr0
	s_and_saveexec_b64 s[44:45], vcc
	s_xor_b64 s[94:95], exec, s[44:45]
; %bb.531:                              ;   in Loop: Header=BB8_529 Depth=3
	v_bfe_u32 v0, v4, 16, 1
	v_add3_u32 v0, v4, v0, s96
                                        ; implicit-def: $vgpr4
; %bb.532:                              ;   in Loop: Header=BB8_529 Depth=3
	s_andn2_saveexec_b64 s[94:95], s[94:95]
; %bb.533:                              ;   in Loop: Header=BB8_529 Depth=3
	v_or_b32_e32 v0, 0x10000, v4
	v_cmp_eq_u32_sdwa vcc, v4, v2 src0_sel:WORD_0 src1_sel:DWORD
	v_cndmask_b32_e32 v0, v0, v4, vcc
; %bb.534:                              ;   in Loop: Header=BB8_529 Depth=3
	s_or_b64 exec, exec, s[94:95]
	v_and_b32_e32 v4, 0xffff0000, v8
	v_mul_f32_e32 v5, v3, v4
	v_and_b32_e32 v4, 0x7f800000, v5
	v_cmp_ne_u32_e32 vcc, s87, v4
                                        ; implicit-def: $vgpr4
	s_and_saveexec_b64 s[44:45], vcc
	s_xor_b64 s[94:95], exec, s[44:45]
; %bb.535:                              ;   in Loop: Header=BB8_529 Depth=3
	v_bfe_u32 v4, v5, 16, 1
	v_add3_u32 v4, v5, v4, s96
                                        ; implicit-def: $vgpr5
; %bb.536:                              ;   in Loop: Header=BB8_529 Depth=3
	s_andn2_saveexec_b64 s[94:95], s[94:95]
; %bb.537:                              ;   in Loop: Header=BB8_529 Depth=3
	v_or_b32_e32 v4, 0x10000, v5
	v_cmp_eq_u32_sdwa vcc, v5, v2 src0_sel:WORD_0 src1_sel:DWORD
	v_cndmask_b32_e32 v4, v4, v5, vcc
; %bb.538:                              ;   in Loop: Header=BB8_529 Depth=3
	s_or_b64 exec, exec, s[94:95]
	v_lshlrev_b32_e32 v5, 16, v9
	v_mul_f32_e32 v8, v3, v5
	v_and_b32_e32 v5, 0x7f800000, v8
	v_cmp_ne_u32_e32 vcc, s87, v5
                                        ; implicit-def: $vgpr5
	s_and_saveexec_b64 s[44:45], vcc
	s_xor_b64 s[94:95], exec, s[44:45]
; %bb.539:                              ;   in Loop: Header=BB8_529 Depth=3
	v_bfe_u32 v5, v8, 16, 1
	v_add3_u32 v5, v8, v5, s96
                                        ; implicit-def: $vgpr8
; %bb.540:                              ;   in Loop: Header=BB8_529 Depth=3
	s_andn2_saveexec_b64 s[94:95], s[94:95]
; %bb.541:                              ;   in Loop: Header=BB8_529 Depth=3
	v_or_b32_e32 v5, 0x10000, v8
	v_cmp_eq_u32_sdwa vcc, v8, v2 src0_sel:WORD_0 src1_sel:DWORD
	v_cndmask_b32_e32 v5, v5, v8, vcc
; %bb.542:                              ;   in Loop: Header=BB8_529 Depth=3
	s_or_b64 exec, exec, s[94:95]
	v_and_b32_e32 v8, 0xffff0000, v9
	v_mul_f32_e32 v9, v3, v8
	v_and_b32_e32 v8, 0x7f800000, v9
	v_cmp_ne_u32_e32 vcc, s87, v8
                                        ; implicit-def: $vgpr8
	s_and_saveexec_b64 s[44:45], vcc
	s_xor_b64 s[94:95], exec, s[44:45]
; %bb.543:                              ;   in Loop: Header=BB8_529 Depth=3
	v_bfe_u32 v8, v9, 16, 1
	v_add3_u32 v8, v9, v8, s96
                                        ; implicit-def: $vgpr9
; %bb.544:                              ;   in Loop: Header=BB8_529 Depth=3
	s_andn2_saveexec_b64 s[94:95], s[94:95]
; %bb.545:                              ;   in Loop: Header=BB8_529 Depth=3
	v_or_b32_e32 v8, 0x10000, v9
	v_cmp_eq_u32_sdwa vcc, v9, v2 src0_sel:WORD_0 src1_sel:DWORD
	v_cndmask_b32_e32 v8, v8, v9, vcc
; %bb.546:                              ;   in Loop: Header=BB8_529 Depth=3
	s_or_b64 exec, exec, s[94:95]
	v_lshlrev_b32_e32 v9, 16, v10
	v_mul_f32_e32 v9, v3, v9
	v_and_b32_e32 v23, 0x7f800000, v9
	v_cmp_ne_u32_e32 vcc, s87, v23
                                        ; implicit-def: $vgpr23
	s_and_saveexec_b64 s[44:45], vcc
	s_xor_b64 s[94:95], exec, s[44:45]
; %bb.547:                              ;   in Loop: Header=BB8_529 Depth=3
	v_bfe_u32 v23, v9, 16, 1
	v_add3_u32 v23, v9, v23, s96
                                        ; implicit-def: $vgpr9
; %bb.548:                              ;   in Loop: Header=BB8_529 Depth=3
	s_andn2_saveexec_b64 s[94:95], s[94:95]
; %bb.549:                              ;   in Loop: Header=BB8_529 Depth=3
	v_or_b32_e32 v23, 0x10000, v9
	v_cmp_eq_u32_sdwa vcc, v9, v2 src0_sel:WORD_0 src1_sel:DWORD
	v_cndmask_b32_e32 v23, v23, v9, vcc
; %bb.550:                              ;   in Loop: Header=BB8_529 Depth=3
	s_or_b64 exec, exec, s[94:95]
	v_and_b32_e32 v9, 0xffff0000, v10
	v_mul_f32_e32 v9, v3, v9
	v_and_b32_e32 v10, 0x7f800000, v9
	v_cmp_ne_u32_e32 vcc, s87, v10
                                        ; implicit-def: $vgpr10
	s_and_saveexec_b64 s[44:45], vcc
	s_xor_b64 s[94:95], exec, s[44:45]
; %bb.551:                              ;   in Loop: Header=BB8_529 Depth=3
	v_bfe_u32 v10, v9, 16, 1
	v_add3_u32 v10, v9, v10, s96
                                        ; implicit-def: $vgpr9
; %bb.552:                              ;   in Loop: Header=BB8_529 Depth=3
	s_andn2_saveexec_b64 s[94:95], s[94:95]
; %bb.553:                              ;   in Loop: Header=BB8_529 Depth=3
	v_or_b32_e32 v10, 0x10000, v9
	v_cmp_eq_u32_sdwa vcc, v9, v2 src0_sel:WORD_0 src1_sel:DWORD
	v_cndmask_b32_e32 v10, v10, v9, vcc
; %bb.554:                              ;   in Loop: Header=BB8_529 Depth=3
	s_or_b64 exec, exec, s[94:95]
	v_lshlrev_b32_e32 v9, 16, v11
	v_mul_f32_e32 v9, v3, v9
	v_and_b32_e32 v24, 0x7f800000, v9
	v_cmp_ne_u32_e32 vcc, s87, v24
                                        ; implicit-def: $vgpr24
	s_and_saveexec_b64 s[44:45], vcc
	s_xor_b64 s[94:95], exec, s[44:45]
; %bb.555:                              ;   in Loop: Header=BB8_529 Depth=3
	v_bfe_u32 v24, v9, 16, 1
	v_add3_u32 v24, v9, v24, s96
                                        ; implicit-def: $vgpr9
; %bb.556:                              ;   in Loop: Header=BB8_529 Depth=3
	s_andn2_saveexec_b64 s[94:95], s[94:95]
; %bb.557:                              ;   in Loop: Header=BB8_529 Depth=3
	v_or_b32_e32 v24, 0x10000, v9
	v_cmp_eq_u32_sdwa vcc, v9, v2 src0_sel:WORD_0 src1_sel:DWORD
	v_cndmask_b32_e32 v24, v24, v9, vcc
; %bb.558:                              ;   in Loop: Header=BB8_529 Depth=3
	s_or_b64 exec, exec, s[94:95]
	v_and_b32_e32 v9, 0xffff0000, v11
	v_mul_f32_e32 v9, v3, v9
	v_and_b32_e32 v11, 0x7f800000, v9
	v_cmp_ne_u32_e32 vcc, s87, v11
                                        ; implicit-def: $vgpr11
	s_and_saveexec_b64 s[44:45], vcc
	s_xor_b64 s[94:95], exec, s[44:45]
; %bb.559:                              ;   in Loop: Header=BB8_529 Depth=3
	v_bfe_u32 v11, v9, 16, 1
	v_add3_u32 v11, v9, v11, s96
                                        ; implicit-def: $vgpr9
; %bb.560:                              ;   in Loop: Header=BB8_529 Depth=3
	s_andn2_saveexec_b64 s[94:95], s[94:95]
; %bb.561:                              ;   in Loop: Header=BB8_529 Depth=3
	v_or_b32_e32 v11, 0x10000, v9
	v_cmp_eq_u32_sdwa vcc, v9, v2 src0_sel:WORD_0 src1_sel:DWORD
	v_cndmask_b32_e32 v11, v11, v9, vcc
; %bb.562:                              ;   in Loop: Header=BB8_529 Depth=3
	s_or_b64 exec, exec, s[94:95]
	v_lshrrev_b32_e32 v5, 16, v5
	v_lshrrev_b32_e32 v0, 16, v0
	v_and_or_b32 v9, v8, s97, v5
	v_and_or_b32 v8, v4, s97, v0
	v_lshrrev_b32_e32 v0, 16, v23
	v_and_or_b32 v10, v10, s97, v0
	v_lshrrev_b32_e32 v0, 16, v24
	v_and_or_b32 v11, v11, s97, v0
	buffer_load_dword v0, off, s[0:3], s33 offset:136 ; 4-byte Folded Reload
	s_nop 0
	global_store_dwordx4 v[6:7], v[8:11], off glc slc
	s_waitcnt vmcnt(1)
	v_add_co_u32_e32 v6, vcc, v6, v0
	buffer_load_dword v0, off, s[0:3], s33 offset:140 ; 4-byte Folded Reload
	s_waitcnt vmcnt(0)
	v_addc_co_u32_e32 v7, vcc, v7, v0, vcc
.LBB8_563:                              ;   in Loop: Header=BB8_529 Depth=3
	s_or_b64 exec, exec, s[30:31]
	buffer_load_dword v0, off, s[0:3], s33 offset:136 ; 4-byte Folded Reload
	s_waitcnt vmcnt(0)
	v_add_co_u32_e32 v16, vcc, v16, v0
	buffer_load_dword v0, off, s[0:3], s33 offset:140 ; 4-byte Folded Reload
	s_waitcnt vmcnt(0)
	v_addc_co_u32_e32 v17, vcc, v17, v0, vcc
	buffer_load_dword v0, off, s[0:3], s33 offset:180 ; 4-byte Folded Reload
	s_waitcnt vmcnt(0)
	v_sub_u32_e32 v1, v1, v0
	v_cmp_lt_i32_e64 s[94:95], 15, v1
	s_and_saveexec_b64 s[30:31], s[94:95]
	s_cbranch_execz .LBB8_565
; %bb.564:                              ;   in Loop: Header=BB8_529 Depth=3
	global_load_dwordx4 v[8:11], v[16:17], off glc slc
	v_add_co_u32_e32 v16, vcc, 0x400, v16
	v_addc_co_u32_e32 v17, vcc, 0, v17, vcc
.LBB8_565:                              ;   in Loop: Header=BB8_529 Depth=3
	s_or_b64 exec, exec, s[30:31]
	v_lshlrev_b32_e32 v0, 16, v12
	v_mul_f32_e32 v4, v3, v0
	v_and_b32_e32 v0, 0x7f800000, v4
	v_cmp_ne_u32_e32 vcc, s87, v0
                                        ; implicit-def: $vgpr0
	s_and_saveexec_b64 s[44:45], vcc
	s_xor_b64 vcc, exec, s[44:45]
; %bb.566:                              ;   in Loop: Header=BB8_529 Depth=3
	v_bfe_u32 v0, v4, 16, 1
	v_add3_u32 v0, v4, v0, s96
                                        ; implicit-def: $vgpr4
; %bb.567:                              ;   in Loop: Header=BB8_529 Depth=3
	s_andn2_saveexec_b64 s[30:31], vcc
; %bb.568:                              ;   in Loop: Header=BB8_529 Depth=3
	v_or_b32_e32 v0, 0x10000, v4
	v_cmp_eq_u32_sdwa vcc, v4, v2 src0_sel:WORD_0 src1_sel:DWORD
	v_cndmask_b32_e32 v0, v0, v4, vcc
; %bb.569:                              ;   in Loop: Header=BB8_529 Depth=3
	s_or_b64 exec, exec, s[30:31]
	v_and_b32_e32 v4, 0xffff0000, v12
	v_mul_f32_e32 v5, v3, v4
	v_and_b32_e32 v4, 0x7f800000, v5
	v_cmp_ne_u32_e32 vcc, s87, v4
                                        ; implicit-def: $vgpr4
	s_and_saveexec_b64 s[44:45], vcc
	s_xor_b64 vcc, exec, s[44:45]
; %bb.570:                              ;   in Loop: Header=BB8_529 Depth=3
	v_bfe_u32 v4, v5, 16, 1
	v_add3_u32 v4, v5, v4, s96
                                        ; implicit-def: $vgpr5
; %bb.571:                              ;   in Loop: Header=BB8_529 Depth=3
	s_andn2_saveexec_b64 s[30:31], vcc
; %bb.572:                              ;   in Loop: Header=BB8_529 Depth=3
	v_or_b32_e32 v4, 0x10000, v5
	v_cmp_eq_u32_sdwa vcc, v5, v2 src0_sel:WORD_0 src1_sel:DWORD
	v_cndmask_b32_e32 v4, v4, v5, vcc
; %bb.573:                              ;   in Loop: Header=BB8_529 Depth=3
	s_or_b64 exec, exec, s[30:31]
	v_lshlrev_b32_e32 v5, 16, v13
	v_mul_f32_e32 v12, v3, v5
	v_and_b32_e32 v5, 0x7f800000, v12
	v_cmp_ne_u32_e32 vcc, s87, v5
                                        ; implicit-def: $vgpr5
	s_and_saveexec_b64 s[44:45], vcc
	s_xor_b64 vcc, exec, s[44:45]
; %bb.574:                              ;   in Loop: Header=BB8_529 Depth=3
	v_bfe_u32 v5, v12, 16, 1
	v_add3_u32 v5, v12, v5, s96
                                        ; implicit-def: $vgpr12
; %bb.575:                              ;   in Loop: Header=BB8_529 Depth=3
	s_andn2_saveexec_b64 s[30:31], vcc
; %bb.576:                              ;   in Loop: Header=BB8_529 Depth=3
	v_or_b32_e32 v5, 0x10000, v12
	v_cmp_eq_u32_sdwa vcc, v12, v2 src0_sel:WORD_0 src1_sel:DWORD
	v_cndmask_b32_e32 v5, v5, v12, vcc
; %bb.577:                              ;   in Loop: Header=BB8_529 Depth=3
	s_or_b64 exec, exec, s[30:31]
	v_and_b32_e32 v12, 0xffff0000, v13
	v_mul_f32_e32 v13, v3, v12
	v_and_b32_e32 v12, 0x7f800000, v13
	v_cmp_ne_u32_e32 vcc, s87, v12
                                        ; implicit-def: $vgpr12
	s_and_saveexec_b64 s[44:45], vcc
	s_xor_b64 vcc, exec, s[44:45]
; %bb.578:                              ;   in Loop: Header=BB8_529 Depth=3
	v_bfe_u32 v12, v13, 16, 1
	v_add3_u32 v12, v13, v12, s96
                                        ; implicit-def: $vgpr13
; %bb.579:                              ;   in Loop: Header=BB8_529 Depth=3
	s_andn2_saveexec_b64 s[30:31], vcc
; %bb.580:                              ;   in Loop: Header=BB8_529 Depth=3
	v_or_b32_e32 v12, 0x10000, v13
	v_cmp_eq_u32_sdwa vcc, v13, v2 src0_sel:WORD_0 src1_sel:DWORD
	v_cndmask_b32_e32 v12, v12, v13, vcc
; %bb.581:                              ;   in Loop: Header=BB8_529 Depth=3
	s_or_b64 exec, exec, s[30:31]
	v_lshlrev_b32_e32 v13, 16, v14
	v_mul_f32_e32 v23, v3, v13
	v_and_b32_e32 v13, 0x7f800000, v23
	v_cmp_ne_u32_e32 vcc, s87, v13
                                        ; implicit-def: $vgpr13
	s_and_saveexec_b64 s[44:45], vcc
	s_xor_b64 vcc, exec, s[44:45]
; %bb.582:                              ;   in Loop: Header=BB8_529 Depth=3
	v_bfe_u32 v13, v23, 16, 1
	v_add3_u32 v13, v23, v13, s96
                                        ; implicit-def: $vgpr23
; %bb.583:                              ;   in Loop: Header=BB8_529 Depth=3
	s_andn2_saveexec_b64 s[30:31], vcc
; %bb.584:                              ;   in Loop: Header=BB8_529 Depth=3
	v_or_b32_e32 v13, 0x10000, v23
	v_cmp_eq_u32_sdwa vcc, v23, v2 src0_sel:WORD_0 src1_sel:DWORD
	v_cndmask_b32_e32 v13, v13, v23, vcc
; %bb.585:                              ;   in Loop: Header=BB8_529 Depth=3
	s_or_b64 exec, exec, s[30:31]
	v_and_b32_e32 v14, 0xffff0000, v14
	v_mul_f32_e32 v23, v3, v14
	v_and_b32_e32 v14, 0x7f800000, v23
	v_cmp_ne_u32_e32 vcc, s87, v14
                                        ; implicit-def: $vgpr14
	s_and_saveexec_b64 s[44:45], vcc
	s_xor_b64 vcc, exec, s[44:45]
; %bb.586:                              ;   in Loop: Header=BB8_529 Depth=3
	v_bfe_u32 v14, v23, 16, 1
	v_add3_u32 v14, v23, v14, s96
                                        ; implicit-def: $vgpr23
; %bb.587:                              ;   in Loop: Header=BB8_529 Depth=3
	s_andn2_saveexec_b64 s[30:31], vcc
; %bb.588:                              ;   in Loop: Header=BB8_529 Depth=3
	v_or_b32_e32 v14, 0x10000, v23
	v_cmp_eq_u32_sdwa vcc, v23, v2 src0_sel:WORD_0 src1_sel:DWORD
	v_cndmask_b32_e32 v14, v14, v23, vcc
; %bb.589:                              ;   in Loop: Header=BB8_529 Depth=3
	s_or_b64 exec, exec, s[30:31]
	v_lshlrev_b32_e32 v23, 16, v15
	v_mul_f32_e32 v24, v3, v23
	v_and_b32_e32 v23, 0x7f800000, v24
	v_cmp_ne_u32_e32 vcc, s87, v23
                                        ; implicit-def: $vgpr23
	s_and_saveexec_b64 s[44:45], vcc
	s_xor_b64 vcc, exec, s[44:45]
; %bb.590:                              ;   in Loop: Header=BB8_529 Depth=3
	v_bfe_u32 v23, v24, 16, 1
	v_add3_u32 v23, v24, v23, s96
                                        ; implicit-def: $vgpr24
; %bb.591:                              ;   in Loop: Header=BB8_529 Depth=3
	s_andn2_saveexec_b64 s[30:31], vcc
; %bb.592:                              ;   in Loop: Header=BB8_529 Depth=3
	v_or_b32_e32 v23, 0x10000, v24
	v_cmp_eq_u32_sdwa vcc, v24, v2 src0_sel:WORD_0 src1_sel:DWORD
	v_cndmask_b32_e32 v23, v23, v24, vcc
; %bb.593:                              ;   in Loop: Header=BB8_529 Depth=3
	s_or_b64 exec, exec, s[30:31]
	v_and_b32_e32 v15, 0xffff0000, v15
	v_mul_f32_e32 v24, v3, v15
	v_and_b32_e32 v15, 0x7f800000, v24
	v_cmp_ne_u32_e32 vcc, s87, v15
                                        ; implicit-def: $vgpr15
	s_and_saveexec_b64 s[44:45], vcc
	s_xor_b64 vcc, exec, s[44:45]
; %bb.594:                              ;   in Loop: Header=BB8_529 Depth=3
	v_bfe_u32 v15, v24, 16, 1
	v_add3_u32 v15, v24, v15, s96
                                        ; implicit-def: $vgpr24
; %bb.595:                              ;   in Loop: Header=BB8_529 Depth=3
	s_andn2_saveexec_b64 s[30:31], vcc
; %bb.596:                              ;   in Loop: Header=BB8_529 Depth=3
	v_or_b32_e32 v15, 0x10000, v24
	v_cmp_eq_u32_sdwa vcc, v24, v2 src0_sel:WORD_0 src1_sel:DWORD
	v_cndmask_b32_e32 v15, v15, v24, vcc
; %bb.597:                              ;   in Loop: Header=BB8_529 Depth=3
	s_or_b64 exec, exec, s[30:31]
	buffer_load_dword v24, off, s[0:3], s33 offset:128 ; 4-byte Folded Reload
	v_lshrrev_b32_e32 v0, 16, v0
	v_lshrrev_b32_e32 v5, 16, v5
	v_and_or_b32 v25, v12, s97, v5
	s_waitcnt vmcnt(0)
	v_sub_u32_e32 v21, v21, v24
	v_and_or_b32 v24, v4, s97, v0
	v_lshrrev_b32_e32 v0, 16, v13
	v_and_or_b32 v26, v14, s97, v0
	v_lshrrev_b32_e32 v0, 16, v23
	v_and_or_b32 v27, v15, s97, v0
	global_store_dwordx4 v[6:7], v[24:27], off glc slc
	v_add_co_u32_e32 v6, vcc, 0x400, v6
	v_addc_co_u32_e32 v7, vcc, 0, v7, vcc
	s_and_saveexec_b64 s[30:31], s[94:95]
	s_cbranch_execz .LBB8_528
; %bb.598:                              ;   in Loop: Header=BB8_529 Depth=3
	buffer_load_dword v0, off, s[0:3], s33 offset:128 ; 4-byte Folded Reload
	v_add_co_u32_e32 v16, vcc, v16, v54
	v_addc_co_u32_e32 v17, vcc, v17, v55, vcc
	v_add_co_u32_e32 v6, vcc, v6, v54
	v_addc_co_u32_e32 v7, vcc, v7, v55, vcc
	s_waitcnt vmcnt(0)
	v_sub_u32_e32 v21, v21, v0
	buffer_load_dword v0, off, s[0:3], s33 offset:180 ; 4-byte Folded Reload
	s_waitcnt vmcnt(0)
	v_sub_u32_e32 v1, v1, v0
	s_branch .LBB8_528
.LBB8_599:                              ;   in Loop: Header=BB8_57 Depth=2
	s_or_b64 exec, exec, s[90:91]
	s_and_b64 s[90:91], s[92:93], exec
.LBB8_600:                              ;   in Loop: Header=BB8_57 Depth=2
	s_or_b64 exec, exec, s[88:89]
	s_mov_b64 s[88:89], exec
	buffer_load_dword v15, off, s[0:3], s33 offset:328 ; 4-byte Folded Reload
	s_and_b64 s[44:45], s[88:89], s[90:91]
	s_mov_b64 exec, s[44:45]
	s_cbranch_execz .LBB8_634
; %bb.601:                              ;   in Loop: Header=BB8_57 Depth=2
	s_trap 2
	ds_read_b32 v0, v0
	s_waitcnt lgkmcnt(0)
	v_lshlrev_b32_e32 v1, 16, v0
	v_lshlrev_b32_e32 v0, 16, v8
	v_mul_f32_e32 v3, v0, v1
	v_and_b32_e32 v0, 0x7f800000, v3
	v_cmp_ne_u32_e32 vcc, s87, v0
                                        ; implicit-def: $vgpr0
	s_and_saveexec_b64 s[44:45], vcc
	s_xor_b64 s[90:91], exec, s[44:45]
; %bb.602:                              ;   in Loop: Header=BB8_57 Depth=2
	v_bfe_u32 v0, v3, 16, 1
	v_add3_u32 v0, v3, v0, s96
                                        ; implicit-def: $vgpr3
; %bb.603:                              ;   in Loop: Header=BB8_57 Depth=2
	s_andn2_saveexec_b64 s[90:91], s[90:91]
; %bb.604:                              ;   in Loop: Header=BB8_57 Depth=2
	v_or_b32_e32 v0, 0x10000, v3
	v_cmp_eq_u32_sdwa vcc, v3, v2 src0_sel:WORD_0 src1_sel:DWORD
	v_cndmask_b32_e32 v0, v0, v3, vcc
; %bb.605:                              ;   in Loop: Header=BB8_57 Depth=2
	s_or_b64 exec, exec, s[90:91]
	v_and_b32_e32 v3, 0xffff0000, v8
	v_mul_f32_e32 v4, v3, v1
	v_and_b32_e32 v3, 0x7f800000, v4
	v_cmp_ne_u32_e32 vcc, s87, v3
                                        ; implicit-def: $vgpr3
	s_and_saveexec_b64 s[44:45], vcc
	s_xor_b64 s[90:91], exec, s[44:45]
; %bb.606:                              ;   in Loop: Header=BB8_57 Depth=2
	v_bfe_u32 v3, v4, 16, 1
	v_add3_u32 v3, v4, v3, s96
                                        ; implicit-def: $vgpr4
; %bb.607:                              ;   in Loop: Header=BB8_57 Depth=2
	s_andn2_saveexec_b64 s[90:91], s[90:91]
; %bb.608:                              ;   in Loop: Header=BB8_57 Depth=2
	v_or_b32_e32 v3, 0x10000, v4
	v_cmp_eq_u32_sdwa vcc, v4, v2 src0_sel:WORD_0 src1_sel:DWORD
	v_cndmask_b32_e32 v3, v3, v4, vcc
; %bb.609:                              ;   in Loop: Header=BB8_57 Depth=2
	s_or_b64 exec, exec, s[90:91]
	v_lshlrev_b32_e32 v4, 16, v9
	v_mul_f32_e32 v5, v4, v1
	v_and_b32_e32 v4, 0x7f800000, v5
	v_cmp_ne_u32_e32 vcc, s87, v4
                                        ; implicit-def: $vgpr4
	s_and_saveexec_b64 s[44:45], vcc
	s_xor_b64 s[90:91], exec, s[44:45]
; %bb.610:                              ;   in Loop: Header=BB8_57 Depth=2
	v_bfe_u32 v4, v5, 16, 1
	v_add3_u32 v4, v5, v4, s96
                                        ; implicit-def: $vgpr5
; %bb.611:                              ;   in Loop: Header=BB8_57 Depth=2
	s_andn2_saveexec_b64 s[90:91], s[90:91]
; %bb.612:                              ;   in Loop: Header=BB8_57 Depth=2
	v_or_b32_e32 v4, 0x10000, v5
	v_cmp_eq_u32_sdwa vcc, v5, v2 src0_sel:WORD_0 src1_sel:DWORD
	v_cndmask_b32_e32 v4, v4, v5, vcc
; %bb.613:                              ;   in Loop: Header=BB8_57 Depth=2
	s_or_b64 exec, exec, s[90:91]
	v_and_b32_e32 v5, 0xffff0000, v9
	v_mul_f32_e32 v8, v5, v1
	v_and_b32_e32 v5, 0x7f800000, v8
	v_cmp_ne_u32_e32 vcc, s87, v5
                                        ; implicit-def: $vgpr5
	s_and_saveexec_b64 s[44:45], vcc
	s_xor_b64 s[90:91], exec, s[44:45]
; %bb.614:                              ;   in Loop: Header=BB8_57 Depth=2
	v_bfe_u32 v5, v8, 16, 1
	v_add3_u32 v5, v8, v5, s96
                                        ; implicit-def: $vgpr8
; %bb.615:                              ;   in Loop: Header=BB8_57 Depth=2
	s_andn2_saveexec_b64 s[90:91], s[90:91]
; %bb.616:                              ;   in Loop: Header=BB8_57 Depth=2
	v_or_b32_e32 v5, 0x10000, v8
	v_cmp_eq_u32_sdwa vcc, v8, v2 src0_sel:WORD_0 src1_sel:DWORD
	v_cndmask_b32_e32 v5, v5, v8, vcc
; %bb.617:                              ;   in Loop: Header=BB8_57 Depth=2
	s_or_b64 exec, exec, s[90:91]
	v_lshlrev_b32_e32 v8, 16, v10
	v_mul_f32_e32 v9, v8, v1
	v_and_b32_e32 v8, 0x7f800000, v9
	v_cmp_ne_u32_e32 vcc, s87, v8
                                        ; implicit-def: $vgpr8
	s_and_saveexec_b64 s[44:45], vcc
	s_xor_b64 s[90:91], exec, s[44:45]
; %bb.618:                              ;   in Loop: Header=BB8_57 Depth=2
	v_bfe_u32 v8, v9, 16, 1
	v_add3_u32 v8, v9, v8, s96
                                        ; implicit-def: $vgpr9
; %bb.619:                              ;   in Loop: Header=BB8_57 Depth=2
	s_andn2_saveexec_b64 s[90:91], s[90:91]
; %bb.620:                              ;   in Loop: Header=BB8_57 Depth=2
	v_or_b32_e32 v8, 0x10000, v9
	v_cmp_eq_u32_sdwa vcc, v9, v2 src0_sel:WORD_0 src1_sel:DWORD
	v_cndmask_b32_e32 v8, v8, v9, vcc
; %bb.621:                              ;   in Loop: Header=BB8_57 Depth=2
	s_or_b64 exec, exec, s[90:91]
	v_and_b32_e32 v9, 0xffff0000, v10
	v_mul_f32_e32 v10, v9, v1
	v_and_b32_e32 v9, 0x7f800000, v10
	v_cmp_ne_u32_e32 vcc, s87, v9
                                        ; implicit-def: $vgpr9
	s_and_saveexec_b64 s[44:45], vcc
	s_xor_b64 s[90:91], exec, s[44:45]
; %bb.622:                              ;   in Loop: Header=BB8_57 Depth=2
	v_bfe_u32 v9, v10, 16, 1
	v_add3_u32 v9, v10, v9, s96
                                        ; implicit-def: $vgpr10
; %bb.623:                              ;   in Loop: Header=BB8_57 Depth=2
	s_andn2_saveexec_b64 s[90:91], s[90:91]
; %bb.624:                              ;   in Loop: Header=BB8_57 Depth=2
	v_or_b32_e32 v9, 0x10000, v10
	v_cmp_eq_u32_sdwa vcc, v10, v2 src0_sel:WORD_0 src1_sel:DWORD
	v_cndmask_b32_e32 v9, v9, v10, vcc
; %bb.625:                              ;   in Loop: Header=BB8_57 Depth=2
	s_or_b64 exec, exec, s[90:91]
	v_lshlrev_b32_e32 v10, 16, v11
	v_mul_f32_e32 v12, v10, v1
	v_and_b32_e32 v10, 0x7f800000, v12
	v_cmp_ne_u32_e32 vcc, s87, v10
                                        ; implicit-def: $vgpr10
	s_and_saveexec_b64 s[44:45], vcc
	s_xor_b64 s[90:91], exec, s[44:45]
; %bb.626:                              ;   in Loop: Header=BB8_57 Depth=2
	v_bfe_u32 v10, v12, 16, 1
	v_add3_u32 v10, v12, v10, s96
                                        ; implicit-def: $vgpr12
; %bb.627:                              ;   in Loop: Header=BB8_57 Depth=2
	s_andn2_saveexec_b64 s[90:91], s[90:91]
; %bb.628:                              ;   in Loop: Header=BB8_57 Depth=2
	v_or_b32_e32 v10, 0x10000, v12
	v_cmp_eq_u32_sdwa vcc, v12, v2 src0_sel:WORD_0 src1_sel:DWORD
	v_cndmask_b32_e32 v10, v10, v12, vcc
; %bb.629:                              ;   in Loop: Header=BB8_57 Depth=2
	s_or_b64 exec, exec, s[90:91]
	v_and_b32_e32 v11, 0xffff0000, v11
	v_mul_f32_e32 v11, v11, v1
	v_and_b32_e32 v1, 0x7f800000, v11
	v_cmp_ne_u32_e32 vcc, s87, v1
                                        ; implicit-def: $vgpr1
	s_and_saveexec_b64 s[44:45], vcc
	s_xor_b64 s[90:91], exec, s[44:45]
; %bb.630:                              ;   in Loop: Header=BB8_57 Depth=2
	v_bfe_u32 v1, v11, 16, 1
	v_add3_u32 v1, v11, v1, s96
                                        ; implicit-def: $vgpr11
; %bb.631:                              ;   in Loop: Header=BB8_57 Depth=2
	s_andn2_saveexec_b64 s[90:91], s[90:91]
; %bb.632:                              ;   in Loop: Header=BB8_57 Depth=2
	v_or_b32_e32 v1, 0x10000, v11
	v_cmp_eq_u32_sdwa vcc, v11, v2 src0_sel:WORD_0 src1_sel:DWORD
	v_cndmask_b32_e32 v1, v1, v11, vcc
; %bb.633:                              ;   in Loop: Header=BB8_57 Depth=2
	s_or_b64 exec, exec, s[90:91]
	v_lshrrev_b32_e32 v0, 16, v0
	v_and_or_b32 v11, v3, s97, v0
	v_lshrrev_b32_e32 v0, 16, v8
	v_lshrrev_b32_e32 v4, 16, v4
	v_and_or_b32 v13, v9, s97, v0
	v_lshrrev_b32_e32 v0, 16, v10
	v_and_or_b32 v12, v5, s97, v4
	v_and_or_b32 v14, v1, s97, v0
	global_store_dwordx4 v[6:7], v[11:14], off glc slc
.LBB8_634:                              ;   in Loop: Header=BB8_57 Depth=2
	s_or_b64 exec, exec, s[88:89]
	s_waitcnt vmcnt(0)
	v_and_b32_e32 v1, 14, v15
	v_cndmask_b32_e64 v0, v22, v1, s[26:27]
	v_cmp_ne_u32_e32 vcc, 0, v0
	s_mov_b64 s[90:91], s[76:77]
	buffer_store_dword v0, off, s[0:3], s33 offset:328 ; 4-byte Folded Spill
                                        ; implicit-def: $vgpr4
                                        ; implicit-def: $vgpr0
                                        ; implicit-def: $vgpr10
	s_and_saveexec_b64 s[88:89], vcc
	s_cbranch_execz .LBB8_636
; %bb.635:                              ;   in Loop: Header=BB8_57 Depth=2
	v_sub_u32_e32 v0, v22, v1
	v_cndmask_b32_e64 v0, 0, v0, s[26:27]
	v_add3_u32 v4, v20, v18, v0
	buffer_load_dword v0, off, s[0:3], s33 offset:128 ; 4-byte Folded Reload
	v_cmp_lt_i32_e32 vcc, 0, v21
	s_or_b64 s[90:91], s[76:77], exec
	s_waitcnt vmcnt(0)
	v_cndmask_b32_e32 v0, 0, v0, vcc
	v_sub_u32_e32 v0, v0, v21
	v_lshl_add_u32 v0, v0, 6, v19
	v_ashrrev_i32_e32 v1, 31, v0
	v_lshrrev_b32_e32 v1, 26, v1
	v_add_u32_e32 v1, v0, v1
	v_and_b32_e32 v1, 0xffffffc0, v1
	v_sub_u32_e32 v10, v0, v1
.LBB8_636:                              ;   in Loop: Header=BB8_57 Depth=2
	s_or_b64 exec, exec, s[88:89]
	s_andn2_b64 s[26:27], s[76:77], exec
	s_and_b64 s[44:45], s[90:91], exec
	s_or_b64 s[76:77], s[26:27], s[44:45]
.LBB8_637:                              ;   in Loop: Header=BB8_57 Depth=2
	s_or_b64 exec, exec, s[78:79]
	buffer_load_dword v7, off, s[0:3], s33 offset:336 ; 4-byte Folded Reload
	buffer_load_dword v8, off, s[0:3], s33 offset:340 ; 4-byte Folded Reload
	buffer_load_dword v29, off, s[0:3], s33 offset:328 ; 4-byte Folded Reload
	s_and_saveexec_b64 s[26:27], s[76:77]
	s_cbranch_execz .LBB8_766
.LBB8_638:                              ;   in Loop: Header=BB8_57 Depth=2
	s_waitcnt vmcnt(1)
	v_ashrrev_i32_e32 v1, 31, v0
	v_lshrrev_b32_e32 v1, 26, v1
	v_add_u32_e32 v0, v0, v1
	v_ashrrev_i32_e32 v0, 6, v0
	v_lshlrev_b32_e32 v1, 10, v0
	s_waitcnt vmcnt(0)
	v_lshlrev_b32_e32 v3, 1, v10
	v_add3_u32 v5, v4, v3, v1
	v_ashrrev_i32_e32 v1, 31, v29
	v_lshrrev_b32_e32 v1, 22, v1
	v_add_u32_e32 v1, v29, v1
	v_ashrrev_i32_e32 v11, 10, v1
	v_ashrrev_i32_e32 v12, 31, v5
	v_add_co_u32_e32 v6, vcc, v7, v5
	v_mov_b32_e32 v28, v8
	v_sub_u32_e32 v1, v11, v0
	v_mov_b32_e32 v27, v7
	v_addc_co_u32_e32 v7, vcc, v8, v12, vcc
	v_cmp_lt_i32_e32 vcc, 0, v1
	v_mov_b32_e32 v3, 0
	s_mov_b64 s[78:79], 0
	v_mov_b32_e32 v9, 0
	v_mov_b32_e32 v17, 0
	;; [unrolled: 1-line block ×7, first 2 shown]
	s_and_saveexec_b64 s[76:77], vcc
	s_cbranch_execz .LBB8_710
; %bb.639:                              ;   in Loop: Header=BB8_57 Depth=2
	s_trap 2
	ds_read_b32 v0, v0
	v_add_co_u32_e32 v8, vcc, v5, v42
	v_addc_co_u32_e32 v9, vcc, v12, v43, vcc
	s_waitcnt lgkmcnt(0)
	v_lshlrev_b32_e32 v3, 16, v0
	s_mov_b64 s[90:91], 0
	s_mov_b64 s[88:89], 0
                                        ; implicit-def: $sgpr78_sgpr79
                                        ; implicit-def: $vgpr24
                                        ; implicit-def: $vgpr22
                                        ; implicit-def: $vgpr20
                                        ; implicit-def: $vgpr18
                                        ; implicit-def: $vgpr16
                                        ; implicit-def: $vgpr13
                                        ; implicit-def: $vgpr12
                                        ; implicit-def: $vgpr5
	s_branch .LBB8_641
.LBB8_640:                              ;   in Loop: Header=BB8_641 Depth=3
	s_or_b64 exec, exec, s[92:93]
	flat_store_short_d16_hi v[6:7], v0 glc slc
	flat_store_short_d16_hi v[6:7], v25 offset:128 glc slc
	flat_store_short_d16_hi v[6:7], v23 offset:256 glc slc
	;; [unrolled: 1-line block ×7, first 2 shown]
	v_cndmask_b32_e64 v14, 0, v54, s[90:91]
	v_cndmask_b32_e64 v0, 0, v55, s[90:91]
	v_add_co_u32_e32 v8, vcc, v8, v14
	v_addc_co_u32_e32 v9, vcc, v9, v0, vcc
	buffer_load_dword v0, off, s[0:3], s33 offset:140 ; 4-byte Folded Reload
	buffer_load_dword v14, off, s[0:3], s33 offset:136 ; 4-byte Folded Reload
	v_mov_b32_e32 v15, 0x400
	s_waitcnt vmcnt(0)
	v_cndmask_b32_e64 v0, 0, v0, s[90:91]
	v_cndmask_b32_e64 v14, v15, v14, s[90:91]
	v_add_co_u32_e32 v6, vcc, v6, v14
	v_addc_co_u32_e32 v7, vcc, v7, v0, vcc
	buffer_load_dword v0, off, s[0:3], s33 offset:128 ; 4-byte Folded Reload
	s_waitcnt vmcnt(0)
	v_cndmask_b32_e64 v0, 0, v0, s[90:91]
	v_sub_u32_e32 v1, v1, v0
	v_cmp_gt_i32_e32 vcc, 1, v1
	s_or_b64 s[88:89], vcc, s[88:89]
	s_andn2_b64 s[44:45], s[78:79], exec
	s_and_b64 s[78:79], s[90:91], exec
	s_or_b64 s[78:79], s[44:45], s[78:79]
	s_andn2_b64 exec, exec, s[88:89]
	s_cbranch_execz .LBB8_709
.LBB8_641:                              ;   Parent Loop BB8_47 Depth=1
                                        ;     Parent Loop BB8_57 Depth=2
                                        ; =>    This Inner Loop Header: Depth=3
	flat_load_ushort v26, v[8:9] glc slc
	flat_load_ushort v25, v[8:9] offset:128 glc slc
	flat_load_ushort v23, v[8:9] offset:256 glc slc
	;; [unrolled: 1-line block ×7, first 2 shown]
	s_and_saveexec_b64 s[92:93], s[90:91]
	s_cbranch_execz .LBB8_675
; %bb.642:                              ;   in Loop: Header=BB8_641 Depth=3
	v_lshlrev_b32_e32 v0, 16, v24
	v_mul_f32_e32 v24, v3, v0
	v_and_b32_e32 v0, 0x7f800000, v24
	v_cmp_ne_u32_e32 vcc, s87, v0
                                        ; implicit-def: $vgpr0
	s_and_saveexec_b64 s[44:45], vcc
	s_xor_b64 s[90:91], exec, s[44:45]
; %bb.643:                              ;   in Loop: Header=BB8_641 Depth=3
	v_bfe_u32 v0, v24, 16, 1
	v_add3_u32 v0, v24, v0, s96
                                        ; implicit-def: $vgpr24
; %bb.644:                              ;   in Loop: Header=BB8_641 Depth=3
	s_andn2_saveexec_b64 s[90:91], s[90:91]
; %bb.645:                              ;   in Loop: Header=BB8_641 Depth=3
	v_or_b32_e32 v0, 0x10000, v24
	v_cmp_eq_u32_sdwa vcc, v24, v2 src0_sel:WORD_0 src1_sel:DWORD
	v_cndmask_b32_e32 v0, v0, v24, vcc
; %bb.646:                              ;   in Loop: Header=BB8_641 Depth=3
	s_or_b64 exec, exec, s[90:91]
	v_lshlrev_b32_e32 v22, 16, v22
	v_mul_f32_e32 v24, v3, v22
	v_and_b32_e32 v22, 0x7f800000, v24
	v_cmp_ne_u32_e32 vcc, s87, v22
                                        ; implicit-def: $vgpr22
	s_and_saveexec_b64 s[44:45], vcc
	s_xor_b64 s[90:91], exec, s[44:45]
; %bb.647:                              ;   in Loop: Header=BB8_641 Depth=3
	v_bfe_u32 v22, v24, 16, 1
	v_add3_u32 v22, v24, v22, s96
                                        ; implicit-def: $vgpr24
; %bb.648:                              ;   in Loop: Header=BB8_641 Depth=3
	s_andn2_saveexec_b64 s[90:91], s[90:91]
; %bb.649:                              ;   in Loop: Header=BB8_641 Depth=3
	v_or_b32_e32 v22, 0x10000, v24
	v_cmp_eq_u32_sdwa vcc, v24, v2 src0_sel:WORD_0 src1_sel:DWORD
	v_cndmask_b32_e32 v22, v22, v24, vcc
; %bb.650:                              ;   in Loop: Header=BB8_641 Depth=3
	s_or_b64 exec, exec, s[90:91]
	v_lshlrev_b32_e32 v20, 16, v20
	v_mul_f32_e32 v24, v3, v20
	v_and_b32_e32 v20, 0x7f800000, v24
	v_cmp_ne_u32_e32 vcc, s87, v20
                                        ; implicit-def: $vgpr20
	s_and_saveexec_b64 s[44:45], vcc
	s_xor_b64 s[90:91], exec, s[44:45]
; %bb.651:                              ;   in Loop: Header=BB8_641 Depth=3
	v_bfe_u32 v20, v24, 16, 1
	v_add3_u32 v20, v24, v20, s96
                                        ; implicit-def: $vgpr24
; %bb.652:                              ;   in Loop: Header=BB8_641 Depth=3
	s_andn2_saveexec_b64 s[90:91], s[90:91]
; %bb.653:                              ;   in Loop: Header=BB8_641 Depth=3
	v_or_b32_e32 v20, 0x10000, v24
	v_cmp_eq_u32_sdwa vcc, v24, v2 src0_sel:WORD_0 src1_sel:DWORD
	v_cndmask_b32_e32 v20, v20, v24, vcc
; %bb.654:                              ;   in Loop: Header=BB8_641 Depth=3
	s_or_b64 exec, exec, s[90:91]
	v_lshlrev_b32_e32 v18, 16, v18
	v_mul_f32_e32 v24, v3, v18
	v_and_b32_e32 v18, 0x7f800000, v24
	v_cmp_ne_u32_e32 vcc, s87, v18
                                        ; implicit-def: $vgpr18
	s_and_saveexec_b64 s[44:45], vcc
	s_xor_b64 s[90:91], exec, s[44:45]
; %bb.655:                              ;   in Loop: Header=BB8_641 Depth=3
	v_bfe_u32 v18, v24, 16, 1
	v_add3_u32 v18, v24, v18, s96
                                        ; implicit-def: $vgpr24
; %bb.656:                              ;   in Loop: Header=BB8_641 Depth=3
	s_andn2_saveexec_b64 s[90:91], s[90:91]
; %bb.657:                              ;   in Loop: Header=BB8_641 Depth=3
	v_or_b32_e32 v18, 0x10000, v24
	v_cmp_eq_u32_sdwa vcc, v24, v2 src0_sel:WORD_0 src1_sel:DWORD
	v_cndmask_b32_e32 v18, v18, v24, vcc
; %bb.658:                              ;   in Loop: Header=BB8_641 Depth=3
	s_or_b64 exec, exec, s[90:91]
	v_lshlrev_b32_e32 v16, 16, v16
	v_mul_f32_e32 v24, v3, v16
	v_and_b32_e32 v16, 0x7f800000, v24
	v_cmp_ne_u32_e32 vcc, s87, v16
                                        ; implicit-def: $vgpr16
	s_and_saveexec_b64 s[44:45], vcc
	s_xor_b64 s[90:91], exec, s[44:45]
; %bb.659:                              ;   in Loop: Header=BB8_641 Depth=3
	v_bfe_u32 v16, v24, 16, 1
	v_add3_u32 v16, v24, v16, s96
                                        ; implicit-def: $vgpr24
; %bb.660:                              ;   in Loop: Header=BB8_641 Depth=3
	s_andn2_saveexec_b64 s[90:91], s[90:91]
; %bb.661:                              ;   in Loop: Header=BB8_641 Depth=3
	v_or_b32_e32 v16, 0x10000, v24
	v_cmp_eq_u32_sdwa vcc, v24, v2 src0_sel:WORD_0 src1_sel:DWORD
	v_cndmask_b32_e32 v16, v16, v24, vcc
; %bb.662:                              ;   in Loop: Header=BB8_641 Depth=3
	s_or_b64 exec, exec, s[90:91]
	v_lshlrev_b32_e32 v13, 16, v13
	v_mul_f32_e32 v24, v3, v13
	v_and_b32_e32 v13, 0x7f800000, v24
	v_cmp_ne_u32_e32 vcc, s87, v13
                                        ; implicit-def: $vgpr13
	s_and_saveexec_b64 s[44:45], vcc
	s_xor_b64 s[90:91], exec, s[44:45]
; %bb.663:                              ;   in Loop: Header=BB8_641 Depth=3
	v_bfe_u32 v13, v24, 16, 1
	v_add3_u32 v13, v24, v13, s96
                                        ; implicit-def: $vgpr24
; %bb.664:                              ;   in Loop: Header=BB8_641 Depth=3
	s_andn2_saveexec_b64 s[90:91], s[90:91]
; %bb.665:                              ;   in Loop: Header=BB8_641 Depth=3
	v_or_b32_e32 v13, 0x10000, v24
	v_cmp_eq_u32_sdwa vcc, v24, v2 src0_sel:WORD_0 src1_sel:DWORD
	v_cndmask_b32_e32 v13, v13, v24, vcc
; %bb.666:                              ;   in Loop: Header=BB8_641 Depth=3
	s_or_b64 exec, exec, s[90:91]
	v_lshlrev_b32_e32 v12, 16, v12
	v_mul_f32_e32 v24, v3, v12
	v_and_b32_e32 v12, 0x7f800000, v24
	v_cmp_ne_u32_e32 vcc, s87, v12
                                        ; implicit-def: $vgpr12
	s_and_saveexec_b64 s[44:45], vcc
	s_xor_b64 s[90:91], exec, s[44:45]
; %bb.667:                              ;   in Loop: Header=BB8_641 Depth=3
	v_bfe_u32 v12, v24, 16, 1
	v_add3_u32 v12, v24, v12, s96
                                        ; implicit-def: $vgpr24
; %bb.668:                              ;   in Loop: Header=BB8_641 Depth=3
	s_andn2_saveexec_b64 s[90:91], s[90:91]
; %bb.669:                              ;   in Loop: Header=BB8_641 Depth=3
	v_or_b32_e32 v12, 0x10000, v24
	v_cmp_eq_u32_sdwa vcc, v24, v2 src0_sel:WORD_0 src1_sel:DWORD
	v_cndmask_b32_e32 v12, v12, v24, vcc
; %bb.670:                              ;   in Loop: Header=BB8_641 Depth=3
	s_or_b64 exec, exec, s[90:91]
	v_lshlrev_b32_e32 v5, 16, v5
	v_mul_f32_e32 v24, v3, v5
	v_and_b32_e32 v5, 0x7f800000, v24
	v_cmp_ne_u32_e32 vcc, s87, v5
                                        ; implicit-def: $vgpr5
	s_and_saveexec_b64 s[44:45], vcc
	s_xor_b64 s[90:91], exec, s[44:45]
; %bb.671:                              ;   in Loop: Header=BB8_641 Depth=3
	v_bfe_u32 v5, v24, 16, 1
	v_add3_u32 v5, v24, v5, s96
                                        ; implicit-def: $vgpr24
; %bb.672:                              ;   in Loop: Header=BB8_641 Depth=3
	s_andn2_saveexec_b64 s[90:91], s[90:91]
; %bb.673:                              ;   in Loop: Header=BB8_641 Depth=3
	v_or_b32_e32 v5, 0x10000, v24
	v_cmp_eq_u32_sdwa vcc, v24, v2 src0_sel:WORD_0 src1_sel:DWORD
	v_cndmask_b32_e32 v5, v5, v24, vcc
; %bb.674:                              ;   in Loop: Header=BB8_641 Depth=3
	s_or_b64 exec, exec, s[90:91]
	v_lshrrev_b32_e32 v24, 16, v0
	v_lshrrev_b32_e32 v12, 16, v12
	;; [unrolled: 1-line block ×8, first 2 shown]
	flat_store_short v[6:7], v24 glc slc
	flat_store_short v[6:7], v22 offset:128 glc slc
	flat_store_short v[6:7], v20 offset:256 glc slc
	;; [unrolled: 1-line block ×7, first 2 shown]
	buffer_load_dword v0, off, s[0:3], s33 offset:136 ; 4-byte Folded Reload
	s_waitcnt vmcnt(0)
	v_add_co_u32_e32 v6, vcc, v6, v0
	buffer_load_dword v0, off, s[0:3], s33 offset:140 ; 4-byte Folded Reload
	s_waitcnt vmcnt(0)
	v_addc_co_u32_e32 v7, vcc, v7, v0, vcc
.LBB8_675:                              ;   in Loop: Header=BB8_641 Depth=3
	s_or_b64 exec, exec, s[92:93]
	buffer_load_dword v0, off, s[0:3], s33 offset:136 ; 4-byte Folded Reload
	s_waitcnt vmcnt(0)
	v_add_co_u32_e32 v8, vcc, v8, v0
	buffer_load_dword v0, off, s[0:3], s33 offset:140 ; 4-byte Folded Reload
	s_waitcnt vmcnt(0)
	v_addc_co_u32_e32 v9, vcc, v9, v0, vcc
	buffer_load_dword v0, off, s[0:3], s33 offset:128 ; 4-byte Folded Reload
	s_waitcnt vmcnt(0)
	v_sub_u32_e32 v1, v1, v0
	v_cmp_lt_i32_e64 s[90:91], 0, v1
	s_and_saveexec_b64 s[92:93], s[90:91]
	s_cbranch_execz .LBB8_677
; %bb.676:                              ;   in Loop: Header=BB8_641 Depth=3
	flat_load_ushort v24, v[8:9] glc slc
	flat_load_ushort v22, v[8:9] offset:128 glc slc
	flat_load_ushort v20, v[8:9] offset:256 glc slc
	flat_load_ushort v18, v[8:9] offset:384 glc slc
	flat_load_ushort v16, v[8:9] offset:512 glc slc
	flat_load_ushort v13, v[8:9] offset:640 glc slc
	flat_load_ushort v12, v[8:9] offset:768 glc slc
	flat_load_ushort v5, v[8:9] offset:896 glc slc
	v_add_co_u32_e32 v8, vcc, 0x400, v8
	v_addc_co_u32_e32 v9, vcc, 0, v9, vcc
.LBB8_677:                              ;   in Loop: Header=BB8_641 Depth=3
	s_or_b64 exec, exec, s[92:93]
	s_waitcnt lgkmcnt(0)
	v_lshlrev_b32_e32 v0, 16, v26
	v_mul_f32_e32 v26, v3, v0
	v_and_b32_e32 v0, 0x7f800000, v26
	v_cmp_ne_u32_e32 vcc, s87, v0
                                        ; implicit-def: $vgpr0
	s_and_saveexec_b64 s[44:45], vcc
	s_xor_b64 s[92:93], exec, s[44:45]
; %bb.678:                              ;   in Loop: Header=BB8_641 Depth=3
	v_bfe_u32 v0, v26, 16, 1
	v_add3_u32 v0, v26, v0, s96
                                        ; implicit-def: $vgpr26
; %bb.679:                              ;   in Loop: Header=BB8_641 Depth=3
	s_andn2_saveexec_b64 s[92:93], s[92:93]
; %bb.680:                              ;   in Loop: Header=BB8_641 Depth=3
	v_or_b32_e32 v0, 0x10000, v26
	v_cmp_eq_u32_sdwa vcc, v26, v2 src0_sel:WORD_0 src1_sel:DWORD
	v_cndmask_b32_e32 v0, v0, v26, vcc
; %bb.681:                              ;   in Loop: Header=BB8_641 Depth=3
	s_or_b64 exec, exec, s[92:93]
	v_lshlrev_b32_e32 v25, 16, v25
	v_mul_f32_e32 v26, v3, v25
	v_and_b32_e32 v25, 0x7f800000, v26
	v_cmp_ne_u32_e32 vcc, s87, v25
                                        ; implicit-def: $vgpr25
	s_and_saveexec_b64 s[44:45], vcc
	s_xor_b64 s[92:93], exec, s[44:45]
; %bb.682:                              ;   in Loop: Header=BB8_641 Depth=3
	v_bfe_u32 v25, v26, 16, 1
	v_add3_u32 v25, v26, v25, s96
                                        ; implicit-def: $vgpr26
; %bb.683:                              ;   in Loop: Header=BB8_641 Depth=3
	s_andn2_saveexec_b64 s[92:93], s[92:93]
; %bb.684:                              ;   in Loop: Header=BB8_641 Depth=3
	v_or_b32_e32 v25, 0x10000, v26
	v_cmp_eq_u32_sdwa vcc, v26, v2 src0_sel:WORD_0 src1_sel:DWORD
	v_cndmask_b32_e32 v25, v25, v26, vcc
; %bb.685:                              ;   in Loop: Header=BB8_641 Depth=3
	s_or_b64 exec, exec, s[92:93]
	v_lshlrev_b32_e32 v23, 16, v23
	v_mul_f32_e32 v26, v3, v23
	v_and_b32_e32 v23, 0x7f800000, v26
	v_cmp_ne_u32_e32 vcc, s87, v23
                                        ; implicit-def: $vgpr23
	s_and_saveexec_b64 s[44:45], vcc
	s_xor_b64 s[92:93], exec, s[44:45]
; %bb.686:                              ;   in Loop: Header=BB8_641 Depth=3
	v_bfe_u32 v23, v26, 16, 1
	v_add3_u32 v23, v26, v23, s96
                                        ; implicit-def: $vgpr26
; %bb.687:                              ;   in Loop: Header=BB8_641 Depth=3
	s_andn2_saveexec_b64 s[92:93], s[92:93]
; %bb.688:                              ;   in Loop: Header=BB8_641 Depth=3
	v_or_b32_e32 v23, 0x10000, v26
	v_cmp_eq_u32_sdwa vcc, v26, v2 src0_sel:WORD_0 src1_sel:DWORD
	v_cndmask_b32_e32 v23, v23, v26, vcc
; %bb.689:                              ;   in Loop: Header=BB8_641 Depth=3
	s_or_b64 exec, exec, s[92:93]
	v_lshlrev_b32_e32 v21, 16, v21
	v_mul_f32_e32 v26, v3, v21
	v_and_b32_e32 v21, 0x7f800000, v26
	v_cmp_ne_u32_e32 vcc, s87, v21
                                        ; implicit-def: $vgpr21
	s_and_saveexec_b64 s[44:45], vcc
	s_xor_b64 s[92:93], exec, s[44:45]
; %bb.690:                              ;   in Loop: Header=BB8_641 Depth=3
	v_bfe_u32 v21, v26, 16, 1
	v_add3_u32 v21, v26, v21, s96
                                        ; implicit-def: $vgpr26
; %bb.691:                              ;   in Loop: Header=BB8_641 Depth=3
	s_andn2_saveexec_b64 s[92:93], s[92:93]
; %bb.692:                              ;   in Loop: Header=BB8_641 Depth=3
	v_or_b32_e32 v21, 0x10000, v26
	v_cmp_eq_u32_sdwa vcc, v26, v2 src0_sel:WORD_0 src1_sel:DWORD
	v_cndmask_b32_e32 v21, v21, v26, vcc
; %bb.693:                              ;   in Loop: Header=BB8_641 Depth=3
	s_or_b64 exec, exec, s[92:93]
	v_lshlrev_b32_e32 v19, 16, v19
	v_mul_f32_e32 v26, v3, v19
	v_and_b32_e32 v19, 0x7f800000, v26
	v_cmp_ne_u32_e32 vcc, s87, v19
                                        ; implicit-def: $vgpr19
	s_and_saveexec_b64 s[44:45], vcc
	s_xor_b64 s[92:93], exec, s[44:45]
; %bb.694:                              ;   in Loop: Header=BB8_641 Depth=3
	v_bfe_u32 v19, v26, 16, 1
	v_add3_u32 v19, v26, v19, s96
                                        ; implicit-def: $vgpr26
; %bb.695:                              ;   in Loop: Header=BB8_641 Depth=3
	s_andn2_saveexec_b64 s[92:93], s[92:93]
; %bb.696:                              ;   in Loop: Header=BB8_641 Depth=3
	v_or_b32_e32 v19, 0x10000, v26
	v_cmp_eq_u32_sdwa vcc, v26, v2 src0_sel:WORD_0 src1_sel:DWORD
	v_cndmask_b32_e32 v19, v19, v26, vcc
; %bb.697:                              ;   in Loop: Header=BB8_641 Depth=3
	s_or_b64 exec, exec, s[92:93]
	v_lshlrev_b32_e32 v17, 16, v17
	v_mul_f32_e32 v26, v3, v17
	v_and_b32_e32 v17, 0x7f800000, v26
	v_cmp_ne_u32_e32 vcc, s87, v17
                                        ; implicit-def: $vgpr17
	s_and_saveexec_b64 s[44:45], vcc
	s_xor_b64 s[92:93], exec, s[44:45]
; %bb.698:                              ;   in Loop: Header=BB8_641 Depth=3
	v_bfe_u32 v17, v26, 16, 1
	v_add3_u32 v17, v26, v17, s96
                                        ; implicit-def: $vgpr26
; %bb.699:                              ;   in Loop: Header=BB8_641 Depth=3
	s_andn2_saveexec_b64 s[92:93], s[92:93]
; %bb.700:                              ;   in Loop: Header=BB8_641 Depth=3
	v_or_b32_e32 v17, 0x10000, v26
	v_cmp_eq_u32_sdwa vcc, v26, v2 src0_sel:WORD_0 src1_sel:DWORD
	v_cndmask_b32_e32 v17, v17, v26, vcc
; %bb.701:                              ;   in Loop: Header=BB8_641 Depth=3
	s_or_b64 exec, exec, s[92:93]
	v_lshlrev_b32_e32 v15, 16, v15
	v_mul_f32_e32 v26, v3, v15
	v_and_b32_e32 v15, 0x7f800000, v26
	v_cmp_ne_u32_e32 vcc, s87, v15
                                        ; implicit-def: $vgpr15
	s_and_saveexec_b64 s[44:45], vcc
	s_xor_b64 s[92:93], exec, s[44:45]
; %bb.702:                              ;   in Loop: Header=BB8_641 Depth=3
	v_bfe_u32 v15, v26, 16, 1
	v_add3_u32 v15, v26, v15, s96
                                        ; implicit-def: $vgpr26
; %bb.703:                              ;   in Loop: Header=BB8_641 Depth=3
	s_andn2_saveexec_b64 s[92:93], s[92:93]
; %bb.704:                              ;   in Loop: Header=BB8_641 Depth=3
	v_or_b32_e32 v15, 0x10000, v26
	v_cmp_eq_u32_sdwa vcc, v26, v2 src0_sel:WORD_0 src1_sel:DWORD
	v_cndmask_b32_e32 v15, v15, v26, vcc
; %bb.705:                              ;   in Loop: Header=BB8_641 Depth=3
	s_or_b64 exec, exec, s[92:93]
	v_lshlrev_b32_e32 v14, 16, v14
	v_mul_f32_e32 v26, v3, v14
	v_and_b32_e32 v14, 0x7f800000, v26
	v_cmp_ne_u32_e32 vcc, s87, v14
                                        ; implicit-def: $vgpr14
	s_and_saveexec_b64 s[44:45], vcc
	s_xor_b64 s[92:93], exec, s[44:45]
; %bb.706:                              ;   in Loop: Header=BB8_641 Depth=3
	v_bfe_u32 v14, v26, 16, 1
	v_add3_u32 v14, v26, v14, s96
                                        ; implicit-def: $vgpr26
; %bb.707:                              ;   in Loop: Header=BB8_641 Depth=3
	s_andn2_saveexec_b64 s[92:93], s[92:93]
	s_cbranch_execz .LBB8_640
; %bb.708:                              ;   in Loop: Header=BB8_641 Depth=3
	v_or_b32_e32 v14, 0x10000, v26
	v_cmp_eq_u32_sdwa vcc, v26, v2 src0_sel:WORD_0 src1_sel:DWORD
	v_cndmask_b32_e32 v14, v14, v26, vcc
	s_branch .LBB8_640
.LBB8_709:                              ;   in Loop: Header=BB8_57 Depth=2
	s_or_b64 exec, exec, s[88:89]
	v_lshlrev_b32_e32 v3, 16, v24
	v_lshlrev_b32_e32 v9, 16, v22
	;; [unrolled: 1-line block ×8, first 2 shown]
	s_and_b64 s[78:79], s[78:79], exec
.LBB8_710:                              ;   in Loop: Header=BB8_57 Depth=2
	s_or_b64 exec, exec, s[76:77]
	s_and_saveexec_b64 s[76:77], s[78:79]
	s_cbranch_execz .LBB8_744
; %bb.711:                              ;   in Loop: Header=BB8_57 Depth=2
	s_trap 2
	ds_read_b32 v5, v0
	s_waitcnt lgkmcnt(0)
	v_lshlrev_b32_e32 v5, 16, v5
	v_mul_f32_e32 v12, v3, v5
	v_and_b32_e32 v3, 0x7f800000, v12
	v_cmp_ne_u32_e32 vcc, s87, v3
                                        ; implicit-def: $vgpr3
	s_and_saveexec_b64 s[44:45], vcc
	s_xor_b64 s[78:79], exec, s[44:45]
; %bb.712:                              ;   in Loop: Header=BB8_57 Depth=2
	v_bfe_u32 v3, v12, 16, 1
	v_add3_u32 v3, v12, v3, s96
                                        ; implicit-def: $vgpr12
; %bb.713:                              ;   in Loop: Header=BB8_57 Depth=2
	s_andn2_saveexec_b64 s[78:79], s[78:79]
; %bb.714:                              ;   in Loop: Header=BB8_57 Depth=2
	v_or_b32_e32 v3, 0x10000, v12
	v_cmp_eq_u32_sdwa vcc, v12, v2 src0_sel:WORD_0 src1_sel:DWORD
	v_cndmask_b32_e32 v3, v3, v12, vcc
; %bb.715:                              ;   in Loop: Header=BB8_57 Depth=2
	s_or_b64 exec, exec, s[78:79]
	v_mul_f32_e32 v12, v9, v5
	v_and_b32_e32 v9, 0x7f800000, v12
	v_cmp_ne_u32_e32 vcc, s87, v9
                                        ; implicit-def: $vgpr9
	s_and_saveexec_b64 s[44:45], vcc
	s_xor_b64 s[78:79], exec, s[44:45]
; %bb.716:                              ;   in Loop: Header=BB8_57 Depth=2
	v_bfe_u32 v9, v12, 16, 1
	v_add3_u32 v9, v12, v9, s96
                                        ; implicit-def: $vgpr12
; %bb.717:                              ;   in Loop: Header=BB8_57 Depth=2
	s_andn2_saveexec_b64 s[78:79], s[78:79]
; %bb.718:                              ;   in Loop: Header=BB8_57 Depth=2
	v_or_b32_e32 v9, 0x10000, v12
	v_cmp_eq_u32_sdwa vcc, v12, v2 src0_sel:WORD_0 src1_sel:DWORD
	v_cndmask_b32_e32 v9, v9, v12, vcc
; %bb.719:                              ;   in Loop: Header=BB8_57 Depth=2
	s_or_b64 exec, exec, s[78:79]
	v_mul_f32_e32 v16, v17, v5
	v_and_b32_e32 v12, 0x7f800000, v16
	v_cmp_ne_u32_e32 vcc, s87, v12
                                        ; implicit-def: $vgpr12
	s_and_saveexec_b64 s[44:45], vcc
	s_xor_b64 s[78:79], exec, s[44:45]
; %bb.720:                              ;   in Loop: Header=BB8_57 Depth=2
	v_bfe_u32 v12, v16, 16, 1
	v_add3_u32 v12, v16, v12, s96
                                        ; implicit-def: $vgpr16
; %bb.721:                              ;   in Loop: Header=BB8_57 Depth=2
	s_andn2_saveexec_b64 s[78:79], s[78:79]
; %bb.722:                              ;   in Loop: Header=BB8_57 Depth=2
	v_or_b32_e32 v12, 0x10000, v16
	v_cmp_eq_u32_sdwa vcc, v16, v2 src0_sel:WORD_0 src1_sel:DWORD
	v_cndmask_b32_e32 v12, v12, v16, vcc
; %bb.723:                              ;   in Loop: Header=BB8_57 Depth=2
	s_or_b64 exec, exec, s[78:79]
	v_mul_f32_e32 v16, v15, v5
	v_and_b32_e32 v15, 0x7f800000, v16
	v_cmp_ne_u32_e32 vcc, s87, v15
                                        ; implicit-def: $vgpr15
	s_and_saveexec_b64 s[44:45], vcc
	s_xor_b64 s[78:79], exec, s[44:45]
; %bb.724:                              ;   in Loop: Header=BB8_57 Depth=2
	v_bfe_u32 v15, v16, 16, 1
	v_add3_u32 v15, v16, v15, s96
                                        ; implicit-def: $vgpr16
; %bb.725:                              ;   in Loop: Header=BB8_57 Depth=2
	s_andn2_saveexec_b64 s[78:79], s[78:79]
; %bb.726:                              ;   in Loop: Header=BB8_57 Depth=2
	v_or_b32_e32 v15, 0x10000, v16
	v_cmp_eq_u32_sdwa vcc, v16, v2 src0_sel:WORD_0 src1_sel:DWORD
	v_cndmask_b32_e32 v15, v15, v16, vcc
; %bb.727:                              ;   in Loop: Header=BB8_57 Depth=2
	s_or_b64 exec, exec, s[78:79]
	v_mul_f32_e32 v16, v14, v5
	v_and_b32_e32 v14, 0x7f800000, v16
	v_cmp_ne_u32_e32 vcc, s87, v14
                                        ; implicit-def: $vgpr14
	s_and_saveexec_b64 s[44:45], vcc
	s_xor_b64 s[78:79], exec, s[44:45]
; %bb.728:                              ;   in Loop: Header=BB8_57 Depth=2
	v_bfe_u32 v14, v16, 16, 1
	v_add3_u32 v14, v16, v14, s96
                                        ; implicit-def: $vgpr16
; %bb.729:                              ;   in Loop: Header=BB8_57 Depth=2
	s_andn2_saveexec_b64 s[78:79], s[78:79]
; %bb.730:                              ;   in Loop: Header=BB8_57 Depth=2
	v_or_b32_e32 v14, 0x10000, v16
	v_cmp_eq_u32_sdwa vcc, v16, v2 src0_sel:WORD_0 src1_sel:DWORD
	v_cndmask_b32_e32 v14, v14, v16, vcc
; %bb.731:                              ;   in Loop: Header=BB8_57 Depth=2
	s_or_b64 exec, exec, s[78:79]
	v_mul_f32_e32 v16, v13, v5
	v_and_b32_e32 v13, 0x7f800000, v16
	v_cmp_ne_u32_e32 vcc, s87, v13
                                        ; implicit-def: $vgpr13
	s_and_saveexec_b64 s[44:45], vcc
	s_xor_b64 s[78:79], exec, s[44:45]
; %bb.732:                              ;   in Loop: Header=BB8_57 Depth=2
	v_bfe_u32 v13, v16, 16, 1
	v_add3_u32 v13, v16, v13, s96
                                        ; implicit-def: $vgpr16
; %bb.733:                              ;   in Loop: Header=BB8_57 Depth=2
	s_andn2_saveexec_b64 s[78:79], s[78:79]
; %bb.734:                              ;   in Loop: Header=BB8_57 Depth=2
	v_or_b32_e32 v13, 0x10000, v16
	v_cmp_eq_u32_sdwa vcc, v16, v2 src0_sel:WORD_0 src1_sel:DWORD
	v_cndmask_b32_e32 v13, v13, v16, vcc
; %bb.735:                              ;   in Loop: Header=BB8_57 Depth=2
	s_or_b64 exec, exec, s[78:79]
	v_mul_f32_e32 v16, v8, v5
	v_and_b32_e32 v8, 0x7f800000, v16
	v_cmp_ne_u32_e32 vcc, s87, v8
                                        ; implicit-def: $vgpr8
	s_and_saveexec_b64 s[44:45], vcc
	s_xor_b64 s[78:79], exec, s[44:45]
; %bb.736:                              ;   in Loop: Header=BB8_57 Depth=2
	v_bfe_u32 v8, v16, 16, 1
	v_add3_u32 v8, v16, v8, s96
                                        ; implicit-def: $vgpr16
; %bb.737:                              ;   in Loop: Header=BB8_57 Depth=2
	s_andn2_saveexec_b64 s[78:79], s[78:79]
; %bb.738:                              ;   in Loop: Header=BB8_57 Depth=2
	v_or_b32_e32 v8, 0x10000, v16
	v_cmp_eq_u32_sdwa vcc, v16, v2 src0_sel:WORD_0 src1_sel:DWORD
	v_cndmask_b32_e32 v8, v8, v16, vcc
; %bb.739:                              ;   in Loop: Header=BB8_57 Depth=2
	s_or_b64 exec, exec, s[78:79]
	v_mul_f32_e32 v5, v0, v5
	v_and_b32_e32 v0, 0x7f800000, v5
	v_cmp_ne_u32_e32 vcc, s87, v0
                                        ; implicit-def: $vgpr0
	s_and_saveexec_b64 s[44:45], vcc
	s_xor_b64 s[78:79], exec, s[44:45]
; %bb.740:                              ;   in Loop: Header=BB8_57 Depth=2
	v_bfe_u32 v0, v5, 16, 1
	v_add3_u32 v0, v5, v0, s96
                                        ; implicit-def: $vgpr5
; %bb.741:                              ;   in Loop: Header=BB8_57 Depth=2
	s_andn2_saveexec_b64 s[78:79], s[78:79]
; %bb.742:                              ;   in Loop: Header=BB8_57 Depth=2
	v_or_b32_e32 v0, 0x10000, v5
	v_cmp_eq_u32_sdwa vcc, v5, v2 src0_sel:WORD_0 src1_sel:DWORD
	v_cndmask_b32_e32 v0, v0, v5, vcc
; %bb.743:                              ;   in Loop: Header=BB8_57 Depth=2
	s_or_b64 exec, exec, s[78:79]
	flat_store_short_d16_hi v[6:7], v3 glc slc
	flat_store_short_d16_hi v[6:7], v9 offset:128 glc slc
	flat_store_short_d16_hi v[6:7], v12 offset:256 glc slc
	flat_store_short_d16_hi v[6:7], v15 offset:384 glc slc
	flat_store_short_d16_hi v[6:7], v14 offset:512 glc slc
	flat_store_short_d16_hi v[6:7], v13 offset:640 glc slc
	flat_store_short_d16_hi v[6:7], v8 offset:768 glc slc
	flat_store_short_d16_hi v[6:7], v0 offset:896 glc slc
.LBB8_744:                              ;   in Loop: Header=BB8_57 Depth=2
	s_or_b64 exec, exec, s[76:77]
	v_lshlrev_b32_e32 v0, 10, v11
	v_cmp_ne_u32_e32 vcc, v29, v0
	s_and_b64 exec, exec, vcc
	s_cbranch_execz .LBB8_766
; %bb.745:                              ;   in Loop: Header=BB8_57 Depth=2
	v_lshlrev_b32_e32 v1, 6, v1
	v_sub_u32_e32 v1, v10, v1
	v_ashrrev_i32_e32 v3, 31, v1
	v_lshrrev_b32_e32 v3, 26, v3
	v_add_u32_e32 v3, v1, v3
	v_and_b32_e32 v5, 0x7fffffc0, v3
	v_sub_u32_e32 v1, v1, v5
	v_lshlrev_b32_e32 v3, 1, v3
	v_and_b32_e32 v3, 0xffffff80, v3
	v_lshlrev_b32_e32 v1, 1, v1
	v_add3_u32 v0, v3, v1, v0
	v_sub_u32_e32 v3, v29, v0
	v_cmp_lt_i32_e32 vcc, 1, v3
	s_and_b64 exec, exec, vcc
	s_cbranch_execz .LBB8_766
; %bb.746:                              ;   in Loop: Header=BB8_57 Depth=2
	v_add_u32_e32 v0, v0, v4
	v_ashrrev_i32_e32 v1, 31, v0
	v_add_co_u32_e32 v6, vcc, v27, v0
	v_addc_co_u32_e32 v7, vcc, v28, v1, vcc
	v_add_co_u32_e32 v8, vcc, v0, v42
	s_trap 2
	ds_read_b32 v0, v0
	v_addc_co_u32_e32 v9, vcc, v1, v43, vcc
	s_mov_b64 s[88:89], 0
	s_mov_b64 s[76:77], 0
	s_waitcnt lgkmcnt(0)
	v_lshlrev_b32_e32 v0, 16, v0
                                        ; implicit-def: $sgpr78_sgpr79
                                        ; implicit-def: $vgpr1
	s_branch .LBB8_748
.LBB8_747:                              ;   in Loop: Header=BB8_748 Depth=3
	s_or_b64 exec, exec, s[90:91]
	flat_store_short_d16_hi v[6:7], v5 glc slc
	buffer_load_dword v10, off, s[0:3], s33 offset:184 ; 4-byte Folded Reload
	buffer_load_dword v11, off, s[0:3], s33 offset:188 ; 4-byte Folded Reload
	s_waitcnt vmcnt(0)
	v_cndmask_b32_e64 v5, 0, v10, s[88:89]
	v_cndmask_b32_e64 v4, 0, v11, s[88:89]
	v_add_co_u32_e32 v8, vcc, v8, v5
	v_addc_co_u32_e32 v9, vcc, v9, v4, vcc
	buffer_load_dword v4, off, s[0:3], s33 offset:196 ; 4-byte Folded Reload
	buffer_load_dword v5, off, s[0:3], s33 offset:192 ; 4-byte Folded Reload
	v_mov_b32_e32 v10, 0x80
	s_waitcnt vmcnt(0)
	v_cndmask_b32_e64 v4, 0, v4, s[88:89]
	v_cndmask_b32_e64 v5, v10, v5, s[88:89]
	v_add_co_u32_e32 v6, vcc, v6, v5
	v_addc_co_u32_e32 v7, vcc, v7, v4, vcc
	buffer_load_dword v4, off, s[0:3], s33 offset:168 ; 4-byte Folded Reload
	s_waitcnt vmcnt(0)
	v_cndmask_b32_e64 v4, 0, v4, s[88:89]
	v_sub_u32_e32 v3, v3, v4
	v_cmp_gt_i32_e32 vcc, 2, v3
	s_or_b64 s[76:77], vcc, s[76:77]
	s_andn2_b64 s[44:45], s[78:79], exec
	s_and_b64 s[78:79], s[88:89], exec
	s_or_b64 s[78:79], s[44:45], s[78:79]
	s_andn2_b64 exec, exec, s[76:77]
	s_cbranch_execz .LBB8_760
.LBB8_748:                              ;   Parent Loop BB8_47 Depth=1
                                        ;     Parent Loop BB8_57 Depth=2
                                        ; =>    This Inner Loop Header: Depth=3
	flat_load_ushort v4, v[8:9] glc slc
	s_and_saveexec_b64 s[90:91], s[88:89]
	s_cbranch_execz .LBB8_754
; %bb.749:                              ;   in Loop: Header=BB8_748 Depth=3
	v_lshlrev_b32_e32 v1, 16, v1
	v_mul_f32_e32 v1, v0, v1
	v_and_b32_e32 v5, 0x7f800000, v1
	v_cmp_ne_u32_e32 vcc, s87, v5
                                        ; implicit-def: $vgpr5
	s_and_saveexec_b64 s[44:45], vcc
	s_xor_b64 s[88:89], exec, s[44:45]
; %bb.750:                              ;   in Loop: Header=BB8_748 Depth=3
	v_bfe_u32 v5, v1, 16, 1
	v_add3_u32 v5, v1, v5, s96
                                        ; implicit-def: $vgpr1
; %bb.751:                              ;   in Loop: Header=BB8_748 Depth=3
	s_andn2_saveexec_b64 s[88:89], s[88:89]
; %bb.752:                              ;   in Loop: Header=BB8_748 Depth=3
	v_or_b32_e32 v5, 0x10000, v1
	v_cmp_eq_u32_sdwa vcc, v1, v2 src0_sel:WORD_0 src1_sel:DWORD
	v_cndmask_b32_e32 v5, v5, v1, vcc
; %bb.753:                              ;   in Loop: Header=BB8_748 Depth=3
	s_or_b64 exec, exec, s[88:89]
	v_lshrrev_b32_e32 v1, 16, v5
	buffer_load_dword v5, off, s[0:3], s33 offset:192 ; 4-byte Folded Reload
	s_nop 0
	flat_store_short v[6:7], v1 glc slc
	s_waitcnt vmcnt(0)
	v_add_co_u32_e32 v6, vcc, v6, v5
	buffer_load_dword v5, off, s[0:3], s33 offset:196 ; 4-byte Folded Reload
	s_waitcnt vmcnt(0)
	v_addc_co_u32_e32 v7, vcc, v7, v5, vcc
.LBB8_754:                              ;   in Loop: Header=BB8_748 Depth=3
	s_or_b64 exec, exec, s[90:91]
	buffer_load_dword v5, off, s[0:3], s33 offset:192 ; 4-byte Folded Reload
	s_waitcnt vmcnt(0)
	v_add_co_u32_e32 v8, vcc, v8, v5
	buffer_load_dword v5, off, s[0:3], s33 offset:196 ; 4-byte Folded Reload
	s_waitcnt vmcnt(0)
	v_addc_co_u32_e32 v9, vcc, v9, v5, vcc
	buffer_load_dword v5, off, s[0:3], s33 offset:168 ; 4-byte Folded Reload
	s_waitcnt vmcnt(0)
	v_sub_u32_e32 v3, v3, v5
	v_cmp_lt_i32_e64 s[88:89], 1, v3
	s_and_saveexec_b64 s[90:91], s[88:89]
	s_cbranch_execz .LBB8_756
; %bb.755:                              ;   in Loop: Header=BB8_748 Depth=3
	flat_load_ushort v1, v[8:9] glc slc
	v_add_co_u32_e32 v8, vcc, 0x80, v8
	v_addc_co_u32_e32 v9, vcc, 0, v9, vcc
.LBB8_756:                              ;   in Loop: Header=BB8_748 Depth=3
	s_or_b64 exec, exec, s[90:91]
	s_waitcnt lgkmcnt(0)
	v_lshlrev_b32_e32 v4, 16, v4
	v_mul_f32_e32 v4, v0, v4
	v_and_b32_e32 v5, 0x7f800000, v4
	v_cmp_ne_u32_e32 vcc, s87, v5
                                        ; implicit-def: $vgpr5
	s_and_saveexec_b64 s[44:45], vcc
	s_xor_b64 s[90:91], exec, s[44:45]
; %bb.757:                              ;   in Loop: Header=BB8_748 Depth=3
	v_bfe_u32 v5, v4, 16, 1
	v_add3_u32 v5, v4, v5, s96
                                        ; implicit-def: $vgpr4
; %bb.758:                              ;   in Loop: Header=BB8_748 Depth=3
	s_andn2_saveexec_b64 s[90:91], s[90:91]
	s_cbranch_execz .LBB8_747
; %bb.759:                              ;   in Loop: Header=BB8_748 Depth=3
	v_or_b32_e32 v5, 0x10000, v4
	v_cmp_eq_u32_sdwa vcc, v4, v2 src0_sel:WORD_0 src1_sel:DWORD
	v_cndmask_b32_e32 v5, v5, v4, vcc
	s_branch .LBB8_747
.LBB8_760:                              ;   in Loop: Header=BB8_57 Depth=2
	s_or_b64 exec, exec, s[76:77]
	s_and_b64 exec, exec, s[78:79]
	s_cbranch_execz .LBB8_766
; %bb.761:                              ;   in Loop: Header=BB8_57 Depth=2
	v_lshlrev_b32_e32 v1, 16, v1
	v_mul_f32_e32 v0, v0, v1
	v_and_b32_e32 v1, 0x7f800000, v0
	v_cmp_ne_u32_e32 vcc, s87, v1
                                        ; implicit-def: $vgpr1
	s_and_saveexec_b64 s[44:45], vcc
	s_xor_b64 s[76:77], exec, s[44:45]
; %bb.762:                              ;   in Loop: Header=BB8_57 Depth=2
	v_bfe_u32 v1, v0, 16, 1
	v_add3_u32 v1, v0, v1, s96
                                        ; implicit-def: $vgpr0
; %bb.763:                              ;   in Loop: Header=BB8_57 Depth=2
	s_andn2_saveexec_b64 s[76:77], s[76:77]
; %bb.764:                              ;   in Loop: Header=BB8_57 Depth=2
	v_or_b32_e32 v1, 0x10000, v0
	v_cmp_eq_u32_sdwa vcc, v0, v2 src0_sel:WORD_0 src1_sel:DWORD
	v_cndmask_b32_e32 v1, v1, v0, vcc
; %bb.765:                              ;   in Loop: Header=BB8_57 Depth=2
	s_or_b64 exec, exec, s[76:77]
	flat_store_short_d16_hi v[6:7], v1 glc slc
.LBB8_766:                              ;   in Loop: Header=BB8_57 Depth=2
	s_or_b64 exec, exec, s[26:27]
	v_cmp_lt_i32_e64 s[26:27], 0, v49
	s_and_saveexec_b64 s[76:77], s[10:11]
	s_cbranch_execz .LBB8_785
.LBB8_767:                              ;   in Loop: Header=BB8_57 Depth=2
	s_and_saveexec_b64 s[44:45], s[56:57]
	s_xor_b64 s[78:79], exec, s[44:45]
	s_cbranch_execz .LBB8_782
; %bb.768:                              ;   in Loop: Header=BB8_57 Depth=2
	s_and_saveexec_b64 s[88:89], s[16:17]
	s_cbranch_execz .LBB8_781
; %bb.769:                              ;   in Loop: Header=BB8_57 Depth=2
	s_mov_b64 s[92:93], exec
	s_waitcnt vmcnt(0)
	v_mbcnt_lo_u32_b32 v0, s92, 0
	v_mbcnt_hi_u32_b32 v0, s93, v0
	v_cmp_eq_u32_e32 vcc, 0, v0
	s_waitcnt lgkmcnt(0)
	buffer_wbinvl1_vol
	s_and_saveexec_b64 s[90:91], vcc
	s_cbranch_execz .LBB8_771
; %bb.770:                              ;   in Loop: Header=BB8_57 Depth=2
	s_bcnt1_i32_b64 s44, s[92:93]
	v_mov_b32_e32 v0, s44
	v_mov_b32_e32 v1, v2
	ds_add_u64 v0, v[0:1]
	s_trap 2
.LBB8_771:                              ;   in Loop: Header=BB8_57 Depth=2
	s_or_b64 exec, exec, s[90:91]
	s_trap 2
	ds_read_b64 v[0:1], v0
	s_waitcnt lgkmcnt(0)
	buffer_load_dword v3, off, s[0:3], s33 offset:128 ; 4-byte Folded Reload
	buffer_load_dword v4, off, s[0:3], s33 offset:144 ; 4-byte Folded Reload
	;; [unrolled: 1-line block ×3, first 2 shown]
	s_waitcnt vmcnt(1)
	v_add_co_u32_e32 v4, vcc, v4, v3
	s_waitcnt vmcnt(0)
	v_addc_co_u32_e32 v5, vcc, 0, v5, vcc
	buffer_store_dword v4, off, s[0:3], s33 offset:144 ; 4-byte Folded Spill
	s_nop 0
	buffer_store_dword v5, off, s[0:3], s33 offset:148 ; 4-byte Folded Spill
	v_cmp_lt_u64_e32 vcc, v[0:1], v[4:5]
	s_and_saveexec_b64 s[90:91], vcc
	s_cbranch_execz .LBB8_780
; %bb.772:                              ;   in Loop: Header=BB8_57 Depth=2
	s_mov_b32 s44, 0
	s_mov_b64 s[92:93], 0
                                        ; implicit-def: $sgpr94_sgpr95
                                        ; implicit-def: $sgpr30_sgpr31
	s_branch .LBB8_774
.LBB8_773:                              ;   in Loop: Header=BB8_774 Depth=3
	s_or_b64 exec, exec, s[36:37]
	s_and_b64 vcc, exec, vcc
	s_or_b64 s[92:93], vcc, s[92:93]
	s_andn2_b64 s[94:95], s[94:95], exec
	s_and_b64 vcc, s[30:31], exec
	s_or_b64 s[94:95], s[94:95], vcc
	s_andn2_b64 exec, exec, s[92:93]
	s_cbranch_execz .LBB8_778
.LBB8_774:                              ;   Parent Loop BB8_47 Depth=1
                                        ;     Parent Loop BB8_57 Depth=2
                                        ; =>    This Inner Loop Header: Depth=3
	s_add_i32 s44, s44, 1
	s_cmpk_lg_i32 s44, 0x2710
	s_cselect_b64 s[34:35], -1, 0
	s_and_b64 vcc, exec, s[34:35]
	s_cbranch_vccz .LBB8_776
; %bb.775:                              ;   in Loop: Header=BB8_774 Depth=3
	s_mov_b64 vcc, -1
	s_or_b64 s[30:31], s[30:31], exec
	s_and_saveexec_b64 s[36:37], s[34:35]
	s_cbranch_execz .LBB8_773
	s_branch .LBB8_777
.LBB8_776:                              ;   in Loop: Header=BB8_774 Depth=3
	s_trap 2
	ds_read_b64 v[0:1], v0
	s_andn2_b64 s[34:35], s[34:35], exec
	s_mov_b32 s44, 0
	s_waitcnt vmcnt(0) lgkmcnt(0)
	flat_load_dword v0, v[0:1] glc
	s_waitcnt vmcnt(0) lgkmcnt(0)
	buffer_wbinvl1_vol
	v_cmp_eq_u32_e32 vcc, 0, v0
	s_and_b64 vcc, vcc, exec
	s_or_b64 s[34:35], s[34:35], vcc
	s_mov_b64 vcc, -1
	s_or_b64 s[30:31], s[30:31], exec
	s_and_saveexec_b64 s[36:37], s[34:35]
	s_cbranch_execz .LBB8_773
.LBB8_777:                              ;   in Loop: Header=BB8_774 Depth=3
	s_sleep 1
	s_trap 2
	ds_read_b64 v[0:1], v0
	s_waitcnt lgkmcnt(0)
	buffer_load_dword v3, off, s[0:3], s33 offset:144 ; 4-byte Folded Reload
	buffer_load_dword v4, off, s[0:3], s33 offset:148 ; 4-byte Folded Reload
	s_andn2_b64 s[30:31], s[30:31], exec
	s_waitcnt vmcnt(0)
	v_cmp_ge_u64_e32 vcc, v[0:1], v[3:4]
	s_orn2_b64 vcc, vcc, exec
	s_branch .LBB8_773
.LBB8_778:                              ;   in Loop: Header=BB8_57 Depth=2
	s_or_b64 exec, exec, s[92:93]
	s_and_saveexec_b64 s[44:45], s[94:95]
	s_xor_b64 s[44:45], exec, s[44:45]
	s_cbranch_execz .LBB8_780
; %bb.779:                              ;   in Loop: Header=BB8_57 Depth=2
	v_mov_b32_e32 v0, 1
	ds_write_b32 v0, v0
	s_trap 2
.LBB8_780:                              ;   in Loop: Header=BB8_57 Depth=2
	s_or_b64 exec, exec, s[90:91]
	;;#ASMSTART
	s_wakeup
	;;#ASMEND
.LBB8_781:                              ;   in Loop: Header=BB8_57 Depth=2
	s_or_b64 exec, exec, s[88:89]
.LBB8_782:                              ;   in Loop: Header=BB8_57 Depth=2
	s_andn2_saveexec_b64 s[78:79], s[78:79]
	s_cbranch_execz .LBB8_784
; %bb.783:                              ;   in Loop: Header=BB8_57 Depth=2
	s_waitcnt vmcnt(0) lgkmcnt(0)
	buffer_wbinvl1_vol
	s_barrier
.LBB8_784:                              ;   in Loop: Header=BB8_57 Depth=2
	s_or_b64 exec, exec, s[78:79]
.LBB8_785:                              ;   in Loop: Header=BB8_57 Depth=2
	s_or_b64 exec, exec, s[76:77]
	buffer_load_dword v0, off, s[0:3], s33 offset:132 ; 4-byte Folded Reload
	s_waitcnt vmcnt(0)
	v_and_b32_e32 v0, 16, v0
	s_and_saveexec_b64 s[44:45], s[24:25]
	s_xor_b64 s[76:77], exec, s[44:45]
	s_cbranch_execz .LBB8_790
; %bb.786:                              ;   in Loop: Header=BB8_57 Depth=2
	buffer_load_dword v1, off, s[0:3], s33 offset:132 ; 4-byte Folded Reload
	s_waitcnt vmcnt(0)
	v_and_b32_e32 v0, 16, v1
	v_and_b32_e32 v1, 16, v1
	v_cmp_ne_u32_e32 vcc, 0, v1
	s_and_b64 s[44:45], vcc, s[26:27]
	s_and_saveexec_b64 s[26:27], s[44:45]
	s_cbranch_execz .LBB8_788
; %bb.787:                              ;   in Loop: Header=BB8_57 Depth=2
	v_mov_b32_e32 v0, 1
	s_waitcnt lgkmcnt(0)
	buffer_wbinvl1_vol
.LBB8_788:                              ;   in Loop: Header=BB8_57 Depth=2
	s_or_b64 exec, exec, s[26:27]
	s_andn2_saveexec_b64 s[26:27], s[76:77]
	s_cbranch_execnz .LBB8_791
.LBB8_789:                              ;   in Loop: Header=BB8_57 Depth=2
	s_or_b64 exec, exec, s[26:27]
	v_cmp_ne_u32_e32 vcc, 0, v0
	s_and_saveexec_b64 s[26:27], vcc
	s_cbranch_execz .LBB8_56
	s_branch .LBB8_809
.LBB8_790:                              ;   in Loop: Header=BB8_57 Depth=2
	s_andn2_saveexec_b64 s[26:27], s[76:77]
	s_cbranch_execz .LBB8_789
.LBB8_791:                              ;   in Loop: Header=BB8_57 Depth=2
	s_and_saveexec_b64 s[44:45], s[56:57]
	s_xor_b64 s[76:77], exec, s[44:45]
	s_cbranch_execz .LBB8_806
; %bb.792:                              ;   in Loop: Header=BB8_57 Depth=2
	s_and_saveexec_b64 s[78:79], s[16:17]
	s_cbranch_execz .LBB8_805
; %bb.793:                              ;   in Loop: Header=BB8_57 Depth=2
	s_mov_b64 s[90:91], exec
	v_mbcnt_lo_u32_b32 v1, s90, 0
	v_mbcnt_hi_u32_b32 v1, s91, v1
	v_cmp_eq_u32_e32 vcc, 0, v1
	;;#ASMSTART
	s_waitcnt lgkmcnt(0) vmcnt(0)
	;;#ASMEND
	s_and_saveexec_b64 s[88:89], vcc
	s_cbranch_execz .LBB8_795
; %bb.794:                              ;   in Loop: Header=BB8_57 Depth=2
	s_bcnt1_i32_b64 s44, s[90:91]
	v_mov_b32_e32 v3, s44
	v_mov_b32_e32 v4, v2
	s_waitcnt lgkmcnt(0)
	ds_add_u64 v0, v[3:4]
	s_trap 2
.LBB8_795:                              ;   in Loop: Header=BB8_57 Depth=2
	s_or_b64 exec, exec, s[88:89]
	s_trap 2
	ds_read_b64 v[3:4], v0
	s_waitcnt lgkmcnt(0)
	buffer_load_dword v1, off, s[0:3], s33 offset:128 ; 4-byte Folded Reload
	buffer_load_dword v5, off, s[0:3], s33 offset:144 ; 4-byte Folded Reload
	;; [unrolled: 1-line block ×3, first 2 shown]
	s_waitcnt vmcnt(1)
	v_add_co_u32_e32 v5, vcc, v5, v1
	s_waitcnt vmcnt(0)
	v_addc_co_u32_e32 v6, vcc, 0, v6, vcc
	buffer_store_dword v5, off, s[0:3], s33 offset:144 ; 4-byte Folded Spill
	s_nop 0
	buffer_store_dword v6, off, s[0:3], s33 offset:148 ; 4-byte Folded Spill
	v_cmp_lt_u64_e32 vcc, v[3:4], v[5:6]
	s_and_saveexec_b64 s[88:89], vcc
	s_cbranch_execz .LBB8_804
; %bb.796:                              ;   in Loop: Header=BB8_57 Depth=2
	s_mov_b32 s44, 0
	s_mov_b64 s[90:91], 0
                                        ; implicit-def: $sgpr92_sgpr93
                                        ; implicit-def: $sgpr94_sgpr95
	s_branch .LBB8_798
.LBB8_797:                              ;   in Loop: Header=BB8_798 Depth=3
	s_or_b64 exec, exec, s[34:35]
	s_and_b64 vcc, exec, vcc
	s_or_b64 s[90:91], vcc, s[90:91]
	s_andn2_b64 s[92:93], s[92:93], exec
	s_and_b64 vcc, s[94:95], exec
	s_or_b64 s[92:93], s[92:93], vcc
	s_andn2_b64 exec, exec, s[90:91]
	s_cbranch_execz .LBB8_802
.LBB8_798:                              ;   Parent Loop BB8_47 Depth=1
                                        ;     Parent Loop BB8_57 Depth=2
                                        ; =>    This Inner Loop Header: Depth=3
	s_add_i32 s44, s44, 1
	s_cmpk_lg_i32 s44, 0x2710
	s_cselect_b64 s[30:31], -1, 0
	s_and_b64 vcc, exec, s[30:31]
	s_cbranch_vccz .LBB8_800
; %bb.799:                              ;   in Loop: Header=BB8_798 Depth=3
	s_mov_b64 vcc, -1
	s_or_b64 s[94:95], s[94:95], exec
	s_and_saveexec_b64 s[34:35], s[30:31]
	s_cbranch_execz .LBB8_797
	s_branch .LBB8_801
.LBB8_800:                              ;   in Loop: Header=BB8_798 Depth=3
	s_trap 2
	ds_read_b64 v[3:4], v0
	s_andn2_b64 s[30:31], s[30:31], exec
	s_mov_b32 s44, 0
	s_waitcnt vmcnt(0) lgkmcnt(0)
	flat_load_dword v1, v[3:4] glc
	s_waitcnt vmcnt(0) lgkmcnt(0)
	buffer_wbinvl1_vol
	v_cmp_eq_u32_e32 vcc, 0, v1
	s_and_b64 vcc, vcc, exec
	s_or_b64 s[30:31], s[30:31], vcc
	s_mov_b64 vcc, -1
	s_or_b64 s[94:95], s[94:95], exec
	s_and_saveexec_b64 s[34:35], s[30:31]
	s_cbranch_execz .LBB8_797
.LBB8_801:                              ;   in Loop: Header=BB8_798 Depth=3
	s_sleep 1
	s_trap 2
	ds_read_b64 v[3:4], v0
	s_waitcnt lgkmcnt(0)
	buffer_load_dword v5, off, s[0:3], s33 offset:144 ; 4-byte Folded Reload
	buffer_load_dword v6, off, s[0:3], s33 offset:148 ; 4-byte Folded Reload
	s_andn2_b64 s[94:95], s[94:95], exec
	s_waitcnt vmcnt(0)
	v_cmp_ge_u64_e32 vcc, v[3:4], v[5:6]
	s_orn2_b64 vcc, vcc, exec
	s_branch .LBB8_797
.LBB8_802:                              ;   in Loop: Header=BB8_57 Depth=2
	s_or_b64 exec, exec, s[90:91]
	s_and_saveexec_b64 s[44:45], s[92:93]
	s_xor_b64 s[44:45], exec, s[44:45]
	s_cbranch_execz .LBB8_804
; %bb.803:                              ;   in Loop: Header=BB8_57 Depth=2
	v_mov_b32_e32 v1, 1
	ds_write_b32 v0, v1
	s_trap 2
.LBB8_804:                              ;   in Loop: Header=BB8_57 Depth=2
	s_or_b64 exec, exec, s[88:89]
	;;#ASMSTART
	s_wakeup
	;;#ASMEND
.LBB8_805:                              ;   in Loop: Header=BB8_57 Depth=2
	s_or_b64 exec, exec, s[78:79]
.LBB8_806:                              ;   in Loop: Header=BB8_57 Depth=2
	s_andn2_saveexec_b64 s[76:77], s[76:77]
	s_cbranch_execz .LBB8_808
; %bb.807:                              ;   in Loop: Header=BB8_57 Depth=2
	;;#ASMSTART
	s_waitcnt lgkmcnt(0) vmcnt(0)
	;;#ASMEND
	s_waitcnt vmcnt(0) lgkmcnt(0)
	s_barrier
.LBB8_808:                              ;   in Loop: Header=BB8_57 Depth=2
	s_or_b64 exec, exec, s[76:77]
	s_or_b64 exec, exec, s[26:27]
	v_cmp_ne_u32_e32 vcc, 0, v0
	s_and_saveexec_b64 s[26:27], vcc
	s_cbranch_execz .LBB8_56
.LBB8_809:                              ;   in Loop: Header=BB8_57 Depth=2
	s_and_saveexec_b64 s[76:77], s[14:15]
	s_cbranch_execz .LBB8_55
; %bb.810:                              ;   in Loop: Header=BB8_57 Depth=2
	buffer_load_dword v0, off, s[0:3], s33 offset:232 ; 4-byte Folded Reload
	buffer_load_dword v1, off, s[0:3], s33 offset:236 ; 4-byte Folded Reload
	v_mov_b32_e32 v3, 1
	s_waitcnt vmcnt(0)
	flat_store_dword v[0:1], v3
	s_branch .LBB8_55
.LBB8_811:                              ;   in Loop: Header=BB8_47 Depth=1
	s_or_b64 exec, exec, s[40:41]
.LBB8_812:                              ;   in Loop: Header=BB8_47 Depth=1
	s_or_b64 exec, exec, s[28:29]
	v_cmp_gt_i32_e32 vcc, 2, v0
	s_and_saveexec_b64 s[28:29], vcc
	s_cbranch_execz .LBB8_884
; %bb.813:                              ;   in Loop: Header=BB8_47 Depth=1
	v_cmp_eq_u32_e64 s[42:43], 0, v0
	s_mov_b64 s[40:41], 0
	s_branch .LBB8_816
.LBB8_814:                              ;   in Loop: Header=BB8_816 Depth=2
	s_or_b64 exec, exec, s[42:43]
	buffer_load_dword v0, off, s[0:3], s33 offset:160 ; 4-byte Folded Reload
	buffer_load_dword v1, off, s[0:3], s33 offset:164 ; 4-byte Folded Reload
	s_waitcnt vmcnt(0)
	v_add_co_u32_e32 v0, vcc, 2, v0
	v_addc_co_u32_e32 v1, vcc, 0, v1, vcc
	buffer_store_dword v0, off, s[0:3], s33 offset:160 ; 4-byte Folded Spill
	s_nop 0
	buffer_store_dword v1, off, s[0:3], s33 offset:164 ; 4-byte Folded Spill
	flat_store_dwordx2 v[40:41], v[0:1]
.LBB8_815:                              ;   in Loop: Header=BB8_816 Depth=2
	s_or_b64 exec, exec, s[26:27]
	v_add_u32_e32 v50, v48, v50
	s_mov_b64 s[42:43], 0
	s_andn2_b64 exec, exec, s[40:41]
	s_cbranch_execz .LBB8_883
.LBB8_816:                              ;   Parent Loop BB8_47 Depth=1
                                        ; =>  This Loop Header: Depth=2
                                        ;       Child Loop BB8_822 Depth 3
                                        ;       Child Loop BB8_846 Depth 3
	;; [unrolled: 1-line block ×3, first 2 shown]
	v_sub_u32_e32 v0, v39, v50
	v_min_i32_e32 v48, v48, v0
	buffer_load_dword v0, off, s[0:3], s33 offset:132 ; 4-byte Folded Reload
	s_waitcnt vmcnt(0)
	v_and_b32_e32 v0, 8, v0
	v_cmp_ne_u32_e32 vcc, 0, v0
	s_and_saveexec_b64 s[76:77], vcc
	s_cbranch_execz .LBB8_838
; %bb.817:                              ;   in Loop: Header=BB8_816 Depth=2
	buffer_load_dword v3, off, s[0:3], s33 offset:160 ; 4-byte Folded Reload
	buffer_load_dword v4, off, s[0:3], s33 offset:164 ; 4-byte Folded Reload
	s_waitcnt lgkmcnt(0)
	v_add_co_u32_e32 v0, vcc, 8, v46
	v_addc_co_u32_e32 v1, vcc, 0, v47, vcc
	s_waitcnt vmcnt(0)
	v_add_co_u32_e32 v6, vcc, 2, v3
	v_addc_co_u32_e32 v7, vcc, 0, v4, vcc
	v_cmp_lt_u64_e32 vcc, v[0:1], v[6:7]
	s_and_saveexec_b64 s[78:79], vcc
	s_cbranch_execz .LBB8_829
; %bb.818:                              ;   in Loop: Header=BB8_816 Depth=2
	buffer_load_dword v0, off, s[0:3], s33 offset:132 ; 4-byte Folded Reload
	s_mov_b32 s47, 0
	s_mov_b64 s[88:89], 0
                                        ; implicit-def: $sgpr90_sgpr91
                                        ; implicit-def: $sgpr92_sgpr93
                                        ; implicit-def: $sgpr94_sgpr95
	s_waitcnt vmcnt(0)
	v_and_b32_e32 v0, 64, v0
	v_cmp_eq_u32_e32 vcc, 0, v0
	s_branch .LBB8_822
.LBB8_819:                              ;   in Loop: Header=BB8_822 Depth=3
	s_waitcnt vmcnt(0) lgkmcnt(0)
	v_add_co_u32_e64 v3, s[26:27], 8, v46
	v_addc_co_u32_e64 v4, s[26:27], 0, v47, s[26:27]
	v_cmp_ge_u64_e64 s[26:27], v[3:4], v[6:7]
	s_or_b64 s[36:37], s[36:37], exec
	s_orn2_b64 s[34:35], s[26:27], exec
.LBB8_820:                              ;   in Loop: Header=BB8_822 Depth=3
	s_or_b64 exec, exec, s[48:49]
	s_andn2_b64 s[26:27], s[94:95], exec
	s_and_b64 s[44:45], s[36:37], exec
	s_or_b64 s[94:95], s[26:27], s[44:45]
	s_andn2_b64 s[26:27], s[92:93], exec
	s_and_b64 s[44:45], s[34:35], exec
	s_or_b64 s[92:93], s[26:27], s[44:45]
.LBB8_821:                              ;   in Loop: Header=BB8_822 Depth=3
	s_or_b64 exec, exec, s[30:31]
	s_and_b64 s[26:27], exec, s[92:93]
	s_or_b64 s[88:89], s[26:27], s[88:89]
	s_andn2_b64 s[26:27], s[90:91], exec
	s_and_b64 s[44:45], s[94:95], exec
	s_or_b64 s[90:91], s[26:27], s[44:45]
	s_andn2_b64 exec, exec, s[88:89]
	s_cbranch_execz .LBB8_826
.LBB8_822:                              ;   Parent Loop BB8_47 Depth=1
                                        ;     Parent Loop BB8_816 Depth=2
                                        ; =>    This Inner Loop Header: Depth=3
	s_sleep 1
	s_waitcnt vmcnt(0) lgkmcnt(0)
	flat_load_dwordx2 v[46:47], v[40:41] glc
	s_or_b64 s[94:95], s[94:95], exec
	s_or_b64 s[92:93], s[92:93], exec
                                        ; implicit-def: $vgpr0
	s_and_saveexec_b64 s[30:31], vcc
	s_cbranch_execz .LBB8_821
; %bb.823:                              ;   in Loop: Header=BB8_822 Depth=3
	s_cmpk_lt_i32 s47, 0x270f
	s_cselect_b64 s[38:39], -1, 0
	s_cmpk_gt_i32 s47, 0x270e
	s_mov_b64 s[34:35], -1
	s_cbranch_scc0 .LBB8_825
; %bb.824:                              ;   in Loop: Header=BB8_822 Depth=3
	s_trap 2
	ds_read_b64 v[0:1], v0
	s_andn2_b64 s[44:45], s[38:39], exec
	s_mov_b32 s47, 0
	s_mov_b64 s[36:37], 0
	s_waitcnt vmcnt(0) lgkmcnt(0)
	flat_load_dword v0, v[0:1] glc
	s_waitcnt vmcnt(0) lgkmcnt(0)
	buffer_wbinvl1_vol
	v_cmp_eq_u32_e64 s[26:27], 0, v0
	s_and_b64 s[26:27], s[26:27], exec
	s_or_b64 s[38:39], s[44:45], s[26:27]
	s_and_saveexec_b64 s[48:49], s[38:39]
	s_cbranch_execz .LBB8_820
	s_branch .LBB8_819
.LBB8_825:                              ;   in Loop: Header=BB8_822 Depth=3
	s_add_i32 s47, s47, 1
	s_mov_b64 s[36:37], -1
                                        ; implicit-def: $vgpr0
	s_and_saveexec_b64 s[48:49], s[38:39]
	s_cbranch_execz .LBB8_820
	s_branch .LBB8_819
.LBB8_826:                              ;   in Loop: Header=BB8_816 Depth=2
	s_or_b64 exec, exec, s[88:89]
	s_xor_b64 s[26:27], s[90:91], -1
	s_and_saveexec_b64 s[44:45], s[26:27]
	s_xor_b64 s[26:27], exec, s[44:45]
	s_cbranch_execz .LBB8_828
; %bb.827:                              ;   in Loop: Header=BB8_816 Depth=2
	s_waitcnt lgkmcnt(0)
	ds_write_b32 v0, v0
	s_trap 2
	buffer_load_dword v0, off, s[0:3], s33 offset:132 ; 4-byte Folded Reload
	s_waitcnt vmcnt(0)
	v_or_b32_e32 v0, 64, v0
	buffer_store_dword v0, off, s[0:3], s33 offset:132 ; 4-byte Folded Spill
.LBB8_828:                              ;   in Loop: Header=BB8_816 Depth=2
	s_or_b64 exec, exec, s[26:27]
.LBB8_829:                              ;   in Loop: Header=BB8_816 Depth=2
	s_or_b64 exec, exec, s[78:79]
	;;#ASMSTART
	s_wakeup
	;;#ASMEND
	buffer_load_dword v0, off, s[0:3], s33 offset:132 ; 4-byte Folded Reload
	s_mov_b64 s[26:27], -1
                                        ; implicit-def: $vgpr8_vgpr9
	s_waitcnt vmcnt(0)
	v_and_b32_e32 v0, 0x100, v0
	v_cmp_ne_u32_e32 vcc, 0, v0
	buffer_load_dword v0, off, s[0:3], s33 offset:160 ; 4-byte Folded Reload
	buffer_load_dword v1, off, s[0:3], s33 offset:164 ; 4-byte Folded Reload
	s_waitcnt vmcnt(0)
	v_and_b32_e32 v0, 7, v0
	s_and_saveexec_b64 s[78:79], vcc
	s_cbranch_execz .LBB8_833
; %bb.830:                              ;   in Loop: Header=BB8_816 Depth=2
	buffer_load_dword v8, off, s[0:3], s33 offset:216 ; 4-byte Folded Reload
	buffer_load_dword v9, off, s[0:3], s33 offset:220 ; 4-byte Folded Reload
	;; [unrolled: 1-line block ×4, first 2 shown]
	v_ashrrev_i32_e32 v49, 31, v48
	s_waitcnt vmcnt(0)
	v_mad_u64_u32 v[3:4], s[26:27], v0, 24, v[8:9]
	v_lshlrev_b64 v[8:9], 1, v[48:49]
	flat_load_dword v1, v[3:4]
	s_nop 0
	flat_store_dwordx2 v[3:4], v[8:9] offset:8
                                        ; implicit-def: $vgpr8_vgpr9
	s_waitcnt vmcnt(0) lgkmcnt(0)
	v_cmp_ne_u32_e32 vcc, 1, v1
	v_cmp_eq_u32_e64 s[26:27], 1, v1
	s_and_saveexec_b64 s[88:89], s[26:27]
	s_cbranch_execz .LBB8_832
; %bb.831:                              ;   in Loop: Header=BB8_816 Depth=2
	flat_load_dword v3, v[3:4] offset:4 glc
	s_waitcnt vmcnt(0) lgkmcnt(0)
	v_ashrrev_i32_e32 v4, 31, v3
	v_lshrrev_b64 v[8:9], 1, v[3:4]
.LBB8_832:                              ;   in Loop: Header=BB8_816 Depth=2
	s_or_b64 exec, exec, s[88:89]
	s_orn2_b64 s[26:27], vcc, exec
.LBB8_833:                              ;   in Loop: Header=BB8_816 Depth=2
	s_or_b64 exec, exec, s[78:79]
	s_and_saveexec_b64 s[78:79], s[26:27]
	s_cbranch_execz .LBB8_835
; %bb.834:                              ;   in Loop: Header=BB8_816 Depth=2
	buffer_load_dword v1, off, s[0:3], s33 offset:256 ; 4-byte Folded Reload
	s_waitcnt vmcnt(0)
	v_mad_i64_i32 v[8:9], s[26:27], v0, v1, 0
.LBB8_835:                              ;   in Loop: Header=BB8_816 Depth=2
	s_or_b64 exec, exec, s[78:79]
	buffer_load_dword v3, off, s[0:3], s33 offset:208 ; 4-byte Folded Reload
	buffer_load_dword v4, off, s[0:3], s33 offset:212 ; 4-byte Folded Reload
	v_lshlrev_b64 v[0:1], 1, v[8:9]
	s_waitcnt vmcnt(0)
	v_add_co_u32_e32 v0, vcc, v3, v0
	v_addc_co_u32_e32 v1, vcc, v4, v1, vcc
	ds_write_b64 v0, v[0:1] offset:784
	buffer_load_dword v0, off, s[0:3], s33 offset:132 ; 4-byte Folded Reload
	s_waitcnt vmcnt(0)
	v_and_b32_e32 v0, 0x2000, v0
	v_cmp_ne_u32_e32 vcc, 0, v0
	s_and_saveexec_b64 s[26:27], vcc
	s_cbranch_execz .LBB8_837
; %bb.836:                              ;   in Loop: Header=BB8_816 Depth=2
	ds_read_b64 v[0:1], v0 offset:872
	s_waitcnt lgkmcnt(0)
	v_add_co_u32_e32 v0, vcc, 1, v0
	v_addc_co_u32_e32 v1, vcc, 0, v1, vcc
	ds_write_b64 v0, v[0:1] offset:872
.LBB8_837:                              ;   in Loop: Header=BB8_816 Depth=2
	s_or_b64 exec, exec, s[26:27]
	buffer_store_dword v6, off, s[0:3], s33 offset:160 ; 4-byte Folded Spill
	s_nop 0
	buffer_store_dword v7, off, s[0:3], s33 offset:164 ; 4-byte Folded Spill
.LBB8_838:                              ;   in Loop: Header=BB8_816 Depth=2
	s_or_b64 exec, exec, s[76:77]
	s_xor_b64 s[26:27], s[42:43], -1
	s_and_b64 s[26:27], exec, s[26:27]
	s_or_b64 s[40:41], s[26:27], s[40:41]
	s_and_saveexec_b64 s[26:27], s[10:11]
	s_cbranch_execz .LBB8_857
; %bb.839:                              ;   in Loop: Header=BB8_816 Depth=2
	s_and_saveexec_b64 s[42:43], s[56:57]
	s_xor_b64 s[42:43], exec, s[42:43]
	s_cbranch_execz .LBB8_854
; %bb.840:                              ;   in Loop: Header=BB8_816 Depth=2
	s_and_saveexec_b64 s[76:77], s[16:17]
	s_cbranch_execz .LBB8_853
; %bb.841:                              ;   in Loop: Header=BB8_816 Depth=2
	s_mov_b64 s[88:89], exec
	v_mbcnt_lo_u32_b32 v0, s88, 0
	v_mbcnt_hi_u32_b32 v0, s89, v0
	v_cmp_eq_u32_e32 vcc, 0, v0
	s_waitcnt vmcnt(0) lgkmcnt(0)
	buffer_wbinvl1_vol
	s_and_saveexec_b64 s[78:79], vcc
	s_cbranch_execz .LBB8_843
; %bb.842:                              ;   in Loop: Header=BB8_816 Depth=2
	s_bcnt1_i32_b64 s44, s[88:89]
	v_mov_b32_e32 v0, s44
	v_mov_b32_e32 v1, v2
	ds_add_u64 v0, v[0:1]
	s_trap 2
.LBB8_843:                              ;   in Loop: Header=BB8_816 Depth=2
	s_or_b64 exec, exec, s[78:79]
	s_trap 2
	ds_read_b64 v[0:1], v0
	s_waitcnt lgkmcnt(0)
	buffer_load_dword v3, off, s[0:3], s33 offset:128 ; 4-byte Folded Reload
	buffer_load_dword v4, off, s[0:3], s33 offset:144 ; 4-byte Folded Reload
	;; [unrolled: 1-line block ×3, first 2 shown]
	s_waitcnt vmcnt(1)
	v_add_co_u32_e32 v4, vcc, v4, v3
	s_waitcnt vmcnt(0)
	v_addc_co_u32_e32 v5, vcc, 0, v5, vcc
	buffer_store_dword v4, off, s[0:3], s33 offset:144 ; 4-byte Folded Spill
	s_nop 0
	buffer_store_dword v5, off, s[0:3], s33 offset:148 ; 4-byte Folded Spill
	v_cmp_lt_u64_e32 vcc, v[0:1], v[4:5]
	s_and_saveexec_b64 s[78:79], vcc
	s_cbranch_execz .LBB8_852
; %bb.844:                              ;   in Loop: Header=BB8_816 Depth=2
	s_mov_b32 s44, 0
	s_mov_b64 s[88:89], 0
                                        ; implicit-def: $sgpr90_sgpr91
                                        ; implicit-def: $sgpr92_sgpr93
	s_branch .LBB8_846
.LBB8_845:                              ;   in Loop: Header=BB8_846 Depth=3
	s_or_b64 exec, exec, s[30:31]
	s_and_b64 s[94:95], exec, vcc
	s_or_b64 s[88:89], s[94:95], s[88:89]
	s_andn2_b64 s[90:91], s[90:91], exec
	s_and_b64 s[94:95], s[92:93], exec
	s_or_b64 s[90:91], s[90:91], s[94:95]
	s_andn2_b64 exec, exec, s[88:89]
	s_cbranch_execz .LBB8_850
.LBB8_846:                              ;   Parent Loop BB8_47 Depth=1
                                        ;     Parent Loop BB8_816 Depth=2
                                        ; =>    This Inner Loop Header: Depth=3
	s_add_i32 s44, s44, 1
	s_cmpk_lg_i32 s44, 0x2710
	s_cselect_b64 s[94:95], -1, 0
	s_and_b64 vcc, exec, s[94:95]
	s_cbranch_vccz .LBB8_848
; %bb.847:                              ;   in Loop: Header=BB8_846 Depth=3
	s_mov_b64 vcc, -1
	s_or_b64 s[92:93], s[92:93], exec
	s_and_saveexec_b64 s[30:31], s[94:95]
	s_cbranch_execz .LBB8_845
	s_branch .LBB8_849
.LBB8_848:                              ;   in Loop: Header=BB8_846 Depth=3
	s_trap 2
	ds_read_b64 v[0:1], v0
	s_andn2_b64 s[94:95], s[94:95], exec
	s_mov_b32 s44, 0
	s_waitcnt vmcnt(0) lgkmcnt(0)
	flat_load_dword v0, v[0:1] glc
	s_waitcnt vmcnt(0) lgkmcnt(0)
	buffer_wbinvl1_vol
	v_cmp_eq_u32_e32 vcc, 0, v0
	s_and_b64 vcc, vcc, exec
	s_or_b64 s[94:95], s[94:95], vcc
	s_mov_b64 vcc, -1
	s_or_b64 s[92:93], s[92:93], exec
	s_and_saveexec_b64 s[30:31], s[94:95]
	s_cbranch_execz .LBB8_845
.LBB8_849:                              ;   in Loop: Header=BB8_846 Depth=3
	s_sleep 1
	s_trap 2
	ds_read_b64 v[0:1], v0
	s_waitcnt lgkmcnt(0)
	buffer_load_dword v3, off, s[0:3], s33 offset:144 ; 4-byte Folded Reload
	buffer_load_dword v4, off, s[0:3], s33 offset:148 ; 4-byte Folded Reload
	s_andn2_b64 s[92:93], s[92:93], exec
	s_waitcnt vmcnt(0)
	v_cmp_ge_u64_e32 vcc, v[0:1], v[3:4]
	s_orn2_b64 vcc, vcc, exec
	s_branch .LBB8_845
.LBB8_850:                              ;   in Loop: Header=BB8_816 Depth=2
	s_or_b64 exec, exec, s[88:89]
	s_and_saveexec_b64 s[44:45], s[90:91]
	s_xor_b64 s[44:45], exec, s[44:45]
	s_cbranch_execz .LBB8_852
; %bb.851:                              ;   in Loop: Header=BB8_816 Depth=2
	v_mov_b32_e32 v0, 1
	ds_write_b32 v0, v0
	s_trap 2
.LBB8_852:                              ;   in Loop: Header=BB8_816 Depth=2
	s_or_b64 exec, exec, s[78:79]
	;;#ASMSTART
	s_wakeup
	;;#ASMEND
.LBB8_853:                              ;   in Loop: Header=BB8_816 Depth=2
	s_or_b64 exec, exec, s[76:77]
.LBB8_854:                              ;   in Loop: Header=BB8_816 Depth=2
	s_andn2_saveexec_b64 s[42:43], s[42:43]
	s_cbranch_execz .LBB8_856
; %bb.855:                              ;   in Loop: Header=BB8_816 Depth=2
	s_waitcnt vmcnt(0) lgkmcnt(0)
	buffer_wbinvl1_vol
	s_barrier
.LBB8_856:                              ;   in Loop: Header=BB8_816 Depth=2
	s_or_b64 exec, exec, s[42:43]
.LBB8_857:                              ;   in Loop: Header=BB8_816 Depth=2
	s_or_b64 exec, exec, s[26:27]
	buffer_load_dword v0, off, s[0:3], s33 offset:132 ; 4-byte Folded Reload
	s_waitcnt vmcnt(0)
	v_and_b32_e32 v0, 16, v0
	s_and_saveexec_b64 s[26:27], s[24:25]
	s_xor_b64 s[26:27], exec, s[26:27]
	s_cbranch_execz .LBB8_862
; %bb.858:                              ;   in Loop: Header=BB8_816 Depth=2
	s_trap 2
	buffer_load_dword v1, off, s[0:3], s33 offset:132 ; 4-byte Folded Reload
	ds_read_b32 v0, v0
	v_cmp_lt_i32_e32 vcc, 0, v48
	s_waitcnt lgkmcnt(0)
	v_readfirstlane_b32 s42, v0
	s_cmp_eq_u32 s42, 0
	s_cselect_b64 s[42:43], -1, 0
	s_and_b64 s[42:43], vcc, s[42:43]
	s_waitcnt vmcnt(0)
	v_and_b32_e32 v0, 16, v1
	v_and_b32_e32 v1, 16, v1
	v_cmp_ne_u32_e32 vcc, 0, v1
	s_and_b64 s[44:45], vcc, s[42:43]
	s_and_saveexec_b64 s[42:43], s[44:45]
	s_cbranch_execz .LBB8_860
; %bb.859:                              ;   in Loop: Header=BB8_816 Depth=2
	v_mov_b32_e32 v0, 1
	buffer_wbinvl1_vol
.LBB8_860:                              ;   in Loop: Header=BB8_816 Depth=2
	s_or_b64 exec, exec, s[42:43]
	s_andn2_saveexec_b64 s[26:27], s[26:27]
	s_cbranch_execnz .LBB8_863
.LBB8_861:                              ;   in Loop: Header=BB8_816 Depth=2
	s_or_b64 exec, exec, s[26:27]
	v_cmp_ne_u32_e32 vcc, 0, v0
	s_and_saveexec_b64 s[26:27], vcc
	s_cbranch_execz .LBB8_815
	s_branch .LBB8_881
.LBB8_862:                              ;   in Loop: Header=BB8_816 Depth=2
	s_andn2_saveexec_b64 s[26:27], s[26:27]
	s_cbranch_execz .LBB8_861
.LBB8_863:                              ;   in Loop: Header=BB8_816 Depth=2
	s_and_saveexec_b64 s[42:43], s[56:57]
	s_xor_b64 s[42:43], exec, s[42:43]
	s_cbranch_execz .LBB8_878
; %bb.864:                              ;   in Loop: Header=BB8_816 Depth=2
	s_and_saveexec_b64 s[76:77], s[16:17]
	s_cbranch_execz .LBB8_877
; %bb.865:                              ;   in Loop: Header=BB8_816 Depth=2
	s_mov_b64 s[88:89], exec
	v_mbcnt_lo_u32_b32 v1, s88, 0
	v_mbcnt_hi_u32_b32 v1, s89, v1
	v_cmp_eq_u32_e32 vcc, 0, v1
	;;#ASMSTART
	s_waitcnt lgkmcnt(0) vmcnt(0)
	;;#ASMEND
	s_and_saveexec_b64 s[78:79], vcc
	s_cbranch_execz .LBB8_867
; %bb.866:                              ;   in Loop: Header=BB8_816 Depth=2
	s_bcnt1_i32_b64 s44, s[88:89]
	v_mov_b32_e32 v3, s44
	v_mov_b32_e32 v4, v2
	s_waitcnt lgkmcnt(0)
	ds_add_u64 v0, v[3:4]
	s_trap 2
.LBB8_867:                              ;   in Loop: Header=BB8_816 Depth=2
	s_or_b64 exec, exec, s[78:79]
	s_trap 2
	ds_read_b64 v[3:4], v0
	s_waitcnt lgkmcnt(0)
	buffer_load_dword v1, off, s[0:3], s33 offset:128 ; 4-byte Folded Reload
	buffer_load_dword v5, off, s[0:3], s33 offset:144 ; 4-byte Folded Reload
	;; [unrolled: 1-line block ×3, first 2 shown]
	s_waitcnt vmcnt(1)
	v_add_co_u32_e32 v5, vcc, v5, v1
	s_waitcnt vmcnt(0)
	v_addc_co_u32_e32 v6, vcc, 0, v6, vcc
	buffer_store_dword v5, off, s[0:3], s33 offset:144 ; 4-byte Folded Spill
	s_nop 0
	buffer_store_dword v6, off, s[0:3], s33 offset:148 ; 4-byte Folded Spill
	v_cmp_lt_u64_e32 vcc, v[3:4], v[5:6]
	s_and_saveexec_b64 s[78:79], vcc
	s_cbranch_execz .LBB8_876
; %bb.868:                              ;   in Loop: Header=BB8_816 Depth=2
	s_mov_b32 s44, 0
	s_mov_b64 s[88:89], 0
                                        ; implicit-def: $sgpr90_sgpr91
                                        ; implicit-def: $sgpr92_sgpr93
	s_branch .LBB8_870
.LBB8_869:                              ;   in Loop: Header=BB8_870 Depth=3
	s_or_b64 exec, exec, s[30:31]
	s_and_b64 s[94:95], exec, vcc
	s_or_b64 s[88:89], s[94:95], s[88:89]
	s_andn2_b64 s[90:91], s[90:91], exec
	s_and_b64 s[94:95], s[92:93], exec
	s_or_b64 s[90:91], s[90:91], s[94:95]
	s_andn2_b64 exec, exec, s[88:89]
	s_cbranch_execz .LBB8_874
.LBB8_870:                              ;   Parent Loop BB8_47 Depth=1
                                        ;     Parent Loop BB8_816 Depth=2
                                        ; =>    This Inner Loop Header: Depth=3
	s_add_i32 s44, s44, 1
	s_cmpk_lg_i32 s44, 0x2710
	s_cselect_b64 s[94:95], -1, 0
	s_and_b64 vcc, exec, s[94:95]
	s_cbranch_vccz .LBB8_872
; %bb.871:                              ;   in Loop: Header=BB8_870 Depth=3
	s_mov_b64 vcc, -1
	s_or_b64 s[92:93], s[92:93], exec
	s_and_saveexec_b64 s[30:31], s[94:95]
	s_cbranch_execz .LBB8_869
	s_branch .LBB8_873
.LBB8_872:                              ;   in Loop: Header=BB8_870 Depth=3
	s_trap 2
	ds_read_b64 v[3:4], v0
	s_andn2_b64 s[94:95], s[94:95], exec
	s_mov_b32 s44, 0
	s_waitcnt vmcnt(0) lgkmcnt(0)
	flat_load_dword v1, v[3:4] glc
	s_waitcnt vmcnt(0) lgkmcnt(0)
	buffer_wbinvl1_vol
	v_cmp_eq_u32_e32 vcc, 0, v1
	s_and_b64 vcc, vcc, exec
	s_or_b64 s[94:95], s[94:95], vcc
	s_mov_b64 vcc, -1
	s_or_b64 s[92:93], s[92:93], exec
	s_and_saveexec_b64 s[30:31], s[94:95]
	s_cbranch_execz .LBB8_869
.LBB8_873:                              ;   in Loop: Header=BB8_870 Depth=3
	s_sleep 1
	s_trap 2
	ds_read_b64 v[3:4], v0
	s_waitcnt lgkmcnt(0)
	buffer_load_dword v5, off, s[0:3], s33 offset:144 ; 4-byte Folded Reload
	buffer_load_dword v6, off, s[0:3], s33 offset:148 ; 4-byte Folded Reload
	s_andn2_b64 s[92:93], s[92:93], exec
	s_waitcnt vmcnt(0)
	v_cmp_ge_u64_e32 vcc, v[3:4], v[5:6]
	s_orn2_b64 vcc, vcc, exec
	s_branch .LBB8_869
.LBB8_874:                              ;   in Loop: Header=BB8_816 Depth=2
	s_or_b64 exec, exec, s[88:89]
	s_and_saveexec_b64 s[44:45], s[90:91]
	s_xor_b64 s[44:45], exec, s[44:45]
	s_cbranch_execz .LBB8_876
; %bb.875:                              ;   in Loop: Header=BB8_816 Depth=2
	v_mov_b32_e32 v1, 1
	ds_write_b32 v0, v1
	s_trap 2
.LBB8_876:                              ;   in Loop: Header=BB8_816 Depth=2
	s_or_b64 exec, exec, s[78:79]
	;;#ASMSTART
	s_wakeup
	;;#ASMEND
.LBB8_877:                              ;   in Loop: Header=BB8_816 Depth=2
	s_or_b64 exec, exec, s[76:77]
.LBB8_878:                              ;   in Loop: Header=BB8_816 Depth=2
	s_andn2_saveexec_b64 s[42:43], s[42:43]
	s_cbranch_execz .LBB8_880
; %bb.879:                              ;   in Loop: Header=BB8_816 Depth=2
	;;#ASMSTART
	s_waitcnt lgkmcnt(0) vmcnt(0)
	;;#ASMEND
	s_waitcnt vmcnt(0) lgkmcnt(0)
	s_barrier
.LBB8_880:                              ;   in Loop: Header=BB8_816 Depth=2
	s_or_b64 exec, exec, s[42:43]
	s_or_b64 exec, exec, s[26:27]
	v_cmp_ne_u32_e32 vcc, 0, v0
	s_and_saveexec_b64 s[26:27], vcc
	s_cbranch_execz .LBB8_815
.LBB8_881:                              ;   in Loop: Header=BB8_816 Depth=2
	s_and_saveexec_b64 s[42:43], s[14:15]
	s_cbranch_execz .LBB8_814
; %bb.882:                              ;   in Loop: Header=BB8_816 Depth=2
	buffer_load_dword v0, off, s[0:3], s33 offset:232 ; 4-byte Folded Reload
	buffer_load_dword v1, off, s[0:3], s33 offset:236 ; 4-byte Folded Reload
	v_mov_b32_e32 v3, 1
	s_waitcnt vmcnt(0)
	flat_store_dword v[0:1], v3
	s_branch .LBB8_814
.LBB8_883:                              ;   in Loop: Header=BB8_47 Depth=1
	s_or_b64 exec, exec, s[40:41]
.LBB8_884:                              ;   in Loop: Header=BB8_47 Depth=1
	s_or_b64 exec, exec, s[28:29]
	v_cndmask_b32_e64 v0, 0, 1, s[60:61]
	v_cmp_ne_u32_e64 s[26:27], 1, v0
	s_andn2_b64 vcc, exec, s[60:61]
	s_cbranch_vccnz .LBB8_1936
; %bb.885:                              ;   in Loop: Header=BB8_47 Depth=1
	s_mov_b32 s47, 2
	s_branch .LBB8_888
.LBB8_886:                              ;   in Loop: Header=BB8_888 Depth=2
	s_or_b64 exec, exec, s[42:43]
.LBB8_887:                              ;   in Loop: Header=BB8_888 Depth=2
	s_or_b64 exec, exec, s[40:41]
	s_add_i32 s47, s47, 1
	s_cmp_eq_u32 s47, s52
	s_cbranch_scc1 .LBB8_1936
.LBB8_888:                              ;   Parent Loop BB8_47 Depth=1
                                        ; =>  This Loop Header: Depth=2
                                        ;       Child Loop BB8_891 Depth 3
                                        ;         Child Loop BB8_899 Depth 4
                                        ;         Child Loop BB8_927 Depth 4
                                        ;         Child Loop BB8_946 Depth 4
                                        ;         Child Loop BB8_975 Depth 4
                                        ;         Child Loop BB8_1371 Depth 4
                                        ;           Child Loop BB8_1372 Depth 5
                                        ;           Child Loop BB8_1441 Depth 5
                                        ;         Child Loop BB8_1582 Depth 4
                                        ;         Child Loop BB8_1785 Depth 4
                                        ;           Child Loop BB8_1786 Depth 5
                                        ;           Child Loop BB8_1799 Depth 5
                                        ;         Child Loop BB8_1826 Depth 4
                                        ;         Child Loop BB8_1845 Depth 4
                                        ;       Child Loop BB8_1864 Depth 3
                                        ;         Child Loop BB8_1870 Depth 4
                                        ;         Child Loop BB8_1898 Depth 4
	;; [unrolled: 1-line block ×3, first 2 shown]
	buffer_load_dword v5, off, s[0:3], s33 offset:364 ; 4-byte Folded Reload
	buffer_load_dword v6, off, s[0:3], s33 offset:368 ; 4-byte Folded Reload
	s_sub_i32 s28, s66, s47
	s_cmp_ge_i32 s28, s52
	s_cselect_b32 s29, s52, 0
	s_sub_i32 s28, s28, s29
	s_ashr_i32 s40, s28, 31
	s_waitcnt vmcnt(0)
	v_mul_lo_u32 v1, v5, s40
	v_mul_lo_u32 v0, v6, s28
	v_mad_u64_u32 v[3:4], s[28:29], v5, s28, 0
	v_add3_u32 v4, v4, v1, v0
	buffer_load_dword v0, off, s[0:3], s33 offset:356 ; 4-byte Folded Reload
	buffer_load_dword v1, off, s[0:3], s33 offset:360 ; 4-byte Folded Reload
	s_waitcnt vmcnt(0)
	v_sub_co_u32_e32 v0, vcc, v0, v3
	v_subb_co_u32_e32 v1, vcc, v1, v4, vcc
	v_cmp_lt_i64_e32 vcc, v[5:6], v[0:1]
	v_cndmask_b32_e32 v0, v0, v5, vcc
	v_max_i32_e32 v36, 0, v0
	v_add_u32_e32 v1, 31, v36
	v_lshrrev_b32_e32 v1, 1, v1
	v_and_b32_e32 v1, 0x3ffffff0, v1
	v_cmp_lt_i32_e32 vcc, 0, v0
	v_max_i32_e32 v58, s69, v1
	s_and_b64 s[28:29], s[72:73], vcc
	v_mov_b32_e32 v1, 0
	v_mov_b32_e32 v0, 0
	s_and_saveexec_b64 s[42:43], s[28:29]
	s_cbranch_execz .LBB8_1861
; %bb.889:                              ;   in Loop: Header=BB8_888 Depth=2
	s_mov_b32 s75, 1
	s_mov_b64 s[78:79], -1
	v_mov_b32_e32 v0, 0
	v_lshlrev_b64 v[37:38], 1, v[3:4]
	s_mov_b64 s[76:77], 0
	buffer_store_dword v36, off, s[0:3], s33 offset:276 ; 4-byte Folded Spill
	buffer_store_dword v37, off, s[0:3], s33 offset:312 ; 4-byte Folded Spill
	s_nop 0
	buffer_store_dword v38, off, s[0:3], s33 offset:316 ; 4-byte Folded Spill
	s_branch .LBB8_891
.LBB8_890:                              ;   in Loop: Header=BB8_891 Depth=3
	s_or_b64 exec, exec, s[28:29]
	v_add_u32_e32 v0, v58, v0
	v_cmp_ge_i32_e32 vcc, v0, v36
	s_xor_b64 s[28:29], s[78:79], -1
	s_or_b64 s[28:29], s[28:29], vcc
	s_and_b64 s[28:29], exec, s[28:29]
	s_or_b64 s[76:77], s[28:29], s[76:77]
	s_mov_b64 s[78:79], 0
	v_mov_b32_e32 v1, s75
	s_mov_b32 s75, 2
	s_andn2_b64 exec, exec, s[76:77]
	s_cbranch_execz .LBB8_1860
.LBB8_891:                              ;   Parent Loop BB8_47 Depth=1
                                        ;     Parent Loop BB8_888 Depth=2
                                        ; =>    This Loop Header: Depth=3
                                        ;         Child Loop BB8_899 Depth 4
                                        ;         Child Loop BB8_927 Depth 4
                                        ;         Child Loop BB8_946 Depth 4
                                        ;         Child Loop BB8_975 Depth 4
                                        ;         Child Loop BB8_1371 Depth 4
                                        ;           Child Loop BB8_1372 Depth 5
                                        ;           Child Loop BB8_1441 Depth 5
                                        ;         Child Loop BB8_1582 Depth 4
                                        ;         Child Loop BB8_1785 Depth 4
                                        ;           Child Loop BB8_1786 Depth 5
                                        ;           Child Loop BB8_1799 Depth 5
                                        ;         Child Loop BB8_1826 Depth 4
                                        ;         Child Loop BB8_1845 Depth 4
	s_and_saveexec_b64 s[28:29], s[4:5]
	s_cbranch_execz .LBB8_893
; %bb.892:                              ;   in Loop: Header=BB8_891 Depth=3
	s_trap 2
	ds_read_b64 v[3:4], v0
	buffer_load_dword v5, off, s[0:3], s33 offset:292 ; 4-byte Folded Reload
	buffer_load_dword v6, off, s[0:3], s33 offset:296 ; 4-byte Folded Reload
	s_waitcnt vmcnt(0)
	v_lshlrev_b64 v[5:6], 1, v[5:6]
	s_waitcnt lgkmcnt(0)
	v_add_co_u32_e32 v1, vcc, v3, v5
	v_addc_co_u32_e32 v3, vcc, v4, v6, vcc
	v_add_co_u32_e32 v5, vcc, v1, v37
	v_ashrrev_i32_e32 v1, 31, v0
	v_addc_co_u32_e32 v6, vcc, v3, v38, vcc
	v_lshlrev_b64 v[3:4], 1, v[0:1]
	v_add_co_u32_e32 v3, vcc, v5, v3
	v_addc_co_u32_e32 v4, vcc, v6, v4, vcc
	ds_write_b64 v0, v[3:4]
	v_mov_b32_e32 v3, v2
	ds_write_b64 v0, v[2:3]
.LBB8_893:                              ;   in Loop: Header=BB8_891 Depth=3
	s_or_b64 exec, exec, s[28:29]
	v_sub_u32_e32 v1, v36, v0
	v_min_i32_e32 v58, v58, v1
	buffer_load_dword v1, off, s[0:3], s33 offset:132 ; 4-byte Folded Reload
	s_waitcnt vmcnt(0)
	v_and_b32_e32 v1, 12, v1
	v_cmp_ne_u32_e32 vcc, 0, v1
	s_and_saveexec_b64 s[40:41], vcc
	s_cbranch_execz .LBB8_919
; %bb.894:                              ;   in Loop: Header=BB8_891 Depth=3
	buffer_load_dword v1, off, s[0:3], s33 offset:132 ; 4-byte Folded Reload
	buffer_load_dword v6, off, s[0:3], s33 offset:160 ; 4-byte Folded Reload
	;; [unrolled: 1-line block ×3, first 2 shown]
	s_waitcnt vmcnt(0)
	v_and_b32_e32 v1, 8, v1
	s_waitcnt lgkmcnt(0)
	v_add_co_u32_e32 v3, vcc, v46, v1
	v_addc_co_u32_e32 v4, vcc, 0, v47, vcc
	v_add_co_u32_e32 v6, vcc, 2, v6
	v_addc_co_u32_e32 v7, vcc, 0, v7, vcc
	v_cmp_lt_u64_e32 vcc, v[3:4], v[6:7]
	s_and_saveexec_b64 s[88:89], vcc
	s_cbranch_execz .LBB8_906
; %bb.895:                              ;   in Loop: Header=BB8_891 Depth=3
	buffer_load_dword v3, off, s[0:3], s33 offset:132 ; 4-byte Folded Reload
	s_mov_b32 s44, 0
	s_mov_b64 s[90:91], 0
                                        ; implicit-def: $sgpr92_sgpr93
                                        ; implicit-def: $sgpr94_sgpr95
                                        ; implicit-def: $sgpr30_sgpr31
	s_waitcnt vmcnt(0)
	v_and_b32_e32 v3, 64, v3
	v_cmp_eq_u32_e32 vcc, 0, v3
	s_branch .LBB8_899
.LBB8_896:                              ;   in Loop: Header=BB8_899 Depth=4
	s_waitcnt vmcnt(0) lgkmcnt(0)
	v_add_co_u32_e64 v4, s[28:29], v46, v1
	v_addc_co_u32_e64 v5, s[28:29], 0, v47, s[28:29]
	v_cmp_ge_u64_e64 s[28:29], v[4:5], v[6:7]
	s_or_b64 s[38:39], s[38:39], exec
	s_orn2_b64 s[36:37], s[28:29], exec
.LBB8_897:                              ;   in Loop: Header=BB8_899 Depth=4
	s_or_b64 exec, exec, s[50:51]
	s_andn2_b64 s[28:29], s[30:31], exec
	s_and_b64 s[30:31], s[38:39], exec
	s_or_b64 s[30:31], s[28:29], s[30:31]
	s_andn2_b64 s[28:29], s[94:95], exec
	s_and_b64 s[94:95], s[36:37], exec
	s_or_b64 s[94:95], s[28:29], s[94:95]
.LBB8_898:                              ;   in Loop: Header=BB8_899 Depth=4
	s_or_b64 exec, exec, s[34:35]
	s_and_b64 s[28:29], exec, s[94:95]
	s_or_b64 s[90:91], s[28:29], s[90:91]
	s_andn2_b64 s[28:29], s[92:93], exec
	s_and_b64 s[92:93], s[30:31], exec
	s_or_b64 s[92:93], s[28:29], s[92:93]
	s_andn2_b64 exec, exec, s[90:91]
	s_cbranch_execz .LBB8_903
.LBB8_899:                              ;   Parent Loop BB8_47 Depth=1
                                        ;     Parent Loop BB8_888 Depth=2
                                        ;       Parent Loop BB8_891 Depth=3
                                        ; =>      This Inner Loop Header: Depth=4
	s_sleep 1
	s_waitcnt vmcnt(0) lgkmcnt(0)
	flat_load_dwordx2 v[46:47], v[40:41] glc
	s_or_b64 s[30:31], s[30:31], exec
	s_or_b64 s[94:95], s[94:95], exec
                                        ; implicit-def: $vgpr3
	s_and_saveexec_b64 s[34:35], vcc
	s_cbranch_execz .LBB8_898
; %bb.900:                              ;   in Loop: Header=BB8_899 Depth=4
	s_cmpk_lt_i32 s44, 0x270f
	s_cselect_b64 s[48:49], -1, 0
	s_cmpk_gt_i32 s44, 0x270e
	s_mov_b64 s[36:37], -1
	s_cbranch_scc0 .LBB8_902
; %bb.901:                              ;   in Loop: Header=BB8_899 Depth=4
	s_trap 2
	ds_read_b64 v[3:4], v0
	s_andn2_b64 s[48:49], s[48:49], exec
	s_mov_b32 s44, 0
	s_mov_b64 s[38:39], 0
	s_waitcnt vmcnt(0) lgkmcnt(0)
	flat_load_dword v3, v[3:4] glc
	s_waitcnt vmcnt(0) lgkmcnt(0)
	buffer_wbinvl1_vol
	v_cmp_eq_u32_e64 s[28:29], 0, v3
	s_and_b64 s[28:29], s[28:29], exec
	s_or_b64 s[48:49], s[48:49], s[28:29]
	s_and_saveexec_b64 s[50:51], s[48:49]
	s_cbranch_execz .LBB8_897
	s_branch .LBB8_896
.LBB8_902:                              ;   in Loop: Header=BB8_899 Depth=4
	s_add_i32 s44, s44, 1
	s_mov_b64 s[38:39], -1
                                        ; implicit-def: $vgpr3
	s_and_saveexec_b64 s[50:51], s[48:49]
	s_cbranch_execz .LBB8_897
	s_branch .LBB8_896
.LBB8_903:                              ;   in Loop: Header=BB8_891 Depth=3
	s_or_b64 exec, exec, s[90:91]
	s_xor_b64 s[28:29], s[92:93], -1
	s_and_saveexec_b64 s[44:45], s[28:29]
	s_xor_b64 s[28:29], exec, s[44:45]
	s_cbranch_execz .LBB8_905
; %bb.904:                              ;   in Loop: Header=BB8_891 Depth=3
	s_waitcnt lgkmcnt(0)
	ds_write_b32 v0, v3
	s_trap 2
	buffer_load_dword v3, off, s[0:3], s33 offset:132 ; 4-byte Folded Reload
	s_waitcnt vmcnt(0)
	v_or_b32_e32 v3, 64, v3
	buffer_store_dword v3, off, s[0:3], s33 offset:132 ; 4-byte Folded Spill
.LBB8_905:                              ;   in Loop: Header=BB8_891 Depth=3
	s_or_b64 exec, exec, s[28:29]
.LBB8_906:                              ;   in Loop: Header=BB8_891 Depth=3
	s_or_b64 exec, exec, s[88:89]
	;;#ASMSTART
	s_wakeup
	;;#ASMEND
	buffer_load_dword v3, off, s[0:3], s33 offset:132 ; 4-byte Folded Reload
                                        ; implicit-def: $vgpr8_vgpr9
	s_waitcnt vmcnt(0)
	v_and_b32_e32 v3, 0x108, v3
	v_cmp_ne_u32_e32 vcc, s46, v3
	s_and_saveexec_b64 s[28:29], vcc
	s_xor_b64 s[28:29], exec, s[28:29]
	s_cbranch_execz .LBB8_908
; %bb.907:                              ;   in Loop: Header=BB8_891 Depth=3
	buffer_load_dword v3, off, s[0:3], s33 offset:160 ; 4-byte Folded Reload
	buffer_load_dword v4, off, s[0:3], s33 offset:164 ; 4-byte Folded Reload
	v_mov_b32_e32 v9, v2
	s_waitcnt vmcnt(0)
	v_and_b32_e32 v8, 7, v3
                                        ; implicit-def: $vgpr3_vgpr4
                                        ; kill: killed $vgpr3_vgpr4
.LBB8_908:                              ;   in Loop: Header=BB8_891 Depth=3
	s_andn2_saveexec_b64 s[28:29], s[28:29]
	s_cbranch_execz .LBB8_910
; %bb.909:                              ;   in Loop: Header=BB8_891 Depth=3
	buffer_load_dword v3, off, s[0:3], s33 offset:160 ; 4-byte Folded Reload
	buffer_load_dword v4, off, s[0:3], s33 offset:164 ; 4-byte Folded Reload
	;; [unrolled: 1-line block ×6, first 2 shown]
	v_ashrrev_i32_e32 v59, 31, v58
	s_waitcnt vmcnt(0)
	v_and_b32_e32 v8, 7, v3
	v_mad_u64_u32 v[3:4], s[44:45], v8, 24, v[9:10]
	v_lshlrev_b64 v[10:11], 1, v[58:59]
	v_mov_b32_e32 v9, v2
	flat_store_dwordx2 v[3:4], v[10:11] offset:8
.LBB8_910:                              ;   in Loop: Header=BB8_891 Depth=3
	s_or_b64 exec, exec, s[28:29]
	buffer_load_dword v3, off, s[0:3], s33 offset:132 ; 4-byte Folded Reload
	s_mov_b64 s[28:29], -1
	s_waitcnt vmcnt(0)
	v_and_b32_e32 v3, 0x100, v3
	v_cmp_ne_u32_e32 vcc, 0, v3
                                        ; implicit-def: $vgpr3_vgpr4
	s_and_saveexec_b64 s[88:89], vcc
	s_cbranch_execz .LBB8_914
; %bb.911:                              ;   in Loop: Header=BB8_891 Depth=3
	buffer_load_dword v10, off, s[0:3], s33 offset:216 ; 4-byte Folded Reload
	buffer_load_dword v11, off, s[0:3], s33 offset:220 ; 4-byte Folded Reload
	;; [unrolled: 1-line block ×4, first 2 shown]
	s_waitcnt vmcnt(0)
	v_mad_u64_u32 v[10:11], s[28:29], v8, 24, v[10:11]
	v_mov_b32_e32 v3, v11
	v_mad_u64_u32 v[3:4], s[28:29], v9, 24, v[3:4]
	v_mov_b32_e32 v11, v3
	flat_load_dword v3, v[10:11]
	s_waitcnt vmcnt(0) lgkmcnt(0)
	v_cmp_ne_u32_e32 vcc, 1, v3
	v_cmp_eq_u32_e64 s[28:29], 1, v3
                                        ; implicit-def: $vgpr3_vgpr4
	s_and_saveexec_b64 s[90:91], s[28:29]
	s_cbranch_execz .LBB8_913
; %bb.912:                              ;   in Loop: Header=BB8_891 Depth=3
	flat_load_dword v3, v[10:11] offset:4 glc
	s_waitcnt vmcnt(0) lgkmcnt(0)
	v_ashrrev_i32_e32 v4, 31, v3
	v_lshrrev_b64 v[3:4], 1, v[3:4]
.LBB8_913:                              ;   in Loop: Header=BB8_891 Depth=3
	s_or_b64 exec, exec, s[90:91]
	s_orn2_b64 s[28:29], vcc, exec
.LBB8_914:                              ;   in Loop: Header=BB8_891 Depth=3
	s_or_b64 exec, exec, s[88:89]
	s_and_saveexec_b64 s[88:89], s[28:29]
	s_cbranch_execz .LBB8_916
; %bb.915:                              ;   in Loop: Header=BB8_891 Depth=3
	buffer_load_dword v3, off, s[0:3], s33 offset:256 ; 4-byte Folded Reload
	buffer_load_dword v4, off, s[0:3], s33 offset:268 ; 4-byte Folded Reload
	s_waitcnt vmcnt(0)
	v_mul_lo_u32 v5, v9, v3
	v_mul_lo_u32 v9, v8, v4
	v_mad_u64_u32 v[3:4], s[28:29], v8, v3, 0
	v_add3_u32 v4, v4, v9, v5
.LBB8_916:                              ;   in Loop: Header=BB8_891 Depth=3
	s_or_b64 exec, exec, s[88:89]
	buffer_load_dword v8, off, s[0:3], s33 offset:208 ; 4-byte Folded Reload
	buffer_load_dword v9, off, s[0:3], s33 offset:212 ; 4-byte Folded Reload
	v_lshlrev_b64 v[3:4], 1, v[3:4]
	v_cmp_eq_u32_e32 vcc, 0, v1
	v_mov_b32_e32 v1, 0xc8
	v_mov_b32_e32 v5, 0x90
	v_cndmask_b32_e32 v1, v1, v5, vcc
	v_add_u32_e32 v1, v0, v1
	s_waitcnt vmcnt(0)
	v_add_co_u32_e32 v3, vcc, v8, v3
	v_addc_co_u32_e32 v4, vcc, v9, v4, vcc
	ds_write_b64 v1, v[3:4] offset:584
	buffer_load_dword v1, off, s[0:3], s33 offset:132 ; 4-byte Folded Reload
	s_waitcnt vmcnt(0)
	v_and_b32_e32 v1, 0x2000, v1
	v_cmp_ne_u32_e32 vcc, 0, v1
	s_and_saveexec_b64 s[28:29], vcc
	s_cbranch_execz .LBB8_918
; %bb.917:                              ;   in Loop: Header=BB8_891 Depth=3
	ds_read_b64 v[3:4], v0 offset:872
	s_waitcnt lgkmcnt(0)
	v_add_co_u32_e32 v3, vcc, 1, v3
	v_addc_co_u32_e32 v4, vcc, 0, v4, vcc
	ds_write_b64 v0, v[3:4] offset:872
.LBB8_918:                              ;   in Loop: Header=BB8_891 Depth=3
	s_or_b64 exec, exec, s[28:29]
	buffer_store_dword v6, off, s[0:3], s33 offset:160 ; 4-byte Folded Spill
	s_nop 0
	buffer_store_dword v7, off, s[0:3], s33 offset:164 ; 4-byte Folded Spill
.LBB8_919:                              ;   in Loop: Header=BB8_891 Depth=3
	s_or_b64 exec, exec, s[40:41]
	s_and_saveexec_b64 s[28:29], s[10:11]
	s_cbranch_execz .LBB8_938
; %bb.920:                              ;   in Loop: Header=BB8_891 Depth=3
	s_and_saveexec_b64 s[40:41], s[56:57]
	s_xor_b64 s[40:41], exec, s[40:41]
	s_cbranch_execz .LBB8_935
; %bb.921:                              ;   in Loop: Header=BB8_891 Depth=3
	s_and_saveexec_b64 s[88:89], s[16:17]
	s_cbranch_execz .LBB8_934
; %bb.922:                              ;   in Loop: Header=BB8_891 Depth=3
	s_mov_b64 s[92:93], exec
	v_mbcnt_lo_u32_b32 v1, s92, 0
	v_mbcnt_hi_u32_b32 v1, s93, v1
	v_cmp_eq_u32_e32 vcc, 0, v1
	s_waitcnt vmcnt(0) lgkmcnt(0)
	buffer_wbinvl1_vol
	s_and_saveexec_b64 s[90:91], vcc
	s_cbranch_execz .LBB8_924
; %bb.923:                              ;   in Loop: Header=BB8_891 Depth=3
	s_bcnt1_i32_b64 s44, s[92:93]
	v_mov_b32_e32 v3, s44
	v_mov_b32_e32 v4, v2
	ds_add_u64 v0, v[3:4]
	s_trap 2
.LBB8_924:                              ;   in Loop: Header=BB8_891 Depth=3
	s_or_b64 exec, exec, s[90:91]
	s_trap 2
	ds_read_b64 v[3:4], v0
	s_waitcnt lgkmcnt(0)
	buffer_load_dword v1, off, s[0:3], s33 offset:128 ; 4-byte Folded Reload
	buffer_load_dword v5, off, s[0:3], s33 offset:144 ; 4-byte Folded Reload
	;; [unrolled: 1-line block ×3, first 2 shown]
	s_waitcnt vmcnt(1)
	v_add_co_u32_e32 v5, vcc, v5, v1
	s_waitcnt vmcnt(0)
	v_addc_co_u32_e32 v6, vcc, 0, v6, vcc
	buffer_store_dword v5, off, s[0:3], s33 offset:144 ; 4-byte Folded Spill
	s_nop 0
	buffer_store_dword v6, off, s[0:3], s33 offset:148 ; 4-byte Folded Spill
	v_cmp_lt_u64_e32 vcc, v[3:4], v[5:6]
	s_and_saveexec_b64 s[90:91], vcc
	s_cbranch_execz .LBB8_933
; %bb.925:                              ;   in Loop: Header=BB8_891 Depth=3
	s_mov_b32 s44, 0
	s_mov_b64 s[92:93], 0
                                        ; implicit-def: $sgpr94_sgpr95
                                        ; implicit-def: $sgpr30_sgpr31
	s_branch .LBB8_927
.LBB8_926:                              ;   in Loop: Header=BB8_927 Depth=4
	s_or_b64 exec, exec, s[36:37]
	s_and_b64 vcc, exec, vcc
	s_or_b64 s[92:93], vcc, s[92:93]
	s_andn2_b64 s[94:95], s[94:95], exec
	s_and_b64 vcc, s[30:31], exec
	s_or_b64 s[94:95], s[94:95], vcc
	s_andn2_b64 exec, exec, s[92:93]
	s_cbranch_execz .LBB8_931
.LBB8_927:                              ;   Parent Loop BB8_47 Depth=1
                                        ;     Parent Loop BB8_888 Depth=2
                                        ;       Parent Loop BB8_891 Depth=3
                                        ; =>      This Inner Loop Header: Depth=4
	s_add_i32 s44, s44, 1
	s_cmpk_lg_i32 s44, 0x2710
	s_cselect_b64 s[34:35], -1, 0
	s_and_b64 vcc, exec, s[34:35]
	s_cbranch_vccz .LBB8_929
; %bb.928:                              ;   in Loop: Header=BB8_927 Depth=4
	s_mov_b64 vcc, -1
	s_or_b64 s[30:31], s[30:31], exec
	s_and_saveexec_b64 s[36:37], s[34:35]
	s_cbranch_execz .LBB8_926
	s_branch .LBB8_930
.LBB8_929:                              ;   in Loop: Header=BB8_927 Depth=4
	s_trap 2
	ds_read_b64 v[3:4], v0
	s_andn2_b64 s[34:35], s[34:35], exec
	s_mov_b32 s44, 0
	s_waitcnt vmcnt(0) lgkmcnt(0)
	flat_load_dword v1, v[3:4] glc
	s_waitcnt vmcnt(0) lgkmcnt(0)
	buffer_wbinvl1_vol
	v_cmp_eq_u32_e32 vcc, 0, v1
	s_and_b64 vcc, vcc, exec
	s_or_b64 s[34:35], s[34:35], vcc
	s_mov_b64 vcc, -1
	s_or_b64 s[30:31], s[30:31], exec
	s_and_saveexec_b64 s[36:37], s[34:35]
	s_cbranch_execz .LBB8_926
.LBB8_930:                              ;   in Loop: Header=BB8_927 Depth=4
	s_sleep 1
	s_trap 2
	ds_read_b64 v[3:4], v0
	s_waitcnt lgkmcnt(0)
	buffer_load_dword v5, off, s[0:3], s33 offset:144 ; 4-byte Folded Reload
	buffer_load_dword v6, off, s[0:3], s33 offset:148 ; 4-byte Folded Reload
	s_andn2_b64 s[30:31], s[30:31], exec
	s_waitcnt vmcnt(0)
	v_cmp_ge_u64_e32 vcc, v[3:4], v[5:6]
	s_orn2_b64 vcc, vcc, exec
	s_branch .LBB8_926
.LBB8_931:                              ;   in Loop: Header=BB8_891 Depth=3
	s_or_b64 exec, exec, s[92:93]
	s_and_saveexec_b64 s[44:45], s[94:95]
	s_xor_b64 s[44:45], exec, s[44:45]
	s_cbranch_execz .LBB8_933
; %bb.932:                              ;   in Loop: Header=BB8_891 Depth=3
	v_mov_b32_e32 v1, 1
	ds_write_b32 v0, v1
	s_trap 2
.LBB8_933:                              ;   in Loop: Header=BB8_891 Depth=3
	s_or_b64 exec, exec, s[90:91]
	;;#ASMSTART
	s_wakeup
	;;#ASMEND
.LBB8_934:                              ;   in Loop: Header=BB8_891 Depth=3
	s_or_b64 exec, exec, s[88:89]
.LBB8_935:                              ;   in Loop: Header=BB8_891 Depth=3
	s_andn2_saveexec_b64 s[40:41], s[40:41]
	s_cbranch_execz .LBB8_937
; %bb.936:                              ;   in Loop: Header=BB8_891 Depth=3
	s_waitcnt vmcnt(0) lgkmcnt(0)
	buffer_wbinvl1_vol
	s_barrier
.LBB8_937:                              ;   in Loop: Header=BB8_891 Depth=3
	s_or_b64 exec, exec, s[40:41]
.LBB8_938:                              ;   in Loop: Header=BB8_891 Depth=3
	s_or_b64 exec, exec, s[28:29]
	s_trap 2
	buffer_load_dword v3, off, s[0:3], s33 offset:132 ; 4-byte Folded Reload
	ds_read_b32 v1, v0
	s_xor_b64 s[28:29], s[6:7], -1
	s_waitcnt vmcnt(0)
	v_and_b32_e32 v3, 0x4000, v3
	v_cmp_ne_u32_e32 vcc, 0, v3
	s_and_b64 s[40:41], s[28:29], vcc
	s_and_saveexec_b64 s[28:29], s[40:41]
	s_cbranch_execz .LBB8_957
; %bb.939:                              ;   in Loop: Header=BB8_891 Depth=3
	s_and_saveexec_b64 s[40:41], s[56:57]
	s_xor_b64 s[40:41], exec, s[40:41]
	s_cbranch_execz .LBB8_954
; %bb.940:                              ;   in Loop: Header=BB8_891 Depth=3
	s_and_saveexec_b64 s[88:89], s[16:17]
	s_cbranch_execz .LBB8_953
; %bb.941:                              ;   in Loop: Header=BB8_891 Depth=3
	s_mov_b64 s[92:93], exec
	v_mbcnt_lo_u32_b32 v3, s92, 0
	v_mbcnt_hi_u32_b32 v3, s93, v3
	v_cmp_eq_u32_e32 vcc, 0, v3
	s_waitcnt lgkmcnt(0)
	buffer_wbinvl1_vol
	s_and_saveexec_b64 s[90:91], vcc
	s_cbranch_execz .LBB8_943
; %bb.942:                              ;   in Loop: Header=BB8_891 Depth=3
	s_bcnt1_i32_b64 s44, s[92:93]
	v_mov_b32_e32 v3, s44
	v_mov_b32_e32 v4, v2
	ds_add_u64 v0, v[3:4]
	s_trap 2
.LBB8_943:                              ;   in Loop: Header=BB8_891 Depth=3
	s_or_b64 exec, exec, s[90:91]
	s_trap 2
	ds_read_b64 v[3:4], v0
	s_waitcnt lgkmcnt(0)
	buffer_load_dword v5, off, s[0:3], s33 offset:128 ; 4-byte Folded Reload
	buffer_load_dword v6, off, s[0:3], s33 offset:144 ; 4-byte Folded Reload
	;; [unrolled: 1-line block ×3, first 2 shown]
	s_waitcnt vmcnt(1)
	v_add_co_u32_e32 v6, vcc, v6, v5
	s_waitcnt vmcnt(0)
	v_addc_co_u32_e32 v7, vcc, 0, v7, vcc
	buffer_store_dword v6, off, s[0:3], s33 offset:144 ; 4-byte Folded Spill
	s_nop 0
	buffer_store_dword v7, off, s[0:3], s33 offset:148 ; 4-byte Folded Spill
	v_cmp_lt_u64_e32 vcc, v[3:4], v[6:7]
	s_and_saveexec_b64 s[90:91], vcc
	s_cbranch_execz .LBB8_952
; %bb.944:                              ;   in Loop: Header=BB8_891 Depth=3
	s_mov_b32 s44, 0
	s_mov_b64 s[92:93], 0
                                        ; implicit-def: $sgpr94_sgpr95
                                        ; implicit-def: $sgpr30_sgpr31
	s_branch .LBB8_946
.LBB8_945:                              ;   in Loop: Header=BB8_946 Depth=4
	s_or_b64 exec, exec, s[36:37]
	s_and_b64 vcc, exec, vcc
	s_or_b64 s[92:93], vcc, s[92:93]
	s_andn2_b64 s[94:95], s[94:95], exec
	s_and_b64 vcc, s[30:31], exec
	s_or_b64 s[94:95], s[94:95], vcc
	s_andn2_b64 exec, exec, s[92:93]
	s_cbranch_execz .LBB8_950
.LBB8_946:                              ;   Parent Loop BB8_47 Depth=1
                                        ;     Parent Loop BB8_888 Depth=2
                                        ;       Parent Loop BB8_891 Depth=3
                                        ; =>      This Inner Loop Header: Depth=4
	s_add_i32 s44, s44, 1
	s_cmpk_lg_i32 s44, 0x2710
	s_cselect_b64 s[34:35], -1, 0
	s_and_b64 vcc, exec, s[34:35]
	s_cbranch_vccz .LBB8_948
; %bb.947:                              ;   in Loop: Header=BB8_946 Depth=4
	s_mov_b64 vcc, -1
	s_or_b64 s[30:31], s[30:31], exec
	s_and_saveexec_b64 s[36:37], s[34:35]
	s_cbranch_execz .LBB8_945
	s_branch .LBB8_949
.LBB8_948:                              ;   in Loop: Header=BB8_946 Depth=4
	s_trap 2
	ds_read_b64 v[3:4], v0
	s_andn2_b64 s[34:35], s[34:35], exec
	s_mov_b32 s44, 0
	s_waitcnt vmcnt(0) lgkmcnt(0)
	flat_load_dword v3, v[3:4] glc
	s_waitcnt vmcnt(0) lgkmcnt(0)
	buffer_wbinvl1_vol
	v_cmp_eq_u32_e32 vcc, 0, v3
	s_and_b64 vcc, vcc, exec
	s_or_b64 s[34:35], s[34:35], vcc
	s_mov_b64 vcc, -1
	s_or_b64 s[30:31], s[30:31], exec
	s_and_saveexec_b64 s[36:37], s[34:35]
	s_cbranch_execz .LBB8_945
.LBB8_949:                              ;   in Loop: Header=BB8_946 Depth=4
	s_sleep 1
	s_trap 2
	ds_read_b64 v[3:4], v0
	s_waitcnt lgkmcnt(0)
	buffer_load_dword v5, off, s[0:3], s33 offset:144 ; 4-byte Folded Reload
	buffer_load_dword v6, off, s[0:3], s33 offset:148 ; 4-byte Folded Reload
	s_andn2_b64 s[30:31], s[30:31], exec
	s_waitcnt vmcnt(0)
	v_cmp_ge_u64_e32 vcc, v[3:4], v[5:6]
	s_orn2_b64 vcc, vcc, exec
	s_branch .LBB8_945
.LBB8_950:                              ;   in Loop: Header=BB8_891 Depth=3
	s_or_b64 exec, exec, s[92:93]
	s_and_saveexec_b64 s[44:45], s[94:95]
	s_xor_b64 s[44:45], exec, s[44:45]
	s_cbranch_execz .LBB8_952
; %bb.951:                              ;   in Loop: Header=BB8_891 Depth=3
	v_mov_b32_e32 v3, 1
	ds_write_b32 v0, v3
	s_trap 2
.LBB8_952:                              ;   in Loop: Header=BB8_891 Depth=3
	s_or_b64 exec, exec, s[90:91]
	;;#ASMSTART
	s_wakeup
	;;#ASMEND
.LBB8_953:                              ;   in Loop: Header=BB8_891 Depth=3
	s_or_b64 exec, exec, s[88:89]
.LBB8_954:                              ;   in Loop: Header=BB8_891 Depth=3
	s_andn2_saveexec_b64 s[40:41], s[40:41]
	s_cbranch_execz .LBB8_956
; %bb.955:                              ;   in Loop: Header=BB8_891 Depth=3
	s_waitcnt vmcnt(0) lgkmcnt(0)
	buffer_wbinvl1_vol
	s_barrier
.LBB8_956:                              ;   in Loop: Header=BB8_891 Depth=3
	s_or_b64 exec, exec, s[40:41]
.LBB8_957:                              ;   in Loop: Header=BB8_891 Depth=3
	s_or_b64 exec, exec, s[28:29]
	s_trap 2
	ds_read_b64 v[3:4], v0
	s_waitcnt lgkmcnt(0)
	buffer_store_dword v3, off, s[0:3], s33 offset:240 ; 4-byte Folded Spill
	s_nop 0
	buffer_store_dword v4, off, s[0:3], s33 offset:244 ; 4-byte Folded Spill
	v_cmp_eq_u64_e32 vcc, 0, v[3:4]
	s_cbranch_vccnz .LBB8_965
; %bb.958:                              ;   in Loop: Header=BB8_891 Depth=3
	s_trap 2
	ds_read_b64 v[48:49], v0
	s_waitcnt lgkmcnt(0)
	v_cmp_eq_u64_e32 vcc, 0, v[48:49]
	s_cbranch_vccnz .LBB8_965
; %bb.959:                              ;   in Loop: Header=BB8_891 Depth=3
	s_mov_b64 s[40:41], -1
	s_and_saveexec_b64 s[28:29], s[22:23]
	s_cbranch_execz .LBB8_961
; %bb.960:                              ;   in Loop: Header=BB8_891 Depth=3
	ds_read_b32 v3, v0 offset:720
	s_waitcnt lgkmcnt(0)
	v_and_b32_e32 v3, 15, v3
	v_cmp_eq_u32_e32 vcc, 0, v3
	s_orn2_b64 s[40:41], vcc, exec
.LBB8_961:                              ;   in Loop: Header=BB8_891 Depth=3
	s_or_b64 exec, exec, s[28:29]
	s_and_saveexec_b64 s[28:29], s[20:21]
	s_cbranch_execz .LBB8_963
; %bb.962:                              ;   in Loop: Header=BB8_891 Depth=3
	ds_read_b32 v3, v0 offset:784
	s_waitcnt lgkmcnt(0)
	v_and_b32_e32 v3, 15, v3
	v_cmp_eq_u32_e32 vcc, 0, v3
	s_and_b64 s[44:45], s[40:41], vcc
	s_andn2_b64 s[40:41], s[40:41], exec
	s_and_b64 s[44:45], s[44:45], exec
	s_or_b64 s[40:41], s[40:41], s[44:45]
.LBB8_963:                              ;   in Loop: Header=BB8_891 Depth=3
	s_or_b64 exec, exec, s[28:29]
	s_xor_b64 s[40:41], s[40:41], -1
	v_cmp_eq_u32_e64 s[28:29], 0, v1
	v_cndmask_b32_e64 v1, 0, 1, s[40:41]
	s_mov_b64 s[90:91], -1
	v_cmp_ne_u32_e32 vcc, 0, v1
	s_cbranch_vccz .LBB8_970
; %bb.964:                              ;   in Loop: Header=BB8_891 Depth=3
	s_mov_b64 s[90:91], 0
	s_mov_b64 s[88:89], -1
	s_branch .LBB8_971
.LBB8_965:                              ;   in Loop: Header=BB8_891 Depth=3
	s_mov_b64 s[28:29], 0
	s_and_saveexec_b64 s[40:41], s[10:11]
	s_cbranch_execnz .LBB8_1819
.LBB8_966:                              ;   in Loop: Header=BB8_891 Depth=3
	s_or_b64 exec, exec, s[40:41]
                                        ; implicit-def: $vgpr1
	s_and_saveexec_b64 s[40:41], s[24:25]
	s_xor_b64 s[40:41], exec, s[40:41]
	s_cbranch_execz .LBB8_1837
.LBB8_967:                              ;   in Loop: Header=BB8_891 Depth=3
	buffer_load_dword v3, off, s[0:3], s33 offset:132 ; 4-byte Folded Reload
	s_waitcnt vmcnt(0)
	v_and_b32_e32 v1, 16, v3
	v_and_b32_e32 v3, 16, v3
	v_cmp_ne_u32_e32 vcc, 0, v3
	s_and_b64 s[44:45], vcc, s[28:29]
	s_and_saveexec_b64 s[28:29], s[44:45]
	s_cbranch_execz .LBB8_969
; %bb.968:                              ;   in Loop: Header=BB8_891 Depth=3
	v_mov_b32_e32 v1, 1
	s_waitcnt lgkmcnt(0)
	buffer_wbinvl1_vol
.LBB8_969:                              ;   in Loop: Header=BB8_891 Depth=3
	s_or_b64 exec, exec, s[28:29]
	s_andn2_saveexec_b64 s[28:29], s[40:41]
	s_cbranch_execz .LBB8_1856
	s_branch .LBB8_1838
.LBB8_970:                              ;   in Loop: Header=BB8_891 Depth=3
	s_mov_b64 s[88:89], 0
.LBB8_971:                              ;   in Loop: Header=BB8_891 Depth=3
	v_cndmask_b32_e64 v39, 0, v58, s[28:29]
	v_lshlrev_b32_e32 v50, 1, v39
	s_andn2_b64 vcc, exec, s[90:91]
	v_mov_b32_e32 v12, 0
	s_cbranch_vccnz .LBB8_1235
; %bb.972:                              ;   in Loop: Header=BB8_891 Depth=3
	v_ashrrev_i32_e32 v1, 31, v50
	v_lshrrev_b32_e32 v1, 21, v1
	v_add_u32_e32 v1, v50, v1
	v_ashrrev_i32_e32 v51, 11, v1
	buffer_load_dword v1, off, s[0:3], s33 offset:308 ; 4-byte Folded Reload
	buffer_load_dword v3, off, s[0:3], s33 offset:300 ; 4-byte Folded Reload
	s_mov_b64 s[40:41], 0
                                        ; implicit-def: $vgpr32_vgpr33
                                        ; implicit-def: $vgpr16_vgpr17
                                        ; implicit-def: $vgpr12_vgpr13
                                        ; implicit-def: $vgpr8_vgpr9
	s_waitcnt vmcnt(1)
	v_sub_u32_e32 v1, v51, v1
	s_waitcnt vmcnt(0)
	v_add_co_u32_e32 v6, vcc, v48, v3
	v_addc_co_u32_e32 v7, vcc, 0, v49, vcc
	v_cmp_lt_i32_e32 vcc, 0, v1
	s_and_saveexec_b64 s[28:29], vcc
	s_cbranch_execz .LBB8_1237
; %bb.973:                              ;   in Loop: Header=BB8_891 Depth=3
	buffer_store_dword v51, off, s[0:3], s33 offset:344 ; 4-byte Folded Spill
	buffer_store_dword v50, off, s[0:3], s33 offset:336 ; 4-byte Folded Spill
	;; [unrolled: 1-line block ×3, first 2 shown]
	s_nop 0
	buffer_store_dword v49, off, s[0:3], s33 offset:332 ; 4-byte Folded Spill
	buffer_store_dword v39, off, s[0:3], s33 offset:320 ; 4-byte Folded Spill
	s_trap 2
	ds_read_b64 v[3:4], v0
	buffer_load_dword v8, off, s[0:3], s33 offset:300 ; 4-byte Folded Reload
	buffer_load_dword v9, off, s[0:3], s33 offset:240 ; 4-byte Folded Reload
	;; [unrolled: 1-line block ×3, first 2 shown]
	ds_read_b32 v5, v0
	s_mov_b64 s[92:93], 0
                                        ; implicit-def: $sgpr90_sgpr91
                                        ; implicit-def: $vgpr32_vgpr33
                                        ; implicit-def: $vgpr16_vgpr17
                                        ; implicit-def: $vgpr12_vgpr13
	s_waitcnt lgkmcnt(0)
	v_lshlrev_b32_e32 v61, 16, v5
	s_waitcnt vmcnt(1)
	v_add_co_u32_e32 v42, vcc, v9, v8
	s_waitcnt vmcnt(0)
	v_addc_co_u32_e32 v43, vcc, 0, v10, vcc
	v_add_co_u32_e32 v28, vcc, v3, v8
	v_addc_co_u32_e32 v29, vcc, 0, v4, vcc
                                        ; implicit-def: $vgpr8_vgpr9
	s_branch .LBB8_975
.LBB8_974:                              ;   in Loop: Header=BB8_975 Depth=4
	s_or_b64 exec, exec, s[94:95]
	v_lshrrev_b32_e32 v30, 16, v30
	v_and_or_b32 v49, v25, s97, v30
	v_lshrrev_b32_e32 v25, 16, v36
	v_and_or_b32 v48, v24, s97, v25
	;; [unrolled: 2-line block ×8, first 2 shown]
	global_store_dwordx4 v[6:7], v[48:51], off glc slc
	global_store_dwordx4 v[6:7], v[20:23], off offset:1024 glc slc
	buffer_load_dword v20, off, s[0:3], s33 offset:172 ; 4-byte Folded Reload
	s_nop 0
	buffer_load_dword v21, off, s[0:3], s33 offset:176 ; 4-byte Folded Reload
	v_mov_b32_e32 v23, 0x800
	buffer_load_dword v22, off, s[0:3], s33 offset:152 ; 4-byte Folded Reload
	s_waitcnt vmcnt(2)
	v_add_co_u32_e32 v3, vcc, v42, v20
	s_waitcnt vmcnt(1)
	v_addc_co_u32_e32 v4, vcc, v43, v21, vcc
	v_add_co_u32_e32 v5, vcc, v28, v20
	v_addc_co_u32_e32 v20, vcc, v29, v21, vcc
	buffer_load_dword v21, off, s[0:3], s33 offset:156 ; 4-byte Folded Reload
	v_cndmask_b32_e64 v42, v42, v3, s[92:93]
	buffer_load_dword v3, off, s[0:3], s33 offset:128 ; 4-byte Folded Reload
	v_cndmask_b32_e64 v43, v43, v4, s[92:93]
	v_cndmask_b32_e64 v29, v29, v20, s[92:93]
	;; [unrolled: 1-line block ×3, first 2 shown]
	s_waitcnt vmcnt(2)
	v_cndmask_b32_e64 v22, v23, v22, s[92:93]
	v_add_co_u32_e32 v6, vcc, v6, v22
	s_waitcnt vmcnt(1)
	v_cndmask_b32_e64 v21, 0, v21, s[92:93]
	v_addc_co_u32_e32 v7, vcc, v7, v21, vcc
	s_waitcnt vmcnt(0)
	v_cndmask_b32_e64 v3, 0, v3, s[92:93]
	v_sub_u32_e32 v1, v1, v3
	v_cmp_gt_i32_e32 vcc, 1, v1
	s_or_b64 s[40:41], vcc, s[40:41]
	s_andn2_b64 s[44:45], s[90:91], exec
	s_and_b64 s[90:91], s[92:93], exec
	s_or_b64 s[90:91], s[44:45], s[90:91]
	s_andn2_b64 exec, exec, s[40:41]
	s_cbranch_execz .LBB8_1236
.LBB8_975:                              ;   Parent Loop BB8_47 Depth=1
                                        ;     Parent Loop BB8_888 Depth=2
                                        ;       Parent Loop BB8_891 Depth=3
                                        ; =>      This Inner Loop Header: Depth=4
	global_load_dwordx4 v[48:51], v[42:43], off glc slc
	global_load_dwordx4 v[36:39], v[42:43], off offset:1024 glc slc
	global_load_dwordx4 v[24:27], v[28:29], off glc slc
	global_load_dwordx4 v[20:23], v[28:29], off offset:1024 glc slc
	s_and_saveexec_b64 s[94:95], s[92:93]
	s_cbranch_execz .LBB8_1105
; %bb.976:                              ;   in Loop: Header=BB8_975 Depth=4
	v_lshlrev_b32_e32 v3, 16, v32
	v_mul_f32_e32 v3, v61, v3
	v_and_b32_e32 v4, 0x7f800000, v3
	v_cmp_ne_u32_e32 vcc, s87, v4
                                        ; implicit-def: $vgpr31
	s_and_saveexec_b64 s[44:45], vcc
	s_xor_b64 s[92:93], exec, s[44:45]
; %bb.977:                              ;   in Loop: Header=BB8_975 Depth=4
	v_bfe_u32 v4, v3, 16, 1
	v_add3_u32 v31, v3, v4, s96
                                        ; implicit-def: $vgpr3
; %bb.978:                              ;   in Loop: Header=BB8_975 Depth=4
	s_andn2_saveexec_b64 s[92:93], s[92:93]
; %bb.979:                              ;   in Loop: Header=BB8_975 Depth=4
	v_or_b32_e32 v4, 0x10000, v3
	v_cmp_eq_u32_sdwa vcc, v3, v2 src0_sel:WORD_0 src1_sel:DWORD
	v_cndmask_b32_e32 v31, v4, v3, vcc
; %bb.980:                              ;   in Loop: Header=BB8_975 Depth=4
	s_or_b64 exec, exec, s[92:93]
	v_and_b32_e32 v3, 0xffff0000, v32
	v_mul_f32_e32 v3, v61, v3
	v_and_b32_e32 v4, 0x7f800000, v3
	v_cmp_ne_u32_e32 vcc, s87, v4
                                        ; implicit-def: $vgpr57
	s_and_saveexec_b64 s[44:45], vcc
	s_xor_b64 s[92:93], exec, s[44:45]
; %bb.981:                              ;   in Loop: Header=BB8_975 Depth=4
	v_bfe_u32 v4, v3, 16, 1
	v_add3_u32 v57, v3, v4, s96
                                        ; implicit-def: $vgpr3
; %bb.982:                              ;   in Loop: Header=BB8_975 Depth=4
	s_andn2_saveexec_b64 s[92:93], s[92:93]
; %bb.983:                              ;   in Loop: Header=BB8_975 Depth=4
	v_or_b32_e32 v4, 0x10000, v3
	v_cmp_eq_u32_sdwa vcc, v3, v2 src0_sel:WORD_0 src1_sel:DWORD
	v_cndmask_b32_e32 v57, v4, v3, vcc
; %bb.984:                              ;   in Loop: Header=BB8_975 Depth=4
	s_or_b64 exec, exec, s[92:93]
	v_lshlrev_b32_e32 v3, 16, v33
	v_mul_f32_e32 v3, v61, v3
	v_and_b32_e32 v4, 0x7f800000, v3
	v_cmp_ne_u32_e32 vcc, s87, v4
                                        ; implicit-def: $vgpr30
	s_and_saveexec_b64 s[44:45], vcc
	s_xor_b64 s[92:93], exec, s[44:45]
; %bb.985:                              ;   in Loop: Header=BB8_975 Depth=4
	v_bfe_u32 v4, v3, 16, 1
	v_add3_u32 v30, v3, v4, s96
                                        ; implicit-def: $vgpr3
; %bb.986:                              ;   in Loop: Header=BB8_975 Depth=4
	s_andn2_saveexec_b64 s[92:93], s[92:93]
; %bb.987:                              ;   in Loop: Header=BB8_975 Depth=4
	v_or_b32_e32 v4, 0x10000, v3
	v_cmp_eq_u32_sdwa vcc, v3, v2 src0_sel:WORD_0 src1_sel:DWORD
	v_cndmask_b32_e32 v30, v4, v3, vcc
; %bb.988:                              ;   in Loop: Header=BB8_975 Depth=4
	s_or_b64 exec, exec, s[92:93]
	v_and_b32_e32 v3, 0xffff0000, v33
	v_mul_f32_e32 v3, v61, v3
	v_and_b32_e32 v4, 0x7f800000, v3
	v_cmp_ne_u32_e32 vcc, s87, v4
                                        ; implicit-def: $vgpr59
	s_and_saveexec_b64 s[44:45], vcc
	s_xor_b64 s[92:93], exec, s[44:45]
; %bb.989:                              ;   in Loop: Header=BB8_975 Depth=4
	v_bfe_u32 v4, v3, 16, 1
	v_add3_u32 v59, v3, v4, s96
                                        ; implicit-def: $vgpr3
; %bb.990:                              ;   in Loop: Header=BB8_975 Depth=4
	s_andn2_saveexec_b64 s[92:93], s[92:93]
; %bb.991:                              ;   in Loop: Header=BB8_975 Depth=4
	v_or_b32_e32 v4, 0x10000, v3
	v_cmp_eq_u32_sdwa vcc, v3, v2 src0_sel:WORD_0 src1_sel:DWORD
	v_cndmask_b32_e32 v59, v4, v3, vcc
; %bb.992:                              ;   in Loop: Header=BB8_975 Depth=4
	s_or_b64 exec, exec, s[92:93]
	v_lshlrev_b32_e32 v3, 16, v34
	v_mul_f32_e32 v3, v61, v3
	v_and_b32_e32 v4, 0x7f800000, v3
	v_cmp_ne_u32_e32 vcc, s87, v4
                                        ; implicit-def: $vgpr60
	s_and_saveexec_b64 s[44:45], vcc
	s_xor_b64 s[92:93], exec, s[44:45]
; %bb.993:                              ;   in Loop: Header=BB8_975 Depth=4
	v_bfe_u32 v4, v3, 16, 1
	v_add3_u32 v60, v3, v4, s96
                                        ; implicit-def: $vgpr3
; %bb.994:                              ;   in Loop: Header=BB8_975 Depth=4
	s_andn2_saveexec_b64 s[92:93], s[92:93]
; %bb.995:                              ;   in Loop: Header=BB8_975 Depth=4
	v_or_b32_e32 v4, 0x10000, v3
	v_cmp_eq_u32_sdwa vcc, v3, v2 src0_sel:WORD_0 src1_sel:DWORD
	v_cndmask_b32_e32 v60, v4, v3, vcc
; %bb.996:                              ;   in Loop: Header=BB8_975 Depth=4
	s_or_b64 exec, exec, s[92:93]
	v_and_b32_e32 v3, 0xffff0000, v34
	v_mul_f32_e32 v3, v61, v3
	v_and_b32_e32 v4, 0x7f800000, v3
	v_cmp_ne_u32_e32 vcc, s87, v4
                                        ; implicit-def: $vgpr45
	s_and_saveexec_b64 s[44:45], vcc
	s_xor_b64 s[92:93], exec, s[44:45]
; %bb.997:                              ;   in Loop: Header=BB8_975 Depth=4
	v_bfe_u32 v4, v3, 16, 1
	v_add3_u32 v45, v3, v4, s96
                                        ; implicit-def: $vgpr3
; %bb.998:                              ;   in Loop: Header=BB8_975 Depth=4
	s_andn2_saveexec_b64 s[92:93], s[92:93]
; %bb.999:                              ;   in Loop: Header=BB8_975 Depth=4
	v_or_b32_e32 v4, 0x10000, v3
	v_cmp_eq_u32_sdwa vcc, v3, v2 src0_sel:WORD_0 src1_sel:DWORD
	v_cndmask_b32_e32 v45, v4, v3, vcc
; %bb.1000:                             ;   in Loop: Header=BB8_975 Depth=4
	s_or_b64 exec, exec, s[92:93]
	v_lshlrev_b32_e32 v3, 16, v35
	v_mul_f32_e32 v3, v61, v3
	v_and_b32_e32 v4, 0x7f800000, v3
	v_cmp_ne_u32_e32 vcc, s87, v4
                                        ; implicit-def: $vgpr5
	s_and_saveexec_b64 s[44:45], vcc
	s_xor_b64 s[92:93], exec, s[44:45]
; %bb.1001:                             ;   in Loop: Header=BB8_975 Depth=4
	v_bfe_u32 v4, v3, 16, 1
	v_add3_u32 v5, v3, v4, s96
                                        ; implicit-def: $vgpr3
; %bb.1002:                             ;   in Loop: Header=BB8_975 Depth=4
	s_andn2_saveexec_b64 s[92:93], s[92:93]
; %bb.1003:                             ;   in Loop: Header=BB8_975 Depth=4
	v_or_b32_e32 v4, 0x10000, v3
	v_cmp_eq_u32_sdwa vcc, v3, v2 src0_sel:WORD_0 src1_sel:DWORD
	v_cndmask_b32_e32 v5, v4, v3, vcc
; %bb.1004:                             ;   in Loop: Header=BB8_975 Depth=4
	s_or_b64 exec, exec, s[92:93]
	v_and_b32_e32 v3, 0xffff0000, v35
	v_mul_f32_e32 v4, v61, v3
	v_and_b32_e32 v3, 0x7f800000, v4
	v_cmp_ne_u32_e32 vcc, s87, v3
                                        ; implicit-def: $vgpr3
	s_and_saveexec_b64 s[44:45], vcc
	s_xor_b64 s[92:93], exec, s[44:45]
; %bb.1005:                             ;   in Loop: Header=BB8_975 Depth=4
	v_bfe_u32 v3, v4, 16, 1
	v_add3_u32 v3, v4, v3, s96
                                        ; implicit-def: $vgpr4
; %bb.1006:                             ;   in Loop: Header=BB8_975 Depth=4
	s_andn2_saveexec_b64 s[92:93], s[92:93]
; %bb.1007:                             ;   in Loop: Header=BB8_975 Depth=4
	v_or_b32_e32 v3, 0x10000, v4
	v_cmp_eq_u32_sdwa vcc, v4, v2 src0_sel:WORD_0 src1_sel:DWORD
	v_cndmask_b32_e32 v3, v3, v4, vcc
; %bb.1008:                             ;   in Loop: Header=BB8_975 Depth=4
	s_or_b64 exec, exec, s[92:93]
	v_lshlrev_b32_e32 v4, 16, v16
	v_mul_f32_e32 v4, v61, v4
	v_and_b32_e32 v32, 0x7f800000, v4
	v_cmp_ne_u32_e32 vcc, s87, v32
                                        ; implicit-def: $vgpr44
	s_and_saveexec_b64 s[44:45], vcc
	s_xor_b64 s[92:93], exec, s[44:45]
; %bb.1009:                             ;   in Loop: Header=BB8_975 Depth=4
	v_bfe_u32 v32, v4, 16, 1
	v_add3_u32 v44, v4, v32, s96
                                        ; implicit-def: $vgpr4
; %bb.1010:                             ;   in Loop: Header=BB8_975 Depth=4
	s_andn2_saveexec_b64 s[92:93], s[92:93]
; %bb.1011:                             ;   in Loop: Header=BB8_975 Depth=4
	v_or_b32_e32 v32, 0x10000, v4
	v_cmp_eq_u32_sdwa vcc, v4, v2 src0_sel:WORD_0 src1_sel:DWORD
	v_cndmask_b32_e32 v44, v32, v4, vcc
; %bb.1012:                             ;   in Loop: Header=BB8_975 Depth=4
	s_or_b64 exec, exec, s[92:93]
	v_and_b32_e32 v4, 0xffff0000, v16
	v_mul_f32_e32 v4, v61, v4
	v_and_b32_e32 v16, 0x7f800000, v4
	v_cmp_ne_u32_e32 vcc, s87, v16
                                        ; implicit-def: $vgpr35
	s_and_saveexec_b64 s[44:45], vcc
	s_xor_b64 s[92:93], exec, s[44:45]
; %bb.1013:                             ;   in Loop: Header=BB8_975 Depth=4
	v_bfe_u32 v16, v4, 16, 1
	v_add3_u32 v35, v4, v16, s96
                                        ; implicit-def: $vgpr4
; %bb.1014:                             ;   in Loop: Header=BB8_975 Depth=4
	s_andn2_saveexec_b64 s[92:93], s[92:93]
; %bb.1015:                             ;   in Loop: Header=BB8_975 Depth=4
	v_or_b32_e32 v16, 0x10000, v4
	v_cmp_eq_u32_sdwa vcc, v4, v2 src0_sel:WORD_0 src1_sel:DWORD
	v_cndmask_b32_e32 v35, v16, v4, vcc
; %bb.1016:                             ;   in Loop: Header=BB8_975 Depth=4
	s_or_b64 exec, exec, s[92:93]
	v_lshlrev_b32_e32 v4, 16, v17
	v_mul_f32_e32 v16, v61, v4
	v_and_b32_e32 v4, 0x7f800000, v16
	v_cmp_ne_u32_e32 vcc, s87, v4
                                        ; implicit-def: $vgpr4
	s_and_saveexec_b64 s[44:45], vcc
	s_xor_b64 s[92:93], exec, s[44:45]
; %bb.1017:                             ;   in Loop: Header=BB8_975 Depth=4
	v_bfe_u32 v4, v16, 16, 1
	v_add3_u32 v4, v16, v4, s96
                                        ; implicit-def: $vgpr16
; %bb.1018:                             ;   in Loop: Header=BB8_975 Depth=4
	s_andn2_saveexec_b64 s[92:93], s[92:93]
; %bb.1019:                             ;   in Loop: Header=BB8_975 Depth=4
	v_or_b32_e32 v4, 0x10000, v16
	v_cmp_eq_u32_sdwa vcc, v16, v2 src0_sel:WORD_0 src1_sel:DWORD
	v_cndmask_b32_e32 v4, v4, v16, vcc
; %bb.1020:                             ;   in Loop: Header=BB8_975 Depth=4
	s_or_b64 exec, exec, s[92:93]
	v_and_b32_e32 v16, 0xffff0000, v17
	v_mul_f32_e32 v16, v61, v16
	v_and_b32_e32 v17, 0x7f800000, v16
	v_cmp_ne_u32_e32 vcc, s87, v17
                                        ; implicit-def: $vgpr33
	s_and_saveexec_b64 s[44:45], vcc
	s_xor_b64 s[92:93], exec, s[44:45]
; %bb.1021:                             ;   in Loop: Header=BB8_975 Depth=4
	v_bfe_u32 v17, v16, 16, 1
	v_add3_u32 v33, v16, v17, s96
                                        ; implicit-def: $vgpr16
; %bb.1022:                             ;   in Loop: Header=BB8_975 Depth=4
	s_andn2_saveexec_b64 s[92:93], s[92:93]
; %bb.1023:                             ;   in Loop: Header=BB8_975 Depth=4
	v_or_b32_e32 v17, 0x10000, v16
	v_cmp_eq_u32_sdwa vcc, v16, v2 src0_sel:WORD_0 src1_sel:DWORD
	v_cndmask_b32_e32 v33, v17, v16, vcc
; %bb.1024:                             ;   in Loop: Header=BB8_975 Depth=4
	s_or_b64 exec, exec, s[92:93]
	v_lshlrev_b32_e32 v16, 16, v18
	v_mul_f32_e32 v16, v61, v16
	v_and_b32_e32 v17, 0x7f800000, v16
	v_cmp_ne_u32_e32 vcc, s87, v17
                                        ; implicit-def: $vgpr34
	s_and_saveexec_b64 s[44:45], vcc
	s_xor_b64 s[92:93], exec, s[44:45]
; %bb.1025:                             ;   in Loop: Header=BB8_975 Depth=4
	v_bfe_u32 v17, v16, 16, 1
	v_add3_u32 v34, v16, v17, s96
                                        ; implicit-def: $vgpr16
; %bb.1026:                             ;   in Loop: Header=BB8_975 Depth=4
	s_andn2_saveexec_b64 s[92:93], s[92:93]
; %bb.1027:                             ;   in Loop: Header=BB8_975 Depth=4
	v_or_b32_e32 v17, 0x10000, v16
	v_cmp_eq_u32_sdwa vcc, v16, v2 src0_sel:WORD_0 src1_sel:DWORD
	v_cndmask_b32_e32 v34, v17, v16, vcc
; %bb.1028:                             ;   in Loop: Header=BB8_975 Depth=4
	s_or_b64 exec, exec, s[92:93]
	v_and_b32_e32 v16, 0xffff0000, v18
	v_mul_f32_e32 v16, v61, v16
	v_and_b32_e32 v17, 0x7f800000, v16
	v_cmp_ne_u32_e32 vcc, s87, v17
                                        ; implicit-def: $vgpr18
	s_and_saveexec_b64 s[44:45], vcc
	s_xor_b64 s[92:93], exec, s[44:45]
; %bb.1029:                             ;   in Loop: Header=BB8_975 Depth=4
	v_bfe_u32 v17, v16, 16, 1
	v_add3_u32 v18, v16, v17, s96
                                        ; implicit-def: $vgpr16
; %bb.1030:                             ;   in Loop: Header=BB8_975 Depth=4
	s_andn2_saveexec_b64 s[92:93], s[92:93]
; %bb.1031:                             ;   in Loop: Header=BB8_975 Depth=4
	v_or_b32_e32 v17, 0x10000, v16
	v_cmp_eq_u32_sdwa vcc, v16, v2 src0_sel:WORD_0 src1_sel:DWORD
	v_cndmask_b32_e32 v18, v17, v16, vcc
; %bb.1032:                             ;   in Loop: Header=BB8_975 Depth=4
	s_or_b64 exec, exec, s[92:93]
	v_lshlrev_b32_e32 v16, 16, v19
	v_mul_f32_e32 v16, v61, v16
	v_and_b32_e32 v17, 0x7f800000, v16
	v_cmp_ne_u32_e32 vcc, s87, v17
                                        ; implicit-def: $vgpr32
	s_and_saveexec_b64 s[44:45], vcc
	s_xor_b64 s[92:93], exec, s[44:45]
; %bb.1033:                             ;   in Loop: Header=BB8_975 Depth=4
	v_bfe_u32 v17, v16, 16, 1
	v_add3_u32 v32, v16, v17, s96
                                        ; implicit-def: $vgpr16
; %bb.1034:                             ;   in Loop: Header=BB8_975 Depth=4
	s_andn2_saveexec_b64 s[92:93], s[92:93]
; %bb.1035:                             ;   in Loop: Header=BB8_975 Depth=4
	v_or_b32_e32 v17, 0x10000, v16
	v_cmp_eq_u32_sdwa vcc, v16, v2 src0_sel:WORD_0 src1_sel:DWORD
	v_cndmask_b32_e32 v32, v17, v16, vcc
; %bb.1036:                             ;   in Loop: Header=BB8_975 Depth=4
	s_or_b64 exec, exec, s[92:93]
	v_and_b32_e32 v16, 0xffff0000, v19
	v_mul_f32_e32 v16, v61, v16
	v_and_b32_e32 v17, 0x7f800000, v16
	v_cmp_ne_u32_e32 vcc, s87, v17
                                        ; implicit-def: $vgpr17
	s_and_saveexec_b64 s[44:45], vcc
	s_xor_b64 s[92:93], exec, s[44:45]
; %bb.1037:                             ;   in Loop: Header=BB8_975 Depth=4
	v_bfe_u32 v17, v16, 16, 1
	v_add3_u32 v17, v16, v17, s96
                                        ; implicit-def: $vgpr16
; %bb.1038:                             ;   in Loop: Header=BB8_975 Depth=4
	s_andn2_saveexec_b64 s[92:93], s[92:93]
; %bb.1039:                             ;   in Loop: Header=BB8_975 Depth=4
	v_or_b32_e32 v17, 0x10000, v16
	v_cmp_eq_u32_sdwa vcc, v16, v2 src0_sel:WORD_0 src1_sel:DWORD
	v_cndmask_b32_e32 v17, v17, v16, vcc
; %bb.1040:                             ;   in Loop: Header=BB8_975 Depth=4
	s_or_b64 exec, exec, s[92:93]
	v_and_b32_e32 v16, 0xffff0000, v31
	v_lshlrev_b32_e32 v19, 16, v12
	v_add_f32_e32 v19, v19, v16
	v_and_b32_e32 v16, 0x7f800000, v19
	v_cmp_ne_u32_e32 vcc, s87, v16
                                        ; implicit-def: $vgpr16
	s_and_saveexec_b64 s[44:45], vcc
	s_xor_b64 s[92:93], exec, s[44:45]
; %bb.1041:                             ;   in Loop: Header=BB8_975 Depth=4
	v_bfe_u32 v16, v19, 16, 1
	v_add3_u32 v16, v19, v16, s96
                                        ; implicit-def: $vgpr19
; %bb.1042:                             ;   in Loop: Header=BB8_975 Depth=4
	s_andn2_saveexec_b64 s[92:93], s[92:93]
; %bb.1043:                             ;   in Loop: Header=BB8_975 Depth=4
	v_or_b32_e32 v16, 0x10000, v19
	v_cmp_eq_u32_sdwa vcc, v19, v2 src0_sel:WORD_0 src1_sel:DWORD
	v_cndmask_b32_e32 v16, v16, v19, vcc
; %bb.1044:                             ;   in Loop: Header=BB8_975 Depth=4
	s_or_b64 exec, exec, s[92:93]
	v_and_b32_e32 v19, 0xffff0000, v12
	v_and_b32_e32 v31, 0xffff0000, v57
	v_add_f32_e32 v31, v19, v31
	v_and_b32_e32 v19, 0x7f800000, v31
	v_cmp_ne_u32_e32 vcc, s87, v19
                                        ; implicit-def: $vgpr19
	s_and_saveexec_b64 s[44:45], vcc
	s_xor_b64 s[92:93], exec, s[44:45]
; %bb.1045:                             ;   in Loop: Header=BB8_975 Depth=4
	v_bfe_u32 v19, v31, 16, 1
	v_add3_u32 v19, v31, v19, s96
                                        ; implicit-def: $vgpr31
; %bb.1046:                             ;   in Loop: Header=BB8_975 Depth=4
	s_andn2_saveexec_b64 s[92:93], s[92:93]
; %bb.1047:                             ;   in Loop: Header=BB8_975 Depth=4
	v_or_b32_e32 v19, 0x10000, v31
	v_cmp_eq_u32_sdwa vcc, v31, v2 src0_sel:WORD_0 src1_sel:DWORD
	v_cndmask_b32_e32 v19, v19, v31, vcc
; %bb.1048:                             ;   in Loop: Header=BB8_975 Depth=4
	s_or_b64 exec, exec, s[92:93]
	v_and_b32_e32 v30, 0xffff0000, v30
	v_lshlrev_b32_e32 v31, 16, v13
	v_add_f32_e32 v31, v31, v30
	v_and_b32_e32 v30, 0x7f800000, v31
	v_cmp_ne_u32_e32 vcc, s87, v30
                                        ; implicit-def: $vgpr30
	s_and_saveexec_b64 s[44:45], vcc
	s_xor_b64 s[92:93], exec, s[44:45]
; %bb.1049:                             ;   in Loop: Header=BB8_975 Depth=4
	v_bfe_u32 v30, v31, 16, 1
	v_add3_u32 v30, v31, v30, s96
                                        ; implicit-def: $vgpr31
; %bb.1050:                             ;   in Loop: Header=BB8_975 Depth=4
	s_andn2_saveexec_b64 s[92:93], s[92:93]
; %bb.1051:                             ;   in Loop: Header=BB8_975 Depth=4
	v_or_b32_e32 v30, 0x10000, v31
	v_cmp_eq_u32_sdwa vcc, v31, v2 src0_sel:WORD_0 src1_sel:DWORD
	v_cndmask_b32_e32 v30, v30, v31, vcc
; %bb.1052:                             ;   in Loop: Header=BB8_975 Depth=4
	s_or_b64 exec, exec, s[92:93]
	v_and_b32_e32 v31, 0xffff0000, v13
	v_and_b32_e32 v52, 0xffff0000, v59
	v_add_f32_e32 v52, v31, v52
	v_and_b32_e32 v31, 0x7f800000, v52
	v_cmp_ne_u32_e32 vcc, s87, v31
                                        ; implicit-def: $vgpr31
	s_and_saveexec_b64 s[44:45], vcc
	s_xor_b64 s[92:93], exec, s[44:45]
; %bb.1053:                             ;   in Loop: Header=BB8_975 Depth=4
	v_bfe_u32 v31, v52, 16, 1
	v_add3_u32 v31, v52, v31, s96
                                        ; implicit-def: $vgpr52
; %bb.1054:                             ;   in Loop: Header=BB8_975 Depth=4
	s_andn2_saveexec_b64 s[92:93], s[92:93]
; %bb.1055:                             ;   in Loop: Header=BB8_975 Depth=4
	v_or_b32_e32 v31, 0x10000, v52
	v_cmp_eq_u32_sdwa vcc, v52, v2 src0_sel:WORD_0 src1_sel:DWORD
	v_cndmask_b32_e32 v31, v31, v52, vcc
; %bb.1056:                             ;   in Loop: Header=BB8_975 Depth=4
	s_or_b64 exec, exec, s[92:93]
	v_and_b32_e32 v52, 0xffff0000, v60
	v_lshlrev_b32_e32 v53, 16, v14
	v_add_f32_e32 v52, v53, v52
	v_and_b32_e32 v53, 0x7f800000, v52
	v_cmp_ne_u32_e32 vcc, s87, v53
                                        ; implicit-def: $vgpr57
	s_and_saveexec_b64 s[44:45], vcc
	s_xor_b64 s[92:93], exec, s[44:45]
; %bb.1057:                             ;   in Loop: Header=BB8_975 Depth=4
	v_bfe_u32 v53, v52, 16, 1
	v_add3_u32 v57, v52, v53, s96
                                        ; implicit-def: $vgpr52
; %bb.1058:                             ;   in Loop: Header=BB8_975 Depth=4
	s_andn2_saveexec_b64 s[92:93], s[92:93]
; %bb.1059:                             ;   in Loop: Header=BB8_975 Depth=4
	v_or_b32_e32 v53, 0x10000, v52
	v_cmp_eq_u32_sdwa vcc, v52, v2 src0_sel:WORD_0 src1_sel:DWORD
	v_cndmask_b32_e32 v57, v53, v52, vcc
; %bb.1060:                             ;   in Loop: Header=BB8_975 Depth=4
	s_or_b64 exec, exec, s[92:93]
	v_and_b32_e32 v52, 0xffff0000, v14
	v_and_b32_e32 v53, 0xffff0000, v45
	v_add_f32_e32 v52, v52, v53
	v_and_b32_e32 v53, 0x7f800000, v52
	v_cmp_ne_u32_e32 vcc, s87, v53
                                        ; implicit-def: $vgpr45
	s_and_saveexec_b64 s[44:45], vcc
	s_xor_b64 s[92:93], exec, s[44:45]
; %bb.1061:                             ;   in Loop: Header=BB8_975 Depth=4
	v_bfe_u32 v53, v52, 16, 1
	v_add3_u32 v45, v52, v53, s96
                                        ; implicit-def: $vgpr52
; %bb.1062:                             ;   in Loop: Header=BB8_975 Depth=4
	s_andn2_saveexec_b64 s[92:93], s[92:93]
; %bb.1063:                             ;   in Loop: Header=BB8_975 Depth=4
	v_or_b32_e32 v53, 0x10000, v52
	v_cmp_eq_u32_sdwa vcc, v52, v2 src0_sel:WORD_0 src1_sel:DWORD
	v_cndmask_b32_e32 v45, v53, v52, vcc
; %bb.1064:                             ;   in Loop: Header=BB8_975 Depth=4
	s_or_b64 exec, exec, s[92:93]
	v_and_b32_e32 v5, 0xffff0000, v5
	v_lshlrev_b32_e32 v52, 16, v15
	v_add_f32_e32 v52, v52, v5
	v_and_b32_e32 v5, 0x7f800000, v52
	v_cmp_ne_u32_e32 vcc, s87, v5
                                        ; implicit-def: $vgpr5
	s_and_saveexec_b64 s[44:45], vcc
	s_xor_b64 s[92:93], exec, s[44:45]
; %bb.1065:                             ;   in Loop: Header=BB8_975 Depth=4
	v_bfe_u32 v5, v52, 16, 1
	v_add3_u32 v5, v52, v5, s96
                                        ; implicit-def: $vgpr52
; %bb.1066:                             ;   in Loop: Header=BB8_975 Depth=4
	s_andn2_saveexec_b64 s[92:93], s[92:93]
; %bb.1067:                             ;   in Loop: Header=BB8_975 Depth=4
	v_or_b32_e32 v5, 0x10000, v52
	v_cmp_eq_u32_sdwa vcc, v52, v2 src0_sel:WORD_0 src1_sel:DWORD
	v_cndmask_b32_e32 v5, v5, v52, vcc
; %bb.1068:                             ;   in Loop: Header=BB8_975 Depth=4
	s_or_b64 exec, exec, s[92:93]
	v_and_b32_e32 v52, 0xffff0000, v15
	v_and_b32_e32 v3, 0xffff0000, v3
	v_add_f32_e32 v52, v52, v3
	v_and_b32_e32 v3, 0x7f800000, v52
	v_cmp_ne_u32_e32 vcc, s87, v3
                                        ; implicit-def: $vgpr3
	s_and_saveexec_b64 s[44:45], vcc
	s_xor_b64 s[92:93], exec, s[44:45]
; %bb.1069:                             ;   in Loop: Header=BB8_975 Depth=4
	v_bfe_u32 v3, v52, 16, 1
	v_add3_u32 v3, v52, v3, s96
                                        ; implicit-def: $vgpr52
; %bb.1070:                             ;   in Loop: Header=BB8_975 Depth=4
	s_andn2_saveexec_b64 s[92:93], s[92:93]
; %bb.1071:                             ;   in Loop: Header=BB8_975 Depth=4
	v_or_b32_e32 v3, 0x10000, v52
	v_cmp_eq_u32_sdwa vcc, v52, v2 src0_sel:WORD_0 src1_sel:DWORD
	v_cndmask_b32_e32 v3, v3, v52, vcc
; %bb.1072:                             ;   in Loop: Header=BB8_975 Depth=4
	s_or_b64 exec, exec, s[92:93]
	v_and_b32_e32 v52, 0xffff0000, v44
	v_lshlrev_b32_e32 v53, 16, v8
	v_add_f32_e32 v52, v53, v52
	v_and_b32_e32 v53, 0x7f800000, v52
	v_cmp_ne_u32_e32 vcc, s87, v53
                                        ; implicit-def: $vgpr44
	s_and_saveexec_b64 s[44:45], vcc
	s_xor_b64 s[92:93], exec, s[44:45]
; %bb.1073:                             ;   in Loop: Header=BB8_975 Depth=4
	v_bfe_u32 v53, v52, 16, 1
	v_add3_u32 v44, v52, v53, s96
                                        ; implicit-def: $vgpr52
; %bb.1074:                             ;   in Loop: Header=BB8_975 Depth=4
	s_andn2_saveexec_b64 s[92:93], s[92:93]
; %bb.1075:                             ;   in Loop: Header=BB8_975 Depth=4
	v_or_b32_e32 v53, 0x10000, v52
	v_cmp_eq_u32_sdwa vcc, v52, v2 src0_sel:WORD_0 src1_sel:DWORD
	v_cndmask_b32_e32 v44, v53, v52, vcc
; %bb.1076:                             ;   in Loop: Header=BB8_975 Depth=4
	s_or_b64 exec, exec, s[92:93]
	v_and_b32_e32 v52, 0xffff0000, v8
	v_and_b32_e32 v35, 0xffff0000, v35
	v_add_f32_e32 v35, v52, v35
	v_and_b32_e32 v52, 0x7f800000, v35
	v_cmp_ne_u32_e32 vcc, s87, v52
                                        ; implicit-def: $vgpr59
	s_and_saveexec_b64 s[44:45], vcc
	s_xor_b64 s[92:93], exec, s[44:45]
; %bb.1077:                             ;   in Loop: Header=BB8_975 Depth=4
	v_bfe_u32 v52, v35, 16, 1
	v_add3_u32 v59, v35, v52, s96
                                        ; implicit-def: $vgpr35
; %bb.1078:                             ;   in Loop: Header=BB8_975 Depth=4
	s_andn2_saveexec_b64 s[92:93], s[92:93]
; %bb.1079:                             ;   in Loop: Header=BB8_975 Depth=4
	v_or_b32_e32 v52, 0x10000, v35
	v_cmp_eq_u32_sdwa vcc, v35, v2 src0_sel:WORD_0 src1_sel:DWORD
	v_cndmask_b32_e32 v59, v52, v35, vcc
; %bb.1080:                             ;   in Loop: Header=BB8_975 Depth=4
	s_or_b64 exec, exec, s[92:93]
	v_and_b32_e32 v4, 0xffff0000, v4
	v_lshlrev_b32_e32 v35, 16, v9
	v_add_f32_e32 v35, v35, v4
	v_and_b32_e32 v4, 0x7f800000, v35
	v_cmp_ne_u32_e32 vcc, s87, v4
                                        ; implicit-def: $vgpr4
	s_and_saveexec_b64 s[44:45], vcc
	s_xor_b64 s[92:93], exec, s[44:45]
; %bb.1081:                             ;   in Loop: Header=BB8_975 Depth=4
	v_bfe_u32 v4, v35, 16, 1
	v_add3_u32 v4, v35, v4, s96
                                        ; implicit-def: $vgpr35
; %bb.1082:                             ;   in Loop: Header=BB8_975 Depth=4
	s_andn2_saveexec_b64 s[92:93], s[92:93]
; %bb.1083:                             ;   in Loop: Header=BB8_975 Depth=4
	v_or_b32_e32 v4, 0x10000, v35
	v_cmp_eq_u32_sdwa vcc, v35, v2 src0_sel:WORD_0 src1_sel:DWORD
	v_cndmask_b32_e32 v4, v4, v35, vcc
; %bb.1084:                             ;   in Loop: Header=BB8_975 Depth=4
	s_or_b64 exec, exec, s[92:93]
	v_and_b32_e32 v35, 0xffff0000, v9
	v_and_b32_e32 v33, 0xffff0000, v33
	v_add_f32_e32 v33, v35, v33
	v_and_b32_e32 v35, 0x7f800000, v33
	v_cmp_ne_u32_e32 vcc, s87, v35
                                        ; implicit-def: $vgpr60
	s_and_saveexec_b64 s[44:45], vcc
	s_xor_b64 s[92:93], exec, s[44:45]
; %bb.1085:                             ;   in Loop: Header=BB8_975 Depth=4
	v_bfe_u32 v35, v33, 16, 1
	v_add3_u32 v60, v33, v35, s96
                                        ; implicit-def: $vgpr33
; %bb.1086:                             ;   in Loop: Header=BB8_975 Depth=4
	s_andn2_saveexec_b64 s[92:93], s[92:93]
; %bb.1087:                             ;   in Loop: Header=BB8_975 Depth=4
	v_or_b32_e32 v35, 0x10000, v33
	v_cmp_eq_u32_sdwa vcc, v33, v2 src0_sel:WORD_0 src1_sel:DWORD
	v_cndmask_b32_e32 v60, v35, v33, vcc
; %bb.1088:                             ;   in Loop: Header=BB8_975 Depth=4
	s_or_b64 exec, exec, s[92:93]
	v_and_b32_e32 v33, 0xffff0000, v34
	v_lshlrev_b32_e32 v34, 16, v10
	v_add_f32_e32 v33, v34, v33
	v_and_b32_e32 v34, 0x7f800000, v33
	v_cmp_ne_u32_e32 vcc, s87, v34
                                        ; implicit-def: $vgpr52
	s_and_saveexec_b64 s[44:45], vcc
	s_xor_b64 s[92:93], exec, s[44:45]
; %bb.1089:                             ;   in Loop: Header=BB8_975 Depth=4
	v_bfe_u32 v34, v33, 16, 1
	v_add3_u32 v52, v33, v34, s96
                                        ; implicit-def: $vgpr33
; %bb.1090:                             ;   in Loop: Header=BB8_975 Depth=4
	s_andn2_saveexec_b64 s[92:93], s[92:93]
; %bb.1091:                             ;   in Loop: Header=BB8_975 Depth=4
	v_or_b32_e32 v34, 0x10000, v33
	v_cmp_eq_u32_sdwa vcc, v33, v2 src0_sel:WORD_0 src1_sel:DWORD
	v_cndmask_b32_e32 v52, v34, v33, vcc
; %bb.1092:                             ;   in Loop: Header=BB8_975 Depth=4
	s_or_b64 exec, exec, s[92:93]
	v_and_b32_e32 v33, 0xffff0000, v10
	v_and_b32_e32 v18, 0xffff0000, v18
	v_add_f32_e32 v33, v33, v18
	v_and_b32_e32 v18, 0x7f800000, v33
	v_cmp_ne_u32_e32 vcc, s87, v18
                                        ; implicit-def: $vgpr18
	s_and_saveexec_b64 s[44:45], vcc
	s_xor_b64 s[92:93], exec, s[44:45]
; %bb.1093:                             ;   in Loop: Header=BB8_975 Depth=4
	v_bfe_u32 v18, v33, 16, 1
	v_add3_u32 v18, v33, v18, s96
                                        ; implicit-def: $vgpr33
; %bb.1094:                             ;   in Loop: Header=BB8_975 Depth=4
	s_andn2_saveexec_b64 s[92:93], s[92:93]
; %bb.1095:                             ;   in Loop: Header=BB8_975 Depth=4
	v_or_b32_e32 v18, 0x10000, v33
	v_cmp_eq_u32_sdwa vcc, v33, v2 src0_sel:WORD_0 src1_sel:DWORD
	v_cndmask_b32_e32 v18, v18, v33, vcc
; %bb.1096:                             ;   in Loop: Header=BB8_975 Depth=4
	s_or_b64 exec, exec, s[92:93]
	v_and_b32_e32 v32, 0xffff0000, v32
	v_lshlrev_b32_e32 v33, 16, v11
	v_add_f32_e32 v32, v33, v32
	v_and_b32_e32 v33, 0x7f800000, v32
	v_cmp_ne_u32_e32 vcc, s87, v33
                                        ; implicit-def: $vgpr53
	s_and_saveexec_b64 s[44:45], vcc
	s_xor_b64 s[92:93], exec, s[44:45]
; %bb.1097:                             ;   in Loop: Header=BB8_975 Depth=4
	v_bfe_u32 v33, v32, 16, 1
	v_add3_u32 v53, v32, v33, s96
                                        ; implicit-def: $vgpr32
; %bb.1098:                             ;   in Loop: Header=BB8_975 Depth=4
	s_andn2_saveexec_b64 s[92:93], s[92:93]
; %bb.1099:                             ;   in Loop: Header=BB8_975 Depth=4
	v_or_b32_e32 v33, 0x10000, v32
	v_cmp_eq_u32_sdwa vcc, v32, v2 src0_sel:WORD_0 src1_sel:DWORD
	v_cndmask_b32_e32 v53, v33, v32, vcc
; %bb.1100:                             ;   in Loop: Header=BB8_975 Depth=4
	s_or_b64 exec, exec, s[92:93]
	v_and_b32_e32 v32, 0xffff0000, v11
	v_and_b32_e32 v17, 0xffff0000, v17
	v_add_f32_e32 v17, v32, v17
	v_and_b32_e32 v32, 0x7f800000, v17
	v_cmp_ne_u32_e32 vcc, s87, v32
                                        ; implicit-def: $vgpr56
	s_and_saveexec_b64 s[44:45], vcc
	s_xor_b64 s[92:93], exec, s[44:45]
; %bb.1101:                             ;   in Loop: Header=BB8_975 Depth=4
	v_bfe_u32 v32, v17, 16, 1
	v_add3_u32 v56, v17, v32, s96
                                        ; implicit-def: $vgpr17
; %bb.1102:                             ;   in Loop: Header=BB8_975 Depth=4
	s_andn2_saveexec_b64 s[92:93], s[92:93]
; %bb.1103:                             ;   in Loop: Header=BB8_975 Depth=4
	v_or_b32_e32 v32, 0x10000, v17
	v_cmp_eq_u32_sdwa vcc, v17, v2 src0_sel:WORD_0 src1_sel:DWORD
	v_cndmask_b32_e32 v56, v32, v17, vcc
; %bb.1104:                             ;   in Loop: Header=BB8_975 Depth=4
	s_or_b64 exec, exec, s[92:93]
	v_lshrrev_b32_e32 v5, 16, v5
	v_lshrrev_b32_e32 v17, 16, v30
	;; [unrolled: 1-line block ×3, first 2 shown]
	v_and_or_b32 v35, v3, s97, v5
	v_lshrrev_b32_e32 v3, 16, v4
	v_and_or_b32 v33, v31, s97, v17
	v_and_or_b32 v32, v19, s97, v16
	v_lshrrev_b32_e32 v16, 16, v57
	v_and_or_b32 v17, v60, s97, v3
	v_lshrrev_b32_e32 v3, 16, v44
	v_and_or_b32 v34, v45, s97, v16
	v_and_or_b32 v16, v59, s97, v3
	v_lshrrev_b32_e32 v3, 16, v52
	v_and_or_b32 v18, v18, s97, v3
	v_lshrrev_b32_e32 v3, 16, v53
	v_and_or_b32 v19, v56, s97, v3
	global_store_dwordx4 v[6:7], v[32:35], off glc slc
	global_store_dwordx4 v[6:7], v[16:19], off offset:1024 glc slc
	buffer_load_dword v3, off, s[0:3], s33 offset:152 ; 4-byte Folded Reload
	s_waitcnt vmcnt(0)
	v_add_co_u32_e32 v6, vcc, v6, v3
	buffer_load_dword v3, off, s[0:3], s33 offset:156 ; 4-byte Folded Reload
	s_waitcnt vmcnt(0)
	v_addc_co_u32_e32 v7, vcc, v7, v3, vcc
.LBB8_1105:                             ;   in Loop: Header=BB8_975 Depth=4
	s_or_b64 exec, exec, s[94:95]
	buffer_load_dword v3, off, s[0:3], s33 offset:152 ; 4-byte Folded Reload
	buffer_load_dword v4, off, s[0:3], s33 offset:156 ; 4-byte Folded Reload
	s_waitcnt vmcnt(1)
	v_add_co_u32_e32 v42, vcc, v42, v3
	s_waitcnt vmcnt(0)
	v_addc_co_u32_e32 v43, vcc, v43, v4, vcc
	v_add_co_u32_e32 v28, vcc, v28, v3
	buffer_load_dword v3, off, s[0:3], s33 offset:128 ; 4-byte Folded Reload
	v_addc_co_u32_e32 v29, vcc, v29, v4, vcc
	s_waitcnt vmcnt(0)
	v_sub_u32_e32 v1, v1, v3
	v_cmp_lt_i32_e64 s[92:93], 0, v1
	s_and_saveexec_b64 s[94:95], s[92:93]
	s_cbranch_execz .LBB8_1107
; %bb.1106:                             ;   in Loop: Header=BB8_975 Depth=4
	global_load_dwordx4 v[32:35], v[42:43], off glc slc
	global_load_dwordx4 v[16:19], v[42:43], off offset:1024 glc slc
	global_load_dwordx4 v[12:15], v[28:29], off glc slc
	global_load_dwordx4 v[8:11], v[28:29], off offset:1024 glc slc
	v_add_co_u32_e32 v42, vcc, 0x800, v42
	v_addc_co_u32_e32 v43, vcc, 0, v43, vcc
	v_add_co_u32_e32 v28, vcc, 0x800, v28
	v_addc_co_u32_e32 v29, vcc, 0, v29, vcc
.LBB8_1107:                             ;   in Loop: Header=BB8_975 Depth=4
	s_or_b64 exec, exec, s[94:95]
	v_lshlrev_b32_e32 v3, 16, v48
	v_mul_f32_e32 v3, v61, v3
	v_and_b32_e32 v4, 0x7f800000, v3
	v_cmp_ne_u32_e32 vcc, s87, v4
                                        ; implicit-def: $vgpr57
	s_and_saveexec_b64 s[44:45], vcc
	s_xor_b64 s[94:95], exec, s[44:45]
; %bb.1108:                             ;   in Loop: Header=BB8_975 Depth=4
	v_bfe_u32 v4, v3, 16, 1
	v_add3_u32 v57, v3, v4, s96
                                        ; implicit-def: $vgpr3
; %bb.1109:                             ;   in Loop: Header=BB8_975 Depth=4
	s_andn2_saveexec_b64 s[94:95], s[94:95]
; %bb.1110:                             ;   in Loop: Header=BB8_975 Depth=4
	v_or_b32_e32 v4, 0x10000, v3
	v_cmp_eq_u32_sdwa vcc, v3, v2 src0_sel:WORD_0 src1_sel:DWORD
	v_cndmask_b32_e32 v57, v4, v3, vcc
; %bb.1111:                             ;   in Loop: Header=BB8_975 Depth=4
	s_or_b64 exec, exec, s[94:95]
	v_and_b32_e32 v3, 0xffff0000, v48
	v_mul_f32_e32 v3, v61, v3
	v_and_b32_e32 v4, 0x7f800000, v3
	v_cmp_ne_u32_e32 vcc, s87, v4
                                        ; implicit-def: $vgpr30
	s_and_saveexec_b64 s[44:45], vcc
	s_xor_b64 s[94:95], exec, s[44:45]
; %bb.1112:                             ;   in Loop: Header=BB8_975 Depth=4
	v_bfe_u32 v4, v3, 16, 1
	v_add3_u32 v30, v3, v4, s96
                                        ; implicit-def: $vgpr3
; %bb.1113:                             ;   in Loop: Header=BB8_975 Depth=4
	s_andn2_saveexec_b64 s[94:95], s[94:95]
; %bb.1114:                             ;   in Loop: Header=BB8_975 Depth=4
	v_or_b32_e32 v4, 0x10000, v3
	v_cmp_eq_u32_sdwa vcc, v3, v2 src0_sel:WORD_0 src1_sel:DWORD
	v_cndmask_b32_e32 v30, v4, v3, vcc
; %bb.1115:                             ;   in Loop: Header=BB8_975 Depth=4
	s_or_b64 exec, exec, s[94:95]
	v_lshlrev_b32_e32 v3, 16, v49
	v_mul_f32_e32 v3, v61, v3
	v_and_b32_e32 v4, 0x7f800000, v3
	v_cmp_ne_u32_e32 vcc, s87, v4
                                        ; implicit-def: $vgpr31
	s_and_saveexec_b64 s[44:45], vcc
	s_xor_b64 s[94:95], exec, s[44:45]
; %bb.1116:                             ;   in Loop: Header=BB8_975 Depth=4
	v_bfe_u32 v4, v3, 16, 1
	v_add3_u32 v31, v3, v4, s96
                                        ; implicit-def: $vgpr3
; %bb.1117:                             ;   in Loop: Header=BB8_975 Depth=4
	s_andn2_saveexec_b64 s[94:95], s[94:95]
; %bb.1118:                             ;   in Loop: Header=BB8_975 Depth=4
	v_or_b32_e32 v4, 0x10000, v3
	v_cmp_eq_u32_sdwa vcc, v3, v2 src0_sel:WORD_0 src1_sel:DWORD
	v_cndmask_b32_e32 v31, v4, v3, vcc
; %bb.1119:                             ;   in Loop: Header=BB8_975 Depth=4
	s_or_b64 exec, exec, s[94:95]
	v_and_b32_e32 v3, 0xffff0000, v49
	v_mul_f32_e32 v3, v61, v3
	v_and_b32_e32 v4, 0x7f800000, v3
	v_cmp_ne_u32_e32 vcc, s87, v4
                                        ; implicit-def: $vgpr59
	s_and_saveexec_b64 s[44:45], vcc
	s_xor_b64 s[94:95], exec, s[44:45]
; %bb.1120:                             ;   in Loop: Header=BB8_975 Depth=4
	v_bfe_u32 v4, v3, 16, 1
	v_add3_u32 v59, v3, v4, s96
                                        ; implicit-def: $vgpr3
; %bb.1121:                             ;   in Loop: Header=BB8_975 Depth=4
	s_andn2_saveexec_b64 s[94:95], s[94:95]
; %bb.1122:                             ;   in Loop: Header=BB8_975 Depth=4
	v_or_b32_e32 v4, 0x10000, v3
	v_cmp_eq_u32_sdwa vcc, v3, v2 src0_sel:WORD_0 src1_sel:DWORD
	v_cndmask_b32_e32 v59, v4, v3, vcc
; %bb.1123:                             ;   in Loop: Header=BB8_975 Depth=4
	s_or_b64 exec, exec, s[94:95]
	v_lshlrev_b32_e32 v3, 16, v50
	v_mul_f32_e32 v3, v61, v3
	v_and_b32_e32 v4, 0x7f800000, v3
	v_cmp_ne_u32_e32 vcc, s87, v4
                                        ; implicit-def: $vgpr60
	s_and_saveexec_b64 s[44:45], vcc
	s_xor_b64 s[94:95], exec, s[44:45]
; %bb.1124:                             ;   in Loop: Header=BB8_975 Depth=4
	v_bfe_u32 v4, v3, 16, 1
	v_add3_u32 v60, v3, v4, s96
                                        ; implicit-def: $vgpr3
; %bb.1125:                             ;   in Loop: Header=BB8_975 Depth=4
	s_andn2_saveexec_b64 s[94:95], s[94:95]
; %bb.1126:                             ;   in Loop: Header=BB8_975 Depth=4
	v_or_b32_e32 v4, 0x10000, v3
	v_cmp_eq_u32_sdwa vcc, v3, v2 src0_sel:WORD_0 src1_sel:DWORD
	v_cndmask_b32_e32 v60, v4, v3, vcc
; %bb.1127:                             ;   in Loop: Header=BB8_975 Depth=4
	s_or_b64 exec, exec, s[94:95]
	v_and_b32_e32 v3, 0xffff0000, v50
	v_mul_f32_e32 v3, v61, v3
	v_and_b32_e32 v4, 0x7f800000, v3
	v_cmp_ne_u32_e32 vcc, s87, v4
                                        ; implicit-def: $vgpr5
	s_and_saveexec_b64 s[44:45], vcc
	s_xor_b64 s[94:95], exec, s[44:45]
; %bb.1128:                             ;   in Loop: Header=BB8_975 Depth=4
	v_bfe_u32 v4, v3, 16, 1
	v_add3_u32 v5, v3, v4, s96
                                        ; implicit-def: $vgpr3
; %bb.1129:                             ;   in Loop: Header=BB8_975 Depth=4
	s_andn2_saveexec_b64 s[94:95], s[94:95]
; %bb.1130:                             ;   in Loop: Header=BB8_975 Depth=4
	v_or_b32_e32 v4, 0x10000, v3
	v_cmp_eq_u32_sdwa vcc, v3, v2 src0_sel:WORD_0 src1_sel:DWORD
	v_cndmask_b32_e32 v5, v4, v3, vcc
; %bb.1131:                             ;   in Loop: Header=BB8_975 Depth=4
	s_or_b64 exec, exec, s[94:95]
	v_lshlrev_b32_e32 v3, 16, v51
	v_mul_f32_e32 v3, v61, v3
	v_and_b32_e32 v4, 0x7f800000, v3
	v_cmp_ne_u32_e32 vcc, s87, v4
                                        ; implicit-def: $vgpr45
	s_and_saveexec_b64 s[44:45], vcc
	s_xor_b64 s[94:95], exec, s[44:45]
; %bb.1132:                             ;   in Loop: Header=BB8_975 Depth=4
	v_bfe_u32 v4, v3, 16, 1
	v_add3_u32 v45, v3, v4, s96
                                        ; implicit-def: $vgpr3
; %bb.1133:                             ;   in Loop: Header=BB8_975 Depth=4
	s_andn2_saveexec_b64 s[94:95], s[94:95]
; %bb.1134:                             ;   in Loop: Header=BB8_975 Depth=4
	v_or_b32_e32 v4, 0x10000, v3
	v_cmp_eq_u32_sdwa vcc, v3, v2 src0_sel:WORD_0 src1_sel:DWORD
	v_cndmask_b32_e32 v45, v4, v3, vcc
; %bb.1135:                             ;   in Loop: Header=BB8_975 Depth=4
	s_or_b64 exec, exec, s[94:95]
	v_and_b32_e32 v3, 0xffff0000, v51
	v_mul_f32_e32 v4, v61, v3
	v_and_b32_e32 v3, 0x7f800000, v4
	v_cmp_ne_u32_e32 vcc, s87, v3
                                        ; implicit-def: $vgpr3
	s_and_saveexec_b64 s[44:45], vcc
	s_xor_b64 s[94:95], exec, s[44:45]
; %bb.1136:                             ;   in Loop: Header=BB8_975 Depth=4
	v_bfe_u32 v3, v4, 16, 1
	v_add3_u32 v3, v4, v3, s96
                                        ; implicit-def: $vgpr4
; %bb.1137:                             ;   in Loop: Header=BB8_975 Depth=4
	s_andn2_saveexec_b64 s[94:95], s[94:95]
; %bb.1138:                             ;   in Loop: Header=BB8_975 Depth=4
	v_or_b32_e32 v3, 0x10000, v4
	v_cmp_eq_u32_sdwa vcc, v4, v2 src0_sel:WORD_0 src1_sel:DWORD
	v_cndmask_b32_e32 v3, v3, v4, vcc
; %bb.1139:                             ;   in Loop: Header=BB8_975 Depth=4
	s_or_b64 exec, exec, s[94:95]
	v_lshlrev_b32_e32 v4, 16, v36
	v_mul_f32_e32 v4, v61, v4
	v_and_b32_e32 v48, 0x7f800000, v4
	v_cmp_ne_u32_e32 vcc, s87, v48
                                        ; implicit-def: $vgpr44
	s_and_saveexec_b64 s[44:45], vcc
	s_xor_b64 s[94:95], exec, s[44:45]
; %bb.1140:                             ;   in Loop: Header=BB8_975 Depth=4
	v_bfe_u32 v48, v4, 16, 1
	v_add3_u32 v44, v4, v48, s96
                                        ; implicit-def: $vgpr4
; %bb.1141:                             ;   in Loop: Header=BB8_975 Depth=4
	s_andn2_saveexec_b64 s[94:95], s[94:95]
; %bb.1142:                             ;   in Loop: Header=BB8_975 Depth=4
	v_or_b32_e32 v48, 0x10000, v4
	v_cmp_eq_u32_sdwa vcc, v4, v2 src0_sel:WORD_0 src1_sel:DWORD
	v_cndmask_b32_e32 v44, v48, v4, vcc
; %bb.1143:                             ;   in Loop: Header=BB8_975 Depth=4
	s_or_b64 exec, exec, s[94:95]
	v_and_b32_e32 v4, 0xffff0000, v36
	v_mul_f32_e32 v36, v61, v4
	v_and_b32_e32 v4, 0x7f800000, v36
	v_cmp_ne_u32_e32 vcc, s87, v4
                                        ; implicit-def: $vgpr4
	s_and_saveexec_b64 s[44:45], vcc
	s_xor_b64 s[94:95], exec, s[44:45]
; %bb.1144:                             ;   in Loop: Header=BB8_975 Depth=4
	v_bfe_u32 v4, v36, 16, 1
	v_add3_u32 v4, v36, v4, s96
                                        ; implicit-def: $vgpr36
; %bb.1145:                             ;   in Loop: Header=BB8_975 Depth=4
	s_andn2_saveexec_b64 s[94:95], s[94:95]
; %bb.1146:                             ;   in Loop: Header=BB8_975 Depth=4
	v_or_b32_e32 v4, 0x10000, v36
	v_cmp_eq_u32_sdwa vcc, v36, v2 src0_sel:WORD_0 src1_sel:DWORD
	v_cndmask_b32_e32 v4, v4, v36, vcc
; %bb.1147:                             ;   in Loop: Header=BB8_975 Depth=4
	s_or_b64 exec, exec, s[94:95]
	v_lshlrev_b32_e32 v36, 16, v37
	v_mul_f32_e32 v36, v61, v36
	v_and_b32_e32 v48, 0x7f800000, v36
	v_cmp_ne_u32_e32 vcc, s87, v48
                                        ; implicit-def: $vgpr51
	s_and_saveexec_b64 s[44:45], vcc
	s_xor_b64 s[94:95], exec, s[44:45]
; %bb.1148:                             ;   in Loop: Header=BB8_975 Depth=4
	v_bfe_u32 v48, v36, 16, 1
	v_add3_u32 v51, v36, v48, s96
                                        ; implicit-def: $vgpr36
; %bb.1149:                             ;   in Loop: Header=BB8_975 Depth=4
	s_andn2_saveexec_b64 s[94:95], s[94:95]
; %bb.1150:                             ;   in Loop: Header=BB8_975 Depth=4
	v_or_b32_e32 v48, 0x10000, v36
	v_cmp_eq_u32_sdwa vcc, v36, v2 src0_sel:WORD_0 src1_sel:DWORD
	v_cndmask_b32_e32 v51, v48, v36, vcc
; %bb.1151:                             ;   in Loop: Header=BB8_975 Depth=4
	s_or_b64 exec, exec, s[94:95]
	v_and_b32_e32 v36, 0xffff0000, v37
	v_mul_f32_e32 v36, v61, v36
	v_and_b32_e32 v37, 0x7f800000, v36
	v_cmp_ne_u32_e32 vcc, s87, v37
                                        ; implicit-def: $vgpr49
	s_and_saveexec_b64 s[44:45], vcc
	s_xor_b64 s[94:95], exec, s[44:45]
; %bb.1152:                             ;   in Loop: Header=BB8_975 Depth=4
	v_bfe_u32 v37, v36, 16, 1
	v_add3_u32 v49, v36, v37, s96
                                        ; implicit-def: $vgpr36
; %bb.1153:                             ;   in Loop: Header=BB8_975 Depth=4
	s_andn2_saveexec_b64 s[94:95], s[94:95]
; %bb.1154:                             ;   in Loop: Header=BB8_975 Depth=4
	v_or_b32_e32 v37, 0x10000, v36
	v_cmp_eq_u32_sdwa vcc, v36, v2 src0_sel:WORD_0 src1_sel:DWORD
	v_cndmask_b32_e32 v49, v37, v36, vcc
; %bb.1155:                             ;   in Loop: Header=BB8_975 Depth=4
	s_or_b64 exec, exec, s[94:95]
	v_lshlrev_b32_e32 v36, 16, v38
	v_mul_f32_e32 v36, v61, v36
	v_and_b32_e32 v37, 0x7f800000, v36
	v_cmp_ne_u32_e32 vcc, s87, v37
                                        ; implicit-def: $vgpr50
	s_and_saveexec_b64 s[44:45], vcc
	s_xor_b64 s[94:95], exec, s[44:45]
; %bb.1156:                             ;   in Loop: Header=BB8_975 Depth=4
	v_bfe_u32 v37, v36, 16, 1
	v_add3_u32 v50, v36, v37, s96
                                        ; implicit-def: $vgpr36
; %bb.1157:                             ;   in Loop: Header=BB8_975 Depth=4
	s_andn2_saveexec_b64 s[94:95], s[94:95]
; %bb.1158:                             ;   in Loop: Header=BB8_975 Depth=4
	v_or_b32_e32 v37, 0x10000, v36
	v_cmp_eq_u32_sdwa vcc, v36, v2 src0_sel:WORD_0 src1_sel:DWORD
	v_cndmask_b32_e32 v50, v37, v36, vcc
; %bb.1159:                             ;   in Loop: Header=BB8_975 Depth=4
	s_or_b64 exec, exec, s[94:95]
	v_and_b32_e32 v36, 0xffff0000, v38
	v_mul_f32_e32 v36, v61, v36
	v_and_b32_e32 v37, 0x7f800000, v36
	v_cmp_ne_u32_e32 vcc, s87, v37
                                        ; implicit-def: $vgpr38
	s_and_saveexec_b64 s[44:45], vcc
	s_xor_b64 s[94:95], exec, s[44:45]
; %bb.1160:                             ;   in Loop: Header=BB8_975 Depth=4
	v_bfe_u32 v37, v36, 16, 1
	v_add3_u32 v38, v36, v37, s96
                                        ; implicit-def: $vgpr36
; %bb.1161:                             ;   in Loop: Header=BB8_975 Depth=4
	s_andn2_saveexec_b64 s[94:95], s[94:95]
; %bb.1162:                             ;   in Loop: Header=BB8_975 Depth=4
	v_or_b32_e32 v37, 0x10000, v36
	v_cmp_eq_u32_sdwa vcc, v36, v2 src0_sel:WORD_0 src1_sel:DWORD
	v_cndmask_b32_e32 v38, v37, v36, vcc
; %bb.1163:                             ;   in Loop: Header=BB8_975 Depth=4
	s_or_b64 exec, exec, s[94:95]
	v_lshlrev_b32_e32 v36, 16, v39
	v_mul_f32_e32 v36, v61, v36
	v_and_b32_e32 v37, 0x7f800000, v36
	v_cmp_ne_u32_e32 vcc, s87, v37
                                        ; implicit-def: $vgpr48
	s_and_saveexec_b64 s[44:45], vcc
	s_xor_b64 s[94:95], exec, s[44:45]
; %bb.1164:                             ;   in Loop: Header=BB8_975 Depth=4
	v_bfe_u32 v37, v36, 16, 1
	v_add3_u32 v48, v36, v37, s96
                                        ; implicit-def: $vgpr36
; %bb.1165:                             ;   in Loop: Header=BB8_975 Depth=4
	s_andn2_saveexec_b64 s[94:95], s[94:95]
; %bb.1166:                             ;   in Loop: Header=BB8_975 Depth=4
	v_or_b32_e32 v37, 0x10000, v36
	v_cmp_eq_u32_sdwa vcc, v36, v2 src0_sel:WORD_0 src1_sel:DWORD
	v_cndmask_b32_e32 v48, v37, v36, vcc
; %bb.1167:                             ;   in Loop: Header=BB8_975 Depth=4
	s_or_b64 exec, exec, s[94:95]
	v_and_b32_e32 v36, 0xffff0000, v39
	v_mul_f32_e32 v36, v61, v36
	v_and_b32_e32 v37, 0x7f800000, v36
	v_cmp_ne_u32_e32 vcc, s87, v37
                                        ; implicit-def: $vgpr37
	s_and_saveexec_b64 s[44:45], vcc
	s_xor_b64 s[94:95], exec, s[44:45]
; %bb.1168:                             ;   in Loop: Header=BB8_975 Depth=4
	v_bfe_u32 v37, v36, 16, 1
	v_add3_u32 v37, v36, v37, s96
                                        ; implicit-def: $vgpr36
; %bb.1169:                             ;   in Loop: Header=BB8_975 Depth=4
	s_andn2_saveexec_b64 s[94:95], s[94:95]
; %bb.1170:                             ;   in Loop: Header=BB8_975 Depth=4
	v_or_b32_e32 v37, 0x10000, v36
	v_cmp_eq_u32_sdwa vcc, v36, v2 src0_sel:WORD_0 src1_sel:DWORD
	v_cndmask_b32_e32 v37, v37, v36, vcc
; %bb.1171:                             ;   in Loop: Header=BB8_975 Depth=4
	s_or_b64 exec, exec, s[94:95]
	v_and_b32_e32 v36, 0xffff0000, v57
	v_lshlrev_b32_e32 v39, 16, v24
	v_add_f32_e32 v39, v39, v36
	v_and_b32_e32 v36, 0x7f800000, v39
	v_cmp_ne_u32_e32 vcc, s87, v36
                                        ; implicit-def: $vgpr36
	s_and_saveexec_b64 s[44:45], vcc
	s_xor_b64 s[94:95], exec, s[44:45]
; %bb.1172:                             ;   in Loop: Header=BB8_975 Depth=4
	v_bfe_u32 v36, v39, 16, 1
	v_add3_u32 v36, v39, v36, s96
                                        ; implicit-def: $vgpr39
; %bb.1173:                             ;   in Loop: Header=BB8_975 Depth=4
	s_andn2_saveexec_b64 s[94:95], s[94:95]
; %bb.1174:                             ;   in Loop: Header=BB8_975 Depth=4
	v_or_b32_e32 v36, 0x10000, v39
	v_cmp_eq_u32_sdwa vcc, v39, v2 src0_sel:WORD_0 src1_sel:DWORD
	v_cndmask_b32_e32 v36, v36, v39, vcc
; %bb.1175:                             ;   in Loop: Header=BB8_975 Depth=4
	s_or_b64 exec, exec, s[94:95]
	v_and_b32_e32 v24, 0xffff0000, v24
	v_and_b32_e32 v30, 0xffff0000, v30
	v_add_f32_e32 v30, v24, v30
	v_and_b32_e32 v24, 0x7f800000, v30
	v_cmp_ne_u32_e32 vcc, s87, v24
                                        ; implicit-def: $vgpr24
	s_and_saveexec_b64 s[44:45], vcc
	s_xor_b64 s[94:95], exec, s[44:45]
; %bb.1176:                             ;   in Loop: Header=BB8_975 Depth=4
	v_bfe_u32 v24, v30, 16, 1
	v_add3_u32 v24, v30, v24, s96
                                        ; implicit-def: $vgpr30
; %bb.1177:                             ;   in Loop: Header=BB8_975 Depth=4
	s_andn2_saveexec_b64 s[94:95], s[94:95]
; %bb.1178:                             ;   in Loop: Header=BB8_975 Depth=4
	v_or_b32_e32 v24, 0x10000, v30
	v_cmp_eq_u32_sdwa vcc, v30, v2 src0_sel:WORD_0 src1_sel:DWORD
	v_cndmask_b32_e32 v24, v24, v30, vcc
; %bb.1179:                             ;   in Loop: Header=BB8_975 Depth=4
	s_or_b64 exec, exec, s[94:95]
	v_and_b32_e32 v30, 0xffff0000, v31
	v_lshlrev_b32_e32 v31, 16, v25
	v_add_f32_e32 v31, v31, v30
	v_and_b32_e32 v30, 0x7f800000, v31
	v_cmp_ne_u32_e32 vcc, s87, v30
                                        ; implicit-def: $vgpr30
	s_and_saveexec_b64 s[44:45], vcc
	s_xor_b64 s[94:95], exec, s[44:45]
; %bb.1180:                             ;   in Loop: Header=BB8_975 Depth=4
	v_bfe_u32 v30, v31, 16, 1
	v_add3_u32 v30, v31, v30, s96
                                        ; implicit-def: $vgpr31
; %bb.1181:                             ;   in Loop: Header=BB8_975 Depth=4
	s_andn2_saveexec_b64 s[94:95], s[94:95]
; %bb.1182:                             ;   in Loop: Header=BB8_975 Depth=4
	v_or_b32_e32 v30, 0x10000, v31
	v_cmp_eq_u32_sdwa vcc, v31, v2 src0_sel:WORD_0 src1_sel:DWORD
	v_cndmask_b32_e32 v30, v30, v31, vcc
; %bb.1183:                             ;   in Loop: Header=BB8_975 Depth=4
	s_or_b64 exec, exec, s[94:95]
	v_and_b32_e32 v25, 0xffff0000, v25
	v_and_b32_e32 v31, 0xffff0000, v59
	v_add_f32_e32 v31, v25, v31
	v_and_b32_e32 v25, 0x7f800000, v31
	v_cmp_ne_u32_e32 vcc, s87, v25
                                        ; implicit-def: $vgpr25
	s_and_saveexec_b64 s[44:45], vcc
	s_xor_b64 s[94:95], exec, s[44:45]
; %bb.1184:                             ;   in Loop: Header=BB8_975 Depth=4
	v_bfe_u32 v25, v31, 16, 1
	v_add3_u32 v25, v31, v25, s96
                                        ; implicit-def: $vgpr31
; %bb.1185:                             ;   in Loop: Header=BB8_975 Depth=4
	s_andn2_saveexec_b64 s[94:95], s[94:95]
; %bb.1186:                             ;   in Loop: Header=BB8_975 Depth=4
	v_or_b32_e32 v25, 0x10000, v31
	v_cmp_eq_u32_sdwa vcc, v31, v2 src0_sel:WORD_0 src1_sel:DWORD
	v_cndmask_b32_e32 v25, v25, v31, vcc
; %bb.1187:                             ;   in Loop: Header=BB8_975 Depth=4
	s_or_b64 exec, exec, s[94:95]
	v_and_b32_e32 v31, 0xffff0000, v60
	v_lshlrev_b32_e32 v39, 16, v26
	v_add_f32_e32 v39, v39, v31
	v_and_b32_e32 v31, 0x7f800000, v39
	v_cmp_ne_u32_e32 vcc, s87, v31
                                        ; implicit-def: $vgpr31
	s_and_saveexec_b64 s[44:45], vcc
	s_xor_b64 s[94:95], exec, s[44:45]
; %bb.1188:                             ;   in Loop: Header=BB8_975 Depth=4
	v_bfe_u32 v31, v39, 16, 1
	v_add3_u32 v31, v39, v31, s96
                                        ; implicit-def: $vgpr39
; %bb.1189:                             ;   in Loop: Header=BB8_975 Depth=4
	s_andn2_saveexec_b64 s[94:95], s[94:95]
; %bb.1190:                             ;   in Loop: Header=BB8_975 Depth=4
	v_or_b32_e32 v31, 0x10000, v39
	v_cmp_eq_u32_sdwa vcc, v39, v2 src0_sel:WORD_0 src1_sel:DWORD
	v_cndmask_b32_e32 v31, v31, v39, vcc
; %bb.1191:                             ;   in Loop: Header=BB8_975 Depth=4
	s_or_b64 exec, exec, s[94:95]
	v_and_b32_e32 v26, 0xffff0000, v26
	v_and_b32_e32 v5, 0xffff0000, v5
	v_add_f32_e32 v26, v26, v5
	v_and_b32_e32 v5, 0x7f800000, v26
	v_cmp_ne_u32_e32 vcc, s87, v5
                                        ; implicit-def: $vgpr5
	s_and_saveexec_b64 s[44:45], vcc
	s_xor_b64 s[94:95], exec, s[44:45]
; %bb.1192:                             ;   in Loop: Header=BB8_975 Depth=4
	v_bfe_u32 v5, v26, 16, 1
	v_add3_u32 v5, v26, v5, s96
                                        ; implicit-def: $vgpr26
; %bb.1193:                             ;   in Loop: Header=BB8_975 Depth=4
	s_andn2_saveexec_b64 s[94:95], s[94:95]
; %bb.1194:                             ;   in Loop: Header=BB8_975 Depth=4
	v_or_b32_e32 v5, 0x10000, v26
	v_cmp_eq_u32_sdwa vcc, v26, v2 src0_sel:WORD_0 src1_sel:DWORD
	v_cndmask_b32_e32 v5, v5, v26, vcc
; %bb.1195:                             ;   in Loop: Header=BB8_975 Depth=4
	s_or_b64 exec, exec, s[94:95]
	v_and_b32_e32 v26, 0xffff0000, v45
	v_lshlrev_b32_e32 v39, 16, v27
	v_add_f32_e32 v39, v39, v26
	v_and_b32_e32 v26, 0x7f800000, v39
	v_cmp_ne_u32_e32 vcc, s87, v26
                                        ; implicit-def: $vgpr26
	s_and_saveexec_b64 s[44:45], vcc
	s_xor_b64 s[94:95], exec, s[44:45]
; %bb.1196:                             ;   in Loop: Header=BB8_975 Depth=4
	v_bfe_u32 v26, v39, 16, 1
	v_add3_u32 v26, v39, v26, s96
                                        ; implicit-def: $vgpr39
; %bb.1197:                             ;   in Loop: Header=BB8_975 Depth=4
	s_andn2_saveexec_b64 s[94:95], s[94:95]
; %bb.1198:                             ;   in Loop: Header=BB8_975 Depth=4
	v_or_b32_e32 v26, 0x10000, v39
	v_cmp_eq_u32_sdwa vcc, v39, v2 src0_sel:WORD_0 src1_sel:DWORD
	v_cndmask_b32_e32 v26, v26, v39, vcc
; %bb.1199:                             ;   in Loop: Header=BB8_975 Depth=4
	s_or_b64 exec, exec, s[94:95]
	v_and_b32_e32 v27, 0xffff0000, v27
	v_and_b32_e32 v3, 0xffff0000, v3
	v_add_f32_e32 v27, v27, v3
	v_and_b32_e32 v3, 0x7f800000, v27
	v_cmp_ne_u32_e32 vcc, s87, v3
                                        ; implicit-def: $vgpr3
	s_and_saveexec_b64 s[44:45], vcc
	s_xor_b64 s[94:95], exec, s[44:45]
; %bb.1200:                             ;   in Loop: Header=BB8_975 Depth=4
	v_bfe_u32 v3, v27, 16, 1
	v_add3_u32 v3, v27, v3, s96
                                        ; implicit-def: $vgpr27
; %bb.1201:                             ;   in Loop: Header=BB8_975 Depth=4
	s_andn2_saveexec_b64 s[94:95], s[94:95]
; %bb.1202:                             ;   in Loop: Header=BB8_975 Depth=4
	v_or_b32_e32 v3, 0x10000, v27
	v_cmp_eq_u32_sdwa vcc, v27, v2 src0_sel:WORD_0 src1_sel:DWORD
	v_cndmask_b32_e32 v3, v3, v27, vcc
; %bb.1203:                             ;   in Loop: Header=BB8_975 Depth=4
	s_or_b64 exec, exec, s[94:95]
	v_and_b32_e32 v27, 0xffff0000, v44
	v_lshlrev_b32_e32 v39, 16, v20
	v_add_f32_e32 v39, v39, v27
	v_and_b32_e32 v27, 0x7f800000, v39
	v_cmp_ne_u32_e32 vcc, s87, v27
                                        ; implicit-def: $vgpr27
	s_and_saveexec_b64 s[44:45], vcc
	s_xor_b64 s[94:95], exec, s[44:45]
; %bb.1204:                             ;   in Loop: Header=BB8_975 Depth=4
	v_bfe_u32 v27, v39, 16, 1
	v_add3_u32 v27, v39, v27, s96
                                        ; implicit-def: $vgpr39
; %bb.1205:                             ;   in Loop: Header=BB8_975 Depth=4
	s_andn2_saveexec_b64 s[94:95], s[94:95]
; %bb.1206:                             ;   in Loop: Header=BB8_975 Depth=4
	v_or_b32_e32 v27, 0x10000, v39
	v_cmp_eq_u32_sdwa vcc, v39, v2 src0_sel:WORD_0 src1_sel:DWORD
	v_cndmask_b32_e32 v27, v27, v39, vcc
; %bb.1207:                             ;   in Loop: Header=BB8_975 Depth=4
	s_or_b64 exec, exec, s[94:95]
	v_and_b32_e32 v20, 0xffff0000, v20
	v_and_b32_e32 v4, 0xffff0000, v4
	v_add_f32_e32 v20, v20, v4
	v_and_b32_e32 v4, 0x7f800000, v20
	v_cmp_ne_u32_e32 vcc, s87, v4
                                        ; implicit-def: $vgpr4
	s_and_saveexec_b64 s[44:45], vcc
	s_xor_b64 s[94:95], exec, s[44:45]
; %bb.1208:                             ;   in Loop: Header=BB8_975 Depth=4
	v_bfe_u32 v4, v20, 16, 1
	v_add3_u32 v4, v20, v4, s96
                                        ; implicit-def: $vgpr20
; %bb.1209:                             ;   in Loop: Header=BB8_975 Depth=4
	s_andn2_saveexec_b64 s[94:95], s[94:95]
; %bb.1210:                             ;   in Loop: Header=BB8_975 Depth=4
	v_or_b32_e32 v4, 0x10000, v20
	v_cmp_eq_u32_sdwa vcc, v20, v2 src0_sel:WORD_0 src1_sel:DWORD
	v_cndmask_b32_e32 v4, v4, v20, vcc
; %bb.1211:                             ;   in Loop: Header=BB8_975 Depth=4
	s_or_b64 exec, exec, s[94:95]
	v_and_b32_e32 v20, 0xffff0000, v51
	v_lshlrev_b32_e32 v39, 16, v21
	v_add_f32_e32 v39, v39, v20
	v_and_b32_e32 v20, 0x7f800000, v39
	v_cmp_ne_u32_e32 vcc, s87, v20
                                        ; implicit-def: $vgpr20
	s_and_saveexec_b64 s[44:45], vcc
	s_xor_b64 s[94:95], exec, s[44:45]
; %bb.1212:                             ;   in Loop: Header=BB8_975 Depth=4
	v_bfe_u32 v20, v39, 16, 1
	v_add3_u32 v20, v39, v20, s96
                                        ; implicit-def: $vgpr39
; %bb.1213:                             ;   in Loop: Header=BB8_975 Depth=4
	s_andn2_saveexec_b64 s[94:95], s[94:95]
; %bb.1214:                             ;   in Loop: Header=BB8_975 Depth=4
	v_or_b32_e32 v20, 0x10000, v39
	v_cmp_eq_u32_sdwa vcc, v39, v2 src0_sel:WORD_0 src1_sel:DWORD
	v_cndmask_b32_e32 v20, v20, v39, vcc
; %bb.1215:                             ;   in Loop: Header=BB8_975 Depth=4
	s_or_b64 exec, exec, s[94:95]
	v_and_b32_e32 v21, 0xffff0000, v21
	v_and_b32_e32 v39, 0xffff0000, v49
	v_add_f32_e32 v39, v21, v39
	v_and_b32_e32 v21, 0x7f800000, v39
	v_cmp_ne_u32_e32 vcc, s87, v21
                                        ; implicit-def: $vgpr21
	s_and_saveexec_b64 s[44:45], vcc
	s_xor_b64 s[94:95], exec, s[44:45]
; %bb.1216:                             ;   in Loop: Header=BB8_975 Depth=4
	v_bfe_u32 v21, v39, 16, 1
	v_add3_u32 v21, v39, v21, s96
                                        ; implicit-def: $vgpr39
; %bb.1217:                             ;   in Loop: Header=BB8_975 Depth=4
	s_andn2_saveexec_b64 s[94:95], s[94:95]
; %bb.1218:                             ;   in Loop: Header=BB8_975 Depth=4
	v_or_b32_e32 v21, 0x10000, v39
	v_cmp_eq_u32_sdwa vcc, v39, v2 src0_sel:WORD_0 src1_sel:DWORD
	v_cndmask_b32_e32 v21, v21, v39, vcc
; %bb.1219:                             ;   in Loop: Header=BB8_975 Depth=4
	s_or_b64 exec, exec, s[94:95]
	v_and_b32_e32 v39, 0xffff0000, v50
	v_lshlrev_b32_e32 v49, 16, v22
	v_add_f32_e32 v49, v49, v39
	v_and_b32_e32 v39, 0x7f800000, v49
	v_cmp_ne_u32_e32 vcc, s87, v39
                                        ; implicit-def: $vgpr39
	s_and_saveexec_b64 s[44:45], vcc
	s_xor_b64 s[94:95], exec, s[44:45]
; %bb.1220:                             ;   in Loop: Header=BB8_975 Depth=4
	v_bfe_u32 v39, v49, 16, 1
	v_add3_u32 v39, v49, v39, s96
                                        ; implicit-def: $vgpr49
; %bb.1221:                             ;   in Loop: Header=BB8_975 Depth=4
	s_andn2_saveexec_b64 s[94:95], s[94:95]
; %bb.1222:                             ;   in Loop: Header=BB8_975 Depth=4
	v_or_b32_e32 v39, 0x10000, v49
	v_cmp_eq_u32_sdwa vcc, v49, v2 src0_sel:WORD_0 src1_sel:DWORD
	v_cndmask_b32_e32 v39, v39, v49, vcc
; %bb.1223:                             ;   in Loop: Header=BB8_975 Depth=4
	s_or_b64 exec, exec, s[94:95]
	v_and_b32_e32 v22, 0xffff0000, v22
	v_and_b32_e32 v38, 0xffff0000, v38
	v_add_f32_e32 v38, v22, v38
	v_and_b32_e32 v22, 0x7f800000, v38
	v_cmp_ne_u32_e32 vcc, s87, v22
                                        ; implicit-def: $vgpr22
	s_and_saveexec_b64 s[44:45], vcc
	s_xor_b64 s[94:95], exec, s[44:45]
; %bb.1224:                             ;   in Loop: Header=BB8_975 Depth=4
	v_bfe_u32 v22, v38, 16, 1
	v_add3_u32 v22, v38, v22, s96
                                        ; implicit-def: $vgpr38
; %bb.1225:                             ;   in Loop: Header=BB8_975 Depth=4
	s_andn2_saveexec_b64 s[94:95], s[94:95]
; %bb.1226:                             ;   in Loop: Header=BB8_975 Depth=4
	v_or_b32_e32 v22, 0x10000, v38
	v_cmp_eq_u32_sdwa vcc, v38, v2 src0_sel:WORD_0 src1_sel:DWORD
	v_cndmask_b32_e32 v22, v22, v38, vcc
; %bb.1227:                             ;   in Loop: Header=BB8_975 Depth=4
	s_or_b64 exec, exec, s[94:95]
	v_and_b32_e32 v38, 0xffff0000, v48
	v_lshlrev_b32_e32 v48, 16, v23
	v_add_f32_e32 v48, v48, v38
	v_and_b32_e32 v38, 0x7f800000, v48
	v_cmp_ne_u32_e32 vcc, s87, v38
                                        ; implicit-def: $vgpr38
	s_and_saveexec_b64 s[44:45], vcc
	s_xor_b64 s[94:95], exec, s[44:45]
; %bb.1228:                             ;   in Loop: Header=BB8_975 Depth=4
	v_bfe_u32 v38, v48, 16, 1
	v_add3_u32 v38, v48, v38, s96
                                        ; implicit-def: $vgpr48
; %bb.1229:                             ;   in Loop: Header=BB8_975 Depth=4
	s_andn2_saveexec_b64 s[94:95], s[94:95]
; %bb.1230:                             ;   in Loop: Header=BB8_975 Depth=4
	v_or_b32_e32 v38, 0x10000, v48
	v_cmp_eq_u32_sdwa vcc, v48, v2 src0_sel:WORD_0 src1_sel:DWORD
	v_cndmask_b32_e32 v38, v38, v48, vcc
; %bb.1231:                             ;   in Loop: Header=BB8_975 Depth=4
	s_or_b64 exec, exec, s[94:95]
	v_and_b32_e32 v23, 0xffff0000, v23
	v_and_b32_e32 v37, 0xffff0000, v37
	v_add_f32_e32 v37, v23, v37
	v_and_b32_e32 v23, 0x7f800000, v37
	v_cmp_ne_u32_e32 vcc, s87, v23
                                        ; implicit-def: $vgpr23
	s_and_saveexec_b64 s[44:45], vcc
	s_xor_b64 s[94:95], exec, s[44:45]
; %bb.1232:                             ;   in Loop: Header=BB8_975 Depth=4
	v_bfe_u32 v23, v37, 16, 1
	v_add3_u32 v23, v37, v23, s96
                                        ; implicit-def: $vgpr37
; %bb.1233:                             ;   in Loop: Header=BB8_975 Depth=4
	s_andn2_saveexec_b64 s[94:95], s[94:95]
	s_cbranch_execz .LBB8_974
; %bb.1234:                             ;   in Loop: Header=BB8_975 Depth=4
	v_or_b32_e32 v23, 0x10000, v37
	v_cmp_eq_u32_sdwa vcc, v37, v2 src0_sel:WORD_0 src1_sel:DWORD
	v_cndmask_b32_e32 v23, v23, v37, vcc
	s_branch .LBB8_974
.LBB8_1235:                             ;   in Loop: Header=BB8_891 Depth=3
	buffer_load_dword v3, off, s[0:3], s33 offset:304 ; 4-byte Folded Reload
	buffer_load_dword v45, off, s[0:3], s33 offset:272 ; 4-byte Folded Reload
	s_and_saveexec_b64 s[40:41], s[88:89]
	s_cbranch_execnz .LBB8_1579
	s_branch .LBB8_1818
.LBB8_1236:                             ;   in Loop: Header=BB8_891 Depth=3
	s_or_b64 exec, exec, s[40:41]
	buffer_load_dword v36, off, s[0:3], s33 offset:276 ; 4-byte Folded Reload
	buffer_load_dword v37, off, s[0:3], s33 offset:312 ; 4-byte Folded Reload
	;; [unrolled: 1-line block ×8, first 2 shown]
	s_and_b64 s[40:41], s[90:91], exec
.LBB8_1237:                             ;   in Loop: Header=BB8_891 Depth=3
	s_or_b64 exec, exec, s[28:29]
	s_and_saveexec_b64 s[28:29], s[40:41]
	s_cbranch_execz .LBB8_1367
; %bb.1238:                             ;   in Loop: Header=BB8_891 Depth=3
	s_trap 2
	ds_read_b32 v3, v0
                                        ; implicit-def: $vgpr30
	s_waitcnt lgkmcnt(0)
	v_lshlrev_b32_e32 v31, 16, v3
	v_lshlrev_b32_e32 v3, 16, v32
	v_mul_f32_e32 v3, v3, v31
	v_and_b32_e32 v4, 0x7f800000, v3
	v_cmp_ne_u32_e32 vcc, s87, v4
	s_and_saveexec_b64 s[40:41], vcc
	s_xor_b64 s[40:41], exec, s[40:41]
; %bb.1239:                             ;   in Loop: Header=BB8_891 Depth=3
	v_bfe_u32 v4, v3, 16, 1
	v_add3_u32 v30, v3, v4, s96
                                        ; implicit-def: $vgpr3
; %bb.1240:                             ;   in Loop: Header=BB8_891 Depth=3
	s_andn2_saveexec_b64 s[40:41], s[40:41]
; %bb.1241:                             ;   in Loop: Header=BB8_891 Depth=3
	v_or_b32_e32 v4, 0x10000, v3
	v_cmp_eq_u32_sdwa vcc, v3, v2 src0_sel:WORD_0 src1_sel:DWORD
	v_cndmask_b32_e32 v30, v4, v3, vcc
; %bb.1242:                             ;   in Loop: Header=BB8_891 Depth=3
	s_or_b64 exec, exec, s[40:41]
	v_and_b32_e32 v3, 0xffff0000, v32
	v_mul_f32_e32 v3, v3, v31
	v_and_b32_e32 v4, 0x7f800000, v3
	v_cmp_ne_u32_e32 vcc, s87, v4
                                        ; implicit-def: $vgpr28
	s_and_saveexec_b64 s[40:41], vcc
	s_xor_b64 s[40:41], exec, s[40:41]
; %bb.1243:                             ;   in Loop: Header=BB8_891 Depth=3
	v_bfe_u32 v4, v3, 16, 1
	v_add3_u32 v28, v3, v4, s96
                                        ; implicit-def: $vgpr3
; %bb.1244:                             ;   in Loop: Header=BB8_891 Depth=3
	s_andn2_saveexec_b64 s[40:41], s[40:41]
; %bb.1245:                             ;   in Loop: Header=BB8_891 Depth=3
	v_or_b32_e32 v4, 0x10000, v3
	v_cmp_eq_u32_sdwa vcc, v3, v2 src0_sel:WORD_0 src1_sel:DWORD
	v_cndmask_b32_e32 v28, v4, v3, vcc
; %bb.1246:                             ;   in Loop: Header=BB8_891 Depth=3
	s_or_b64 exec, exec, s[40:41]
	v_lshlrev_b32_e32 v3, 16, v33
	v_mul_f32_e32 v3, v3, v31
	v_and_b32_e32 v4, 0x7f800000, v3
	v_cmp_ne_u32_e32 vcc, s87, v4
                                        ; implicit-def: $vgpr29
	s_and_saveexec_b64 s[40:41], vcc
	s_xor_b64 s[40:41], exec, s[40:41]
; %bb.1247:                             ;   in Loop: Header=BB8_891 Depth=3
	v_bfe_u32 v4, v3, 16, 1
	v_add3_u32 v29, v3, v4, s96
                                        ; implicit-def: $vgpr3
; %bb.1248:                             ;   in Loop: Header=BB8_891 Depth=3
	s_andn2_saveexec_b64 s[40:41], s[40:41]
; %bb.1249:                             ;   in Loop: Header=BB8_891 Depth=3
	v_or_b32_e32 v4, 0x10000, v3
	v_cmp_eq_u32_sdwa vcc, v3, v2 src0_sel:WORD_0 src1_sel:DWORD
	v_cndmask_b32_e32 v29, v4, v3, vcc
; %bb.1250:                             ;   in Loop: Header=BB8_891 Depth=3
	s_or_b64 exec, exec, s[40:41]
	v_and_b32_e32 v3, 0xffff0000, v33
	v_mul_f32_e32 v3, v3, v31
	v_and_b32_e32 v4, 0x7f800000, v3
	v_cmp_ne_u32_e32 vcc, s87, v4
                                        ; implicit-def: $vgpr26
	s_and_saveexec_b64 s[40:41], vcc
	s_xor_b64 s[40:41], exec, s[40:41]
; %bb.1251:                             ;   in Loop: Header=BB8_891 Depth=3
	v_bfe_u32 v4, v3, 16, 1
	v_add3_u32 v26, v3, v4, s96
                                        ; implicit-def: $vgpr3
; %bb.1252:                             ;   in Loop: Header=BB8_891 Depth=3
	s_andn2_saveexec_b64 s[40:41], s[40:41]
; %bb.1253:                             ;   in Loop: Header=BB8_891 Depth=3
	v_or_b32_e32 v4, 0x10000, v3
	v_cmp_eq_u32_sdwa vcc, v3, v2 src0_sel:WORD_0 src1_sel:DWORD
	v_cndmask_b32_e32 v26, v4, v3, vcc
; %bb.1254:                             ;   in Loop: Header=BB8_891 Depth=3
	s_or_b64 exec, exec, s[40:41]
	v_lshlrev_b32_e32 v3, 16, v34
	v_mul_f32_e32 v3, v3, v31
	v_and_b32_e32 v4, 0x7f800000, v3
	v_cmp_ne_u32_e32 vcc, s87, v4
                                        ; implicit-def: $vgpr27
	s_and_saveexec_b64 s[40:41], vcc
	s_xor_b64 s[40:41], exec, s[40:41]
; %bb.1255:                             ;   in Loop: Header=BB8_891 Depth=3
	v_bfe_u32 v4, v3, 16, 1
	v_add3_u32 v27, v3, v4, s96
                                        ; implicit-def: $vgpr3
; %bb.1256:                             ;   in Loop: Header=BB8_891 Depth=3
	s_andn2_saveexec_b64 s[40:41], s[40:41]
; %bb.1257:                             ;   in Loop: Header=BB8_891 Depth=3
	v_or_b32_e32 v4, 0x10000, v3
	v_cmp_eq_u32_sdwa vcc, v3, v2 src0_sel:WORD_0 src1_sel:DWORD
	v_cndmask_b32_e32 v27, v4, v3, vcc
; %bb.1258:                             ;   in Loop: Header=BB8_891 Depth=3
	s_or_b64 exec, exec, s[40:41]
	v_and_b32_e32 v3, 0xffff0000, v34
	v_mul_f32_e32 v3, v3, v31
	v_and_b32_e32 v4, 0x7f800000, v3
	v_cmp_ne_u32_e32 vcc, s87, v4
                                        ; implicit-def: $vgpr5
	s_and_saveexec_b64 s[40:41], vcc
	s_xor_b64 s[40:41], exec, s[40:41]
; %bb.1259:                             ;   in Loop: Header=BB8_891 Depth=3
	v_bfe_u32 v4, v3, 16, 1
	v_add3_u32 v5, v3, v4, s96
                                        ; implicit-def: $vgpr3
; %bb.1260:                             ;   in Loop: Header=BB8_891 Depth=3
	s_andn2_saveexec_b64 s[40:41], s[40:41]
; %bb.1261:                             ;   in Loop: Header=BB8_891 Depth=3
	v_or_b32_e32 v4, 0x10000, v3
	v_cmp_eq_u32_sdwa vcc, v3, v2 src0_sel:WORD_0 src1_sel:DWORD
	v_cndmask_b32_e32 v5, v4, v3, vcc
; %bb.1262:                             ;   in Loop: Header=BB8_891 Depth=3
	s_or_b64 exec, exec, s[40:41]
	v_lshlrev_b32_e32 v3, 16, v35
	v_mul_f32_e32 v3, v3, v31
	v_and_b32_e32 v4, 0x7f800000, v3
	v_cmp_ne_u32_e32 vcc, s87, v4
                                        ; implicit-def: $vgpr25
	s_and_saveexec_b64 s[40:41], vcc
	s_xor_b64 s[40:41], exec, s[40:41]
; %bb.1263:                             ;   in Loop: Header=BB8_891 Depth=3
	v_bfe_u32 v4, v3, 16, 1
	v_add3_u32 v25, v3, v4, s96
                                        ; implicit-def: $vgpr3
; %bb.1264:                             ;   in Loop: Header=BB8_891 Depth=3
	s_andn2_saveexec_b64 s[40:41], s[40:41]
; %bb.1265:                             ;   in Loop: Header=BB8_891 Depth=3
	v_or_b32_e32 v4, 0x10000, v3
	v_cmp_eq_u32_sdwa vcc, v3, v2 src0_sel:WORD_0 src1_sel:DWORD
	v_cndmask_b32_e32 v25, v4, v3, vcc
; %bb.1266:                             ;   in Loop: Header=BB8_891 Depth=3
	s_or_b64 exec, exec, s[40:41]
	v_and_b32_e32 v3, 0xffff0000, v35
	v_mul_f32_e32 v4, v3, v31
	v_and_b32_e32 v3, 0x7f800000, v4
	v_cmp_ne_u32_e32 vcc, s87, v3
                                        ; implicit-def: $vgpr3
	s_and_saveexec_b64 s[40:41], vcc
	s_xor_b64 s[40:41], exec, s[40:41]
; %bb.1267:                             ;   in Loop: Header=BB8_891 Depth=3
	v_bfe_u32 v3, v4, 16, 1
	v_add3_u32 v3, v4, v3, s96
                                        ; implicit-def: $vgpr4
; %bb.1268:                             ;   in Loop: Header=BB8_891 Depth=3
	s_andn2_saveexec_b64 s[40:41], s[40:41]
; %bb.1269:                             ;   in Loop: Header=BB8_891 Depth=3
	v_or_b32_e32 v3, 0x10000, v4
	v_cmp_eq_u32_sdwa vcc, v4, v2 src0_sel:WORD_0 src1_sel:DWORD
	v_cndmask_b32_e32 v3, v3, v4, vcc
; %bb.1270:                             ;   in Loop: Header=BB8_891 Depth=3
	s_or_b64 exec, exec, s[40:41]
	v_lshlrev_b32_e32 v4, 16, v16
	v_mul_f32_e32 v4, v4, v31
	v_and_b32_e32 v20, 0x7f800000, v4
	v_cmp_ne_u32_e32 vcc, s87, v20
                                        ; implicit-def: $vgpr24
	s_and_saveexec_b64 s[40:41], vcc
	s_xor_b64 s[40:41], exec, s[40:41]
; %bb.1271:                             ;   in Loop: Header=BB8_891 Depth=3
	v_bfe_u32 v20, v4, 16, 1
	v_add3_u32 v24, v4, v20, s96
                                        ; implicit-def: $vgpr4
; %bb.1272:                             ;   in Loop: Header=BB8_891 Depth=3
	s_andn2_saveexec_b64 s[40:41], s[40:41]
; %bb.1273:                             ;   in Loop: Header=BB8_891 Depth=3
	v_or_b32_e32 v20, 0x10000, v4
	v_cmp_eq_u32_sdwa vcc, v4, v2 src0_sel:WORD_0 src1_sel:DWORD
	v_cndmask_b32_e32 v24, v20, v4, vcc
; %bb.1274:                             ;   in Loop: Header=BB8_891 Depth=3
	s_or_b64 exec, exec, s[40:41]
	v_and_b32_e32 v4, 0xffff0000, v16
	v_mul_f32_e32 v16, v4, v31
	v_and_b32_e32 v4, 0x7f800000, v16
	v_cmp_ne_u32_e32 vcc, s87, v4
                                        ; implicit-def: $vgpr4
	s_and_saveexec_b64 s[40:41], vcc
	s_xor_b64 s[40:41], exec, s[40:41]
; %bb.1275:                             ;   in Loop: Header=BB8_891 Depth=3
	v_bfe_u32 v4, v16, 16, 1
	v_add3_u32 v4, v16, v4, s96
                                        ; implicit-def: $vgpr16
; %bb.1276:                             ;   in Loop: Header=BB8_891 Depth=3
	s_andn2_saveexec_b64 s[40:41], s[40:41]
; %bb.1277:                             ;   in Loop: Header=BB8_891 Depth=3
	v_or_b32_e32 v4, 0x10000, v16
	v_cmp_eq_u32_sdwa vcc, v16, v2 src0_sel:WORD_0 src1_sel:DWORD
	v_cndmask_b32_e32 v4, v4, v16, vcc
; %bb.1278:                             ;   in Loop: Header=BB8_891 Depth=3
	s_or_b64 exec, exec, s[40:41]
	v_lshlrev_b32_e32 v16, 16, v17
	v_mul_f32_e32 v16, v16, v31
	v_and_b32_e32 v20, 0x7f800000, v16
	v_cmp_ne_u32_e32 vcc, s87, v20
                                        ; implicit-def: $vgpr23
	s_and_saveexec_b64 s[40:41], vcc
	s_xor_b64 s[40:41], exec, s[40:41]
; %bb.1279:                             ;   in Loop: Header=BB8_891 Depth=3
	v_bfe_u32 v20, v16, 16, 1
	v_add3_u32 v23, v16, v20, s96
                                        ; implicit-def: $vgpr16
; %bb.1280:                             ;   in Loop: Header=BB8_891 Depth=3
	s_andn2_saveexec_b64 s[40:41], s[40:41]
; %bb.1281:                             ;   in Loop: Header=BB8_891 Depth=3
	v_or_b32_e32 v20, 0x10000, v16
	v_cmp_eq_u32_sdwa vcc, v16, v2 src0_sel:WORD_0 src1_sel:DWORD
	v_cndmask_b32_e32 v23, v20, v16, vcc
; %bb.1282:                             ;   in Loop: Header=BB8_891 Depth=3
	s_or_b64 exec, exec, s[40:41]
	v_and_b32_e32 v16, 0xffff0000, v17
	v_mul_f32_e32 v16, v16, v31
	v_and_b32_e32 v17, 0x7f800000, v16
	v_cmp_ne_u32_e32 vcc, s87, v17
                                        ; implicit-def: $vgpr21
	s_and_saveexec_b64 s[40:41], vcc
	s_xor_b64 s[40:41], exec, s[40:41]
; %bb.1283:                             ;   in Loop: Header=BB8_891 Depth=3
	v_bfe_u32 v17, v16, 16, 1
	v_add3_u32 v21, v16, v17, s96
                                        ; implicit-def: $vgpr16
; %bb.1284:                             ;   in Loop: Header=BB8_891 Depth=3
	s_andn2_saveexec_b64 s[40:41], s[40:41]
; %bb.1285:                             ;   in Loop: Header=BB8_891 Depth=3
	v_or_b32_e32 v17, 0x10000, v16
	v_cmp_eq_u32_sdwa vcc, v16, v2 src0_sel:WORD_0 src1_sel:DWORD
	v_cndmask_b32_e32 v21, v17, v16, vcc
; %bb.1286:                             ;   in Loop: Header=BB8_891 Depth=3
	s_or_b64 exec, exec, s[40:41]
	v_lshlrev_b32_e32 v16, 16, v18
	v_mul_f32_e32 v16, v16, v31
	v_and_b32_e32 v17, 0x7f800000, v16
	v_cmp_ne_u32_e32 vcc, s87, v17
                                        ; implicit-def: $vgpr22
	s_and_saveexec_b64 s[40:41], vcc
	s_xor_b64 s[40:41], exec, s[40:41]
; %bb.1287:                             ;   in Loop: Header=BB8_891 Depth=3
	v_bfe_u32 v17, v16, 16, 1
	v_add3_u32 v22, v16, v17, s96
                                        ; implicit-def: $vgpr16
; %bb.1288:                             ;   in Loop: Header=BB8_891 Depth=3
	s_andn2_saveexec_b64 s[40:41], s[40:41]
; %bb.1289:                             ;   in Loop: Header=BB8_891 Depth=3
	v_or_b32_e32 v17, 0x10000, v16
	v_cmp_eq_u32_sdwa vcc, v16, v2 src0_sel:WORD_0 src1_sel:DWORD
	v_cndmask_b32_e32 v22, v17, v16, vcc
; %bb.1290:                             ;   in Loop: Header=BB8_891 Depth=3
	s_or_b64 exec, exec, s[40:41]
	v_and_b32_e32 v16, 0xffff0000, v18
	v_mul_f32_e32 v16, v16, v31
	v_and_b32_e32 v17, 0x7f800000, v16
	v_cmp_ne_u32_e32 vcc, s87, v17
                                        ; implicit-def: $vgpr18
	s_and_saveexec_b64 s[40:41], vcc
	s_xor_b64 s[40:41], exec, s[40:41]
; %bb.1291:                             ;   in Loop: Header=BB8_891 Depth=3
	v_bfe_u32 v17, v16, 16, 1
	v_add3_u32 v18, v16, v17, s96
                                        ; implicit-def: $vgpr16
; %bb.1292:                             ;   in Loop: Header=BB8_891 Depth=3
	s_andn2_saveexec_b64 s[40:41], s[40:41]
; %bb.1293:                             ;   in Loop: Header=BB8_891 Depth=3
	v_or_b32_e32 v17, 0x10000, v16
	v_cmp_eq_u32_sdwa vcc, v16, v2 src0_sel:WORD_0 src1_sel:DWORD
	v_cndmask_b32_e32 v18, v17, v16, vcc
; %bb.1294:                             ;   in Loop: Header=BB8_891 Depth=3
	s_or_b64 exec, exec, s[40:41]
	v_lshlrev_b32_e32 v16, 16, v19
	v_mul_f32_e32 v16, v16, v31
	v_and_b32_e32 v17, 0x7f800000, v16
	v_cmp_ne_u32_e32 vcc, s87, v17
                                        ; implicit-def: $vgpr20
	s_and_saveexec_b64 s[40:41], vcc
	s_xor_b64 s[40:41], exec, s[40:41]
; %bb.1295:                             ;   in Loop: Header=BB8_891 Depth=3
	v_bfe_u32 v17, v16, 16, 1
	v_add3_u32 v20, v16, v17, s96
                                        ; implicit-def: $vgpr16
; %bb.1296:                             ;   in Loop: Header=BB8_891 Depth=3
	s_andn2_saveexec_b64 s[40:41], s[40:41]
; %bb.1297:                             ;   in Loop: Header=BB8_891 Depth=3
	v_or_b32_e32 v17, 0x10000, v16
	v_cmp_eq_u32_sdwa vcc, v16, v2 src0_sel:WORD_0 src1_sel:DWORD
	v_cndmask_b32_e32 v20, v17, v16, vcc
; %bb.1298:                             ;   in Loop: Header=BB8_891 Depth=3
	s_or_b64 exec, exec, s[40:41]
	v_and_b32_e32 v16, 0xffff0000, v19
	v_mul_f32_e32 v16, v16, v31
	v_and_b32_e32 v17, 0x7f800000, v16
	v_cmp_ne_u32_e32 vcc, s87, v17
                                        ; implicit-def: $vgpr17
	s_and_saveexec_b64 s[40:41], vcc
	s_xor_b64 s[40:41], exec, s[40:41]
; %bb.1299:                             ;   in Loop: Header=BB8_891 Depth=3
	v_bfe_u32 v17, v16, 16, 1
	v_add3_u32 v17, v16, v17, s96
                                        ; implicit-def: $vgpr16
; %bb.1300:                             ;   in Loop: Header=BB8_891 Depth=3
	s_andn2_saveexec_b64 s[40:41], s[40:41]
; %bb.1301:                             ;   in Loop: Header=BB8_891 Depth=3
	v_or_b32_e32 v17, 0x10000, v16
	v_cmp_eq_u32_sdwa vcc, v16, v2 src0_sel:WORD_0 src1_sel:DWORD
	v_cndmask_b32_e32 v17, v17, v16, vcc
; %bb.1302:                             ;   in Loop: Header=BB8_891 Depth=3
	s_or_b64 exec, exec, s[40:41]
	v_and_b32_e32 v16, 0xffff0000, v30
	v_lshlrev_b32_e32 v19, 16, v12
	v_add_f32_e32 v19, v19, v16
	v_and_b32_e32 v16, 0x7f800000, v19
	v_cmp_ne_u32_e32 vcc, s87, v16
                                        ; implicit-def: $vgpr16
	s_and_saveexec_b64 s[40:41], vcc
	s_xor_b64 s[40:41], exec, s[40:41]
; %bb.1303:                             ;   in Loop: Header=BB8_891 Depth=3
	v_bfe_u32 v16, v19, 16, 1
	v_add3_u32 v16, v19, v16, s96
                                        ; implicit-def: $vgpr19
; %bb.1304:                             ;   in Loop: Header=BB8_891 Depth=3
	s_andn2_saveexec_b64 s[40:41], s[40:41]
; %bb.1305:                             ;   in Loop: Header=BB8_891 Depth=3
	v_or_b32_e32 v16, 0x10000, v19
	v_cmp_eq_u32_sdwa vcc, v19, v2 src0_sel:WORD_0 src1_sel:DWORD
	v_cndmask_b32_e32 v16, v16, v19, vcc
; %bb.1306:                             ;   in Loop: Header=BB8_891 Depth=3
	s_or_b64 exec, exec, s[40:41]
	v_and_b32_e32 v12, 0xffff0000, v12
	v_and_b32_e32 v19, 0xffff0000, v28
	v_add_f32_e32 v19, v12, v19
	v_and_b32_e32 v12, 0x7f800000, v19
	v_cmp_ne_u32_e32 vcc, s87, v12
                                        ; implicit-def: $vgpr12
	s_and_saveexec_b64 s[40:41], vcc
	s_xor_b64 s[40:41], exec, s[40:41]
; %bb.1307:                             ;   in Loop: Header=BB8_891 Depth=3
	v_bfe_u32 v12, v19, 16, 1
	v_add3_u32 v12, v19, v12, s96
                                        ; implicit-def: $vgpr19
; %bb.1308:                             ;   in Loop: Header=BB8_891 Depth=3
	s_andn2_saveexec_b64 s[40:41], s[40:41]
; %bb.1309:                             ;   in Loop: Header=BB8_891 Depth=3
	v_or_b32_e32 v12, 0x10000, v19
	v_cmp_eq_u32_sdwa vcc, v19, v2 src0_sel:WORD_0 src1_sel:DWORD
	v_cndmask_b32_e32 v12, v12, v19, vcc
; %bb.1310:                             ;   in Loop: Header=BB8_891 Depth=3
	s_or_b64 exec, exec, s[40:41]
	v_and_b32_e32 v19, 0xffff0000, v29
	v_lshlrev_b32_e32 v28, 16, v13
	v_add_f32_e32 v28, v28, v19
	v_and_b32_e32 v19, 0x7f800000, v28
	v_cmp_ne_u32_e32 vcc, s87, v19
                                        ; implicit-def: $vgpr19
	s_and_saveexec_b64 s[40:41], vcc
	s_xor_b64 s[40:41], exec, s[40:41]
; %bb.1311:                             ;   in Loop: Header=BB8_891 Depth=3
	v_bfe_u32 v19, v28, 16, 1
	v_add3_u32 v19, v28, v19, s96
                                        ; implicit-def: $vgpr28
; %bb.1312:                             ;   in Loop: Header=BB8_891 Depth=3
	s_andn2_saveexec_b64 s[40:41], s[40:41]
; %bb.1313:                             ;   in Loop: Header=BB8_891 Depth=3
	v_or_b32_e32 v19, 0x10000, v28
	v_cmp_eq_u32_sdwa vcc, v28, v2 src0_sel:WORD_0 src1_sel:DWORD
	v_cndmask_b32_e32 v19, v19, v28, vcc
; %bb.1314:                             ;   in Loop: Header=BB8_891 Depth=3
	s_or_b64 exec, exec, s[40:41]
	v_and_b32_e32 v13, 0xffff0000, v13
	v_and_b32_e32 v26, 0xffff0000, v26
	v_add_f32_e32 v26, v13, v26
	v_and_b32_e32 v13, 0x7f800000, v26
	v_cmp_ne_u32_e32 vcc, s87, v13
                                        ; implicit-def: $vgpr13
	s_and_saveexec_b64 s[40:41], vcc
	s_xor_b64 s[40:41], exec, s[40:41]
; %bb.1315:                             ;   in Loop: Header=BB8_891 Depth=3
	v_bfe_u32 v13, v26, 16, 1
	v_add3_u32 v13, v26, v13, s96
                                        ; implicit-def: $vgpr26
; %bb.1316:                             ;   in Loop: Header=BB8_891 Depth=3
	s_andn2_saveexec_b64 s[40:41], s[40:41]
; %bb.1317:                             ;   in Loop: Header=BB8_891 Depth=3
	v_or_b32_e32 v13, 0x10000, v26
	v_cmp_eq_u32_sdwa vcc, v26, v2 src0_sel:WORD_0 src1_sel:DWORD
	v_cndmask_b32_e32 v13, v13, v26, vcc
; %bb.1318:                             ;   in Loop: Header=BB8_891 Depth=3
	s_or_b64 exec, exec, s[40:41]
	v_and_b32_e32 v26, 0xffff0000, v27
	v_lshlrev_b32_e32 v27, 16, v14
	v_add_f32_e32 v27, v27, v26
	v_and_b32_e32 v26, 0x7f800000, v27
	v_cmp_ne_u32_e32 vcc, s87, v26
                                        ; implicit-def: $vgpr26
	s_and_saveexec_b64 s[40:41], vcc
	s_xor_b64 s[40:41], exec, s[40:41]
; %bb.1319:                             ;   in Loop: Header=BB8_891 Depth=3
	v_bfe_u32 v26, v27, 16, 1
	v_add3_u32 v26, v27, v26, s96
                                        ; implicit-def: $vgpr27
; %bb.1320:                             ;   in Loop: Header=BB8_891 Depth=3
	s_andn2_saveexec_b64 s[40:41], s[40:41]
; %bb.1321:                             ;   in Loop: Header=BB8_891 Depth=3
	v_or_b32_e32 v26, 0x10000, v27
	v_cmp_eq_u32_sdwa vcc, v27, v2 src0_sel:WORD_0 src1_sel:DWORD
	v_cndmask_b32_e32 v26, v26, v27, vcc
; %bb.1322:                             ;   in Loop: Header=BB8_891 Depth=3
	s_or_b64 exec, exec, s[40:41]
	v_and_b32_e32 v14, 0xffff0000, v14
	v_and_b32_e32 v5, 0xffff0000, v5
	v_add_f32_e32 v14, v14, v5
	v_and_b32_e32 v5, 0x7f800000, v14
	v_cmp_ne_u32_e32 vcc, s87, v5
                                        ; implicit-def: $vgpr5
	s_and_saveexec_b64 s[40:41], vcc
	s_xor_b64 s[40:41], exec, s[40:41]
; %bb.1323:                             ;   in Loop: Header=BB8_891 Depth=3
	v_bfe_u32 v5, v14, 16, 1
	v_add3_u32 v5, v14, v5, s96
                                        ; implicit-def: $vgpr14
; %bb.1324:                             ;   in Loop: Header=BB8_891 Depth=3
	s_andn2_saveexec_b64 s[40:41], s[40:41]
; %bb.1325:                             ;   in Loop: Header=BB8_891 Depth=3
	v_or_b32_e32 v5, 0x10000, v14
	v_cmp_eq_u32_sdwa vcc, v14, v2 src0_sel:WORD_0 src1_sel:DWORD
	v_cndmask_b32_e32 v5, v5, v14, vcc
; %bb.1326:                             ;   in Loop: Header=BB8_891 Depth=3
	s_or_b64 exec, exec, s[40:41]
	v_and_b32_e32 v14, 0xffff0000, v25
	v_lshlrev_b32_e32 v25, 16, v15
	v_add_f32_e32 v25, v25, v14
	v_and_b32_e32 v14, 0x7f800000, v25
	v_cmp_ne_u32_e32 vcc, s87, v14
                                        ; implicit-def: $vgpr14
	s_and_saveexec_b64 s[40:41], vcc
	s_xor_b64 s[40:41], exec, s[40:41]
; %bb.1327:                             ;   in Loop: Header=BB8_891 Depth=3
	v_bfe_u32 v14, v25, 16, 1
	v_add3_u32 v14, v25, v14, s96
                                        ; implicit-def: $vgpr25
; %bb.1328:                             ;   in Loop: Header=BB8_891 Depth=3
	s_andn2_saveexec_b64 s[40:41], s[40:41]
; %bb.1329:                             ;   in Loop: Header=BB8_891 Depth=3
	v_or_b32_e32 v14, 0x10000, v25
	v_cmp_eq_u32_sdwa vcc, v25, v2 src0_sel:WORD_0 src1_sel:DWORD
	v_cndmask_b32_e32 v14, v14, v25, vcc
; %bb.1330:                             ;   in Loop: Header=BB8_891 Depth=3
	s_or_b64 exec, exec, s[40:41]
	v_and_b32_e32 v15, 0xffff0000, v15
	v_and_b32_e32 v3, 0xffff0000, v3
	v_add_f32_e32 v15, v15, v3
	v_and_b32_e32 v3, 0x7f800000, v15
	v_cmp_ne_u32_e32 vcc, s87, v3
                                        ; implicit-def: $vgpr3
	s_and_saveexec_b64 s[40:41], vcc
	s_xor_b64 s[40:41], exec, s[40:41]
; %bb.1331:                             ;   in Loop: Header=BB8_891 Depth=3
	v_bfe_u32 v3, v15, 16, 1
	v_add3_u32 v3, v15, v3, s96
                                        ; implicit-def: $vgpr15
; %bb.1332:                             ;   in Loop: Header=BB8_891 Depth=3
	s_andn2_saveexec_b64 s[40:41], s[40:41]
; %bb.1333:                             ;   in Loop: Header=BB8_891 Depth=3
	v_or_b32_e32 v3, 0x10000, v15
	v_cmp_eq_u32_sdwa vcc, v15, v2 src0_sel:WORD_0 src1_sel:DWORD
	v_cndmask_b32_e32 v3, v3, v15, vcc
; %bb.1334:                             ;   in Loop: Header=BB8_891 Depth=3
	s_or_b64 exec, exec, s[40:41]
	v_and_b32_e32 v15, 0xffff0000, v24
	v_lshlrev_b32_e32 v24, 16, v8
	v_add_f32_e32 v24, v24, v15
	v_and_b32_e32 v15, 0x7f800000, v24
	v_cmp_ne_u32_e32 vcc, s87, v15
                                        ; implicit-def: $vgpr15
	s_and_saveexec_b64 s[40:41], vcc
	s_xor_b64 s[40:41], exec, s[40:41]
; %bb.1335:                             ;   in Loop: Header=BB8_891 Depth=3
	v_bfe_u32 v15, v24, 16, 1
	v_add3_u32 v15, v24, v15, s96
                                        ; implicit-def: $vgpr24
; %bb.1336:                             ;   in Loop: Header=BB8_891 Depth=3
	s_andn2_saveexec_b64 s[40:41], s[40:41]
; %bb.1337:                             ;   in Loop: Header=BB8_891 Depth=3
	v_or_b32_e32 v15, 0x10000, v24
	v_cmp_eq_u32_sdwa vcc, v24, v2 src0_sel:WORD_0 src1_sel:DWORD
	v_cndmask_b32_e32 v15, v15, v24, vcc
; %bb.1338:                             ;   in Loop: Header=BB8_891 Depth=3
	s_or_b64 exec, exec, s[40:41]
	v_and_b32_e32 v8, 0xffff0000, v8
	v_and_b32_e32 v4, 0xffff0000, v4
	v_add_f32_e32 v8, v8, v4
	v_and_b32_e32 v4, 0x7f800000, v8
	v_cmp_ne_u32_e32 vcc, s87, v4
                                        ; implicit-def: $vgpr4
	s_and_saveexec_b64 s[40:41], vcc
	s_xor_b64 s[40:41], exec, s[40:41]
; %bb.1339:                             ;   in Loop: Header=BB8_891 Depth=3
	v_bfe_u32 v4, v8, 16, 1
	v_add3_u32 v4, v8, v4, s96
                                        ; implicit-def: $vgpr8
; %bb.1340:                             ;   in Loop: Header=BB8_891 Depth=3
	s_andn2_saveexec_b64 s[40:41], s[40:41]
; %bb.1341:                             ;   in Loop: Header=BB8_891 Depth=3
	v_or_b32_e32 v4, 0x10000, v8
	v_cmp_eq_u32_sdwa vcc, v8, v2 src0_sel:WORD_0 src1_sel:DWORD
	v_cndmask_b32_e32 v4, v4, v8, vcc
; %bb.1342:                             ;   in Loop: Header=BB8_891 Depth=3
	s_or_b64 exec, exec, s[40:41]
	v_and_b32_e32 v8, 0xffff0000, v23
	v_lshlrev_b32_e32 v23, 16, v9
	v_add_f32_e32 v23, v23, v8
	v_and_b32_e32 v8, 0x7f800000, v23
	v_cmp_ne_u32_e32 vcc, s87, v8
                                        ; implicit-def: $vgpr8
	s_and_saveexec_b64 s[40:41], vcc
	s_xor_b64 s[40:41], exec, s[40:41]
; %bb.1343:                             ;   in Loop: Header=BB8_891 Depth=3
	v_bfe_u32 v8, v23, 16, 1
	v_add3_u32 v8, v23, v8, s96
                                        ; implicit-def: $vgpr23
; %bb.1344:                             ;   in Loop: Header=BB8_891 Depth=3
	s_andn2_saveexec_b64 s[40:41], s[40:41]
; %bb.1345:                             ;   in Loop: Header=BB8_891 Depth=3
	v_or_b32_e32 v8, 0x10000, v23
	v_cmp_eq_u32_sdwa vcc, v23, v2 src0_sel:WORD_0 src1_sel:DWORD
	v_cndmask_b32_e32 v8, v8, v23, vcc
; %bb.1346:                             ;   in Loop: Header=BB8_891 Depth=3
	s_or_b64 exec, exec, s[40:41]
	v_and_b32_e32 v9, 0xffff0000, v9
	v_and_b32_e32 v21, 0xffff0000, v21
	v_add_f32_e32 v21, v9, v21
	v_and_b32_e32 v9, 0x7f800000, v21
	v_cmp_ne_u32_e32 vcc, s87, v9
                                        ; implicit-def: $vgpr9
	s_and_saveexec_b64 s[40:41], vcc
	s_xor_b64 s[40:41], exec, s[40:41]
; %bb.1347:                             ;   in Loop: Header=BB8_891 Depth=3
	v_bfe_u32 v9, v21, 16, 1
	v_add3_u32 v9, v21, v9, s96
                                        ; implicit-def: $vgpr21
; %bb.1348:                             ;   in Loop: Header=BB8_891 Depth=3
	s_andn2_saveexec_b64 s[40:41], s[40:41]
; %bb.1349:                             ;   in Loop: Header=BB8_891 Depth=3
	v_or_b32_e32 v9, 0x10000, v21
	v_cmp_eq_u32_sdwa vcc, v21, v2 src0_sel:WORD_0 src1_sel:DWORD
	v_cndmask_b32_e32 v9, v9, v21, vcc
; %bb.1350:                             ;   in Loop: Header=BB8_891 Depth=3
	s_or_b64 exec, exec, s[40:41]
	v_and_b32_e32 v21, 0xffff0000, v22
	v_lshlrev_b32_e32 v22, 16, v10
	v_add_f32_e32 v22, v22, v21
	v_and_b32_e32 v21, 0x7f800000, v22
	v_cmp_ne_u32_e32 vcc, s87, v21
                                        ; implicit-def: $vgpr21
	s_and_saveexec_b64 s[40:41], vcc
	s_xor_b64 s[40:41], exec, s[40:41]
; %bb.1351:                             ;   in Loop: Header=BB8_891 Depth=3
	v_bfe_u32 v21, v22, 16, 1
	v_add3_u32 v21, v22, v21, s96
                                        ; implicit-def: $vgpr22
; %bb.1352:                             ;   in Loop: Header=BB8_891 Depth=3
	s_andn2_saveexec_b64 s[40:41], s[40:41]
; %bb.1353:                             ;   in Loop: Header=BB8_891 Depth=3
	v_or_b32_e32 v21, 0x10000, v22
	v_cmp_eq_u32_sdwa vcc, v22, v2 src0_sel:WORD_0 src1_sel:DWORD
	v_cndmask_b32_e32 v21, v21, v22, vcc
; %bb.1354:                             ;   in Loop: Header=BB8_891 Depth=3
	s_or_b64 exec, exec, s[40:41]
	v_and_b32_e32 v10, 0xffff0000, v10
	v_and_b32_e32 v18, 0xffff0000, v18
	v_add_f32_e32 v18, v10, v18
	v_and_b32_e32 v10, 0x7f800000, v18
	v_cmp_ne_u32_e32 vcc, s87, v10
                                        ; implicit-def: $vgpr10
	s_and_saveexec_b64 s[40:41], vcc
	s_xor_b64 s[40:41], exec, s[40:41]
; %bb.1355:                             ;   in Loop: Header=BB8_891 Depth=3
	v_bfe_u32 v10, v18, 16, 1
	v_add3_u32 v10, v18, v10, s96
                                        ; implicit-def: $vgpr18
; %bb.1356:                             ;   in Loop: Header=BB8_891 Depth=3
	s_andn2_saveexec_b64 s[40:41], s[40:41]
; %bb.1357:                             ;   in Loop: Header=BB8_891 Depth=3
	v_or_b32_e32 v10, 0x10000, v18
	v_cmp_eq_u32_sdwa vcc, v18, v2 src0_sel:WORD_0 src1_sel:DWORD
	v_cndmask_b32_e32 v10, v10, v18, vcc
; %bb.1358:                             ;   in Loop: Header=BB8_891 Depth=3
	s_or_b64 exec, exec, s[40:41]
	v_and_b32_e32 v18, 0xffff0000, v20
	v_lshlrev_b32_e32 v20, 16, v11
	v_add_f32_e32 v20, v20, v18
	v_and_b32_e32 v18, 0x7f800000, v20
	v_cmp_ne_u32_e32 vcc, s87, v18
                                        ; implicit-def: $vgpr18
	s_and_saveexec_b64 s[40:41], vcc
	s_xor_b64 s[40:41], exec, s[40:41]
; %bb.1359:                             ;   in Loop: Header=BB8_891 Depth=3
	v_bfe_u32 v18, v20, 16, 1
	v_add3_u32 v18, v20, v18, s96
                                        ; implicit-def: $vgpr20
; %bb.1360:                             ;   in Loop: Header=BB8_891 Depth=3
	s_andn2_saveexec_b64 s[40:41], s[40:41]
; %bb.1361:                             ;   in Loop: Header=BB8_891 Depth=3
	v_or_b32_e32 v18, 0x10000, v20
	v_cmp_eq_u32_sdwa vcc, v20, v2 src0_sel:WORD_0 src1_sel:DWORD
	v_cndmask_b32_e32 v18, v18, v20, vcc
; %bb.1362:                             ;   in Loop: Header=BB8_891 Depth=3
	s_or_b64 exec, exec, s[40:41]
	v_and_b32_e32 v11, 0xffff0000, v11
	v_and_b32_e32 v17, 0xffff0000, v17
	v_add_f32_e32 v17, v11, v17
	v_and_b32_e32 v11, 0x7f800000, v17
	v_cmp_ne_u32_e32 vcc, s87, v11
                                        ; implicit-def: $vgpr11
	s_and_saveexec_b64 s[40:41], vcc
	s_xor_b64 s[40:41], exec, s[40:41]
; %bb.1363:                             ;   in Loop: Header=BB8_891 Depth=3
	v_bfe_u32 v11, v17, 16, 1
	v_add3_u32 v11, v17, v11, s96
                                        ; implicit-def: $vgpr17
; %bb.1364:                             ;   in Loop: Header=BB8_891 Depth=3
	s_andn2_saveexec_b64 s[40:41], s[40:41]
; %bb.1365:                             ;   in Loop: Header=BB8_891 Depth=3
	v_or_b32_e32 v11, 0x10000, v17
	v_cmp_eq_u32_sdwa vcc, v17, v2 src0_sel:WORD_0 src1_sel:DWORD
	v_cndmask_b32_e32 v11, v11, v17, vcc
; %bb.1366:                             ;   in Loop: Header=BB8_891 Depth=3
	s_or_b64 exec, exec, s[40:41]
	v_lshrrev_b32_e32 v17, 16, v19
	v_and_or_b32 v23, v13, s97, v17
	v_lshrrev_b32_e32 v13, 16, v16
	v_and_or_b32 v22, v12, s97, v13
	v_lshrrev_b32_e32 v12, 16, v26
	v_and_or_b32 v24, v5, s97, v12
	v_lshrrev_b32_e32 v5, 16, v14
	v_and_or_b32 v25, v3, s97, v5
	v_lshrrev_b32_e32 v3, 16, v8
	v_and_or_b32 v9, v9, s97, v3
	v_lshrrev_b32_e32 v3, 16, v15
	v_and_or_b32 v8, v4, s97, v3
	v_lshrrev_b32_e32 v3, 16, v21
	v_and_or_b32 v10, v10, s97, v3
	v_lshrrev_b32_e32 v3, 16, v18
	v_and_or_b32 v11, v11, s97, v3
	global_store_dwordx4 v[6:7], v[22:25], off glc slc
	global_store_dwordx4 v[6:7], v[8:11], off offset:1024 glc slc
.LBB8_1367:                             ;   in Loop: Header=BB8_891 Depth=3
	s_or_b64 exec, exec, s[28:29]
	s_waitcnt vmcnt(0)
	v_lshlrev_b32_e32 v4, 11, v51
	v_cmp_ne_u32_e32 vcc, v50, v4
                                        ; implicit-def: $vgpr12
                                        ; implicit-def: $vgpr3
                                        ; implicit-def: $vgpr45
	s_and_saveexec_b64 s[90:91], vcc
	s_cbranch_execz .LBB8_1578
; %bb.1368:                             ;   in Loop: Header=BB8_891 Depth=3
	buffer_load_dword v3, off, s[0:3], s33 offset:272 ; 4-byte Folded Reload
	v_lshlrev_b32_e32 v1, 6, v1
	v_sub_u32_e32 v5, v50, v4
	s_mov_b64 s[94:95], 0
	s_waitcnt vmcnt(0)
	v_sub_u32_e32 v1, v3, v1
	v_ashrrev_i32_e32 v3, 31, v1
	v_lshrrev_b32_e32 v3, 26, v3
	v_add_u32_e32 v3, v1, v3
	v_ashrrev_i32_e32 v6, 6, v3
	v_and_b32_e32 v3, 0xffffffc0, v3
	v_sub_u32_e32 v1, v1, v3
	v_lshlrev_b32_e32 v3, 4, v1
	v_lshl_add_u32 v7, v6, 10, v3
	v_add_u32_e32 v3, v7, v4
	v_sub_u32_e32 v11, v5, v7
	v_ashrrev_i32_e32 v7, 31, v5
	v_lshrrev_b32_e32 v7, 22, v7
	v_add_u32_e32 v7, v5, v7
	v_and_b32_e32 v8, 0xfffffc00, v7
	v_sub_u32_e32 v9, v5, v8
	v_ashrrev_i32_e32 v10, 10, v7
	v_cmp_lt_i32_e64 s[28:29], 15, v9
	v_addc_co_u32_e64 v7, vcc, 0, v10, s[28:29]
	v_ashrrev_i32_e32 v5, 31, v3
	v_sub_u32_e32 v10, v7, v6
	v_add_co_u32_e32 v6, vcc, v3, v48
	v_addc_co_u32_e32 v7, vcc, v5, v49, vcc
	v_cmp_lt_i32_e32 vcc, 15, v11
	s_and_saveexec_b64 s[92:93], vcc
	s_cbranch_execz .LBB8_1509
; %bb.1369:                             ;   in Loop: Header=BB8_891 Depth=3
	s_trap 2
	ds_read_b64 v[14:15], v0
	buffer_load_dword v12, off, s[0:3], s33 offset:240 ; 4-byte Folded Reload
	buffer_load_dword v13, off, s[0:3], s33 offset:244 ; 4-byte Folded Reload
	s_mov_b64 s[34:35], 0
                                        ; implicit-def: $sgpr30_sgpr31
	s_waitcnt vmcnt(1)
	v_add_co_u32_e32 v12, vcc, v3, v12
	s_waitcnt vmcnt(0)
	v_addc_co_u32_e32 v13, vcc, v5, v13, vcc
	s_waitcnt lgkmcnt(0)
	v_add_co_u32_e32 v14, vcc, v14, v3
	ds_read_b32 v3, v0
	v_addc_co_u32_e32 v15, vcc, v15, v5, vcc
	s_waitcnt lgkmcnt(0)
	v_lshlrev_b32_e32 v16, 16, v3
	s_branch .LBB8_1371
.LBB8_1370:                             ;   in Loop: Header=BB8_1371 Depth=4
	s_or_b64 exec, exec, s[40:41]
	v_cmp_gt_i32_e32 vcc, 16, v11
	s_or_b64 s[94:95], vcc, s[94:95]
	s_andn2_b64 s[40:41], s[30:31], exec
	s_and_b64 s[44:45], s[34:35], exec
	s_or_b64 s[30:31], s[40:41], s[44:45]
	s_andn2_b64 exec, exec, s[94:95]
	s_cbranch_execz .LBB8_1508
.LBB8_1371:                             ;   Parent Loop BB8_47 Depth=1
                                        ;     Parent Loop BB8_888 Depth=2
                                        ;       Parent Loop BB8_891 Depth=3
                                        ; =>      This Loop Header: Depth=4
                                        ;           Child Loop BB8_1372 Depth 5
                                        ;           Child Loop BB8_1441 Depth 5
	s_lshr_b32 s44, s33, 6
	s_add_i32 s44, s44, 64
	s_mov_b64 s[36:37], -1
	s_mov_b64 s[38:39], 0
.LBB8_1372:                             ;   Parent Loop BB8_47 Depth=1
                                        ;     Parent Loop BB8_888 Depth=2
                                        ;       Parent Loop BB8_891 Depth=3
                                        ;         Parent Loop BB8_1371 Depth=4
                                        ; =>        This Inner Loop Header: Depth=5
	s_cmp_eq_u32 s38, 1
	s_cselect_b64 s[40:41], -1, 0
	v_cndmask_b32_e64 v22, v13, v15, s[40:41]
	v_cndmask_b32_e64 v21, v12, v14, s[40:41]
	global_load_dwordx4 v[17:20], v[21:22], off glc slc
	v_mov_b32_e32 v3, s44
	s_cmp_eq_u32 s38, 0
	s_mov_b64 s[38:39], 1
	s_mov_b32 s44, s71
	s_waitcnt vmcnt(0)
	buffer_store_dword v18, v3, s[0:3], 0 offen offset:4
	buffer_store_dword v17, v3, s[0:3], 0 offen
	buffer_store_dword v20, v3, s[0:3], 0 offen offset:12
	buffer_store_dword v19, v3, s[0:3], 0 offen offset:8
	v_add_co_u32_e32 v3, vcc, s55, v21
	v_addc_co_u32_e32 v5, vcc, 0, v22, vcc
	s_cselect_b64 vcc, -1, 0
	v_cndmask_b32_e32 v13, v13, v5, vcc
	v_cndmask_b32_e32 v12, v12, v3, vcc
	v_cndmask_b32_e64 v15, v15, v5, s[40:41]
	v_cndmask_b32_e64 v14, v14, v3, s[40:41]
	s_and_b64 vcc, exec, s[36:37]
	s_mov_b64 s[36:37], 0
	s_cbranch_vccnz .LBB8_1372
; %bb.1373:                             ;   in Loop: Header=BB8_1371 Depth=4
	s_and_saveexec_b64 s[40:41], s[34:35]
	s_cbranch_execz .LBB8_1439
; %bb.1374:                             ;   in Loop: Header=BB8_1371 Depth=4
	buffer_load_dword v19, off, s[0:3], s33 offset:96
	buffer_load_dword v17, off, s[0:3], s33 offset:100
	;; [unrolled: 1-line block ×4, first 2 shown]
	s_waitcnt vmcnt(3)
	v_lshlrev_b32_e32 v18, 16, v19
	v_mul_f32_e32 v20, v16, v18
	v_and_b32_e32 v18, 0x7f800000, v20
	v_cmp_ne_u32_e32 vcc, s87, v18
                                        ; implicit-def: $vgpr18
	s_and_saveexec_b64 s[44:45], vcc
	s_xor_b64 vcc, exec, s[44:45]
; %bb.1375:                             ;   in Loop: Header=BB8_1371 Depth=4
	v_bfe_u32 v18, v20, 16, 1
	v_add3_u32 v18, v20, v18, s96
                                        ; implicit-def: $vgpr20
; %bb.1376:                             ;   in Loop: Header=BB8_1371 Depth=4
	s_andn2_saveexec_b64 s[34:35], vcc
; %bb.1377:                             ;   in Loop: Header=BB8_1371 Depth=4
	v_or_b32_e32 v18, 0x10000, v20
	v_cmp_eq_u32_sdwa vcc, v20, v2 src0_sel:WORD_0 src1_sel:DWORD
	v_cndmask_b32_e32 v18, v18, v20, vcc
; %bb.1378:                             ;   in Loop: Header=BB8_1371 Depth=4
	s_or_b64 exec, exec, s[34:35]
	v_and_b32_e32 v19, 0xffff0000, v19
	v_mul_f32_e32 v19, v16, v19
	v_and_b32_e32 v20, 0x7f800000, v19
	v_cmp_ne_u32_e32 vcc, s87, v20
                                        ; implicit-def: $vgpr22
	s_and_saveexec_b64 s[44:45], vcc
	s_xor_b64 vcc, exec, s[44:45]
; %bb.1379:                             ;   in Loop: Header=BB8_1371 Depth=4
	v_bfe_u32 v20, v19, 16, 1
	v_add3_u32 v22, v19, v20, s96
                                        ; implicit-def: $vgpr19
; %bb.1380:                             ;   in Loop: Header=BB8_1371 Depth=4
	s_andn2_saveexec_b64 s[34:35], vcc
; %bb.1381:                             ;   in Loop: Header=BB8_1371 Depth=4
	v_or_b32_e32 v20, 0x10000, v19
	v_cmp_eq_u32_sdwa vcc, v19, v2 src0_sel:WORD_0 src1_sel:DWORD
	v_cndmask_b32_e32 v22, v20, v19, vcc
; %bb.1382:                             ;   in Loop: Header=BB8_1371 Depth=4
	s_or_b64 exec, exec, s[34:35]
	s_waitcnt vmcnt(2)
	v_lshlrev_b32_e32 v19, 16, v17
	v_mul_f32_e32 v19, v16, v19
	v_and_b32_e32 v20, 0x7f800000, v19
	v_cmp_ne_u32_e32 vcc, s87, v20
                                        ; implicit-def: $vgpr21
	s_and_saveexec_b64 s[44:45], vcc
	s_xor_b64 vcc, exec, s[44:45]
; %bb.1383:                             ;   in Loop: Header=BB8_1371 Depth=4
	v_bfe_u32 v20, v19, 16, 1
	v_add3_u32 v21, v19, v20, s96
                                        ; implicit-def: $vgpr19
; %bb.1384:                             ;   in Loop: Header=BB8_1371 Depth=4
	s_andn2_saveexec_b64 s[34:35], vcc
; %bb.1385:                             ;   in Loop: Header=BB8_1371 Depth=4
	v_or_b32_e32 v20, 0x10000, v19
	v_cmp_eq_u32_sdwa vcc, v19, v2 src0_sel:WORD_0 src1_sel:DWORD
	v_cndmask_b32_e32 v21, v20, v19, vcc
; %bb.1386:                             ;   in Loop: Header=BB8_1371 Depth=4
	s_or_b64 exec, exec, s[34:35]
	v_and_b32_e32 v17, 0xffff0000, v17
	v_mul_f32_e32 v17, v16, v17
	v_and_b32_e32 v19, 0x7f800000, v17
	v_cmp_ne_u32_e32 vcc, s87, v19
                                        ; implicit-def: $vgpr19
	s_and_saveexec_b64 s[44:45], vcc
	s_xor_b64 vcc, exec, s[44:45]
; %bb.1387:                             ;   in Loop: Header=BB8_1371 Depth=4
	v_bfe_u32 v19, v17, 16, 1
	v_add3_u32 v19, v17, v19, s96
                                        ; implicit-def: $vgpr17
; %bb.1388:                             ;   in Loop: Header=BB8_1371 Depth=4
	s_andn2_saveexec_b64 s[34:35], vcc
; %bb.1389:                             ;   in Loop: Header=BB8_1371 Depth=4
	v_or_b32_e32 v19, 0x10000, v17
	v_cmp_eq_u32_sdwa vcc, v17, v2 src0_sel:WORD_0 src1_sel:DWORD
	v_cndmask_b32_e32 v19, v19, v17, vcc
; %bb.1390:                             ;   in Loop: Header=BB8_1371 Depth=4
	s_or_b64 exec, exec, s[34:35]
	s_waitcnt vmcnt(1)
	v_lshlrev_b32_e32 v17, 16, v5
	v_mul_f32_e32 v17, v16, v17
	v_and_b32_e32 v20, 0x7f800000, v17
	v_cmp_ne_u32_e32 vcc, s87, v20
                                        ; implicit-def: $vgpr20
	s_and_saveexec_b64 s[44:45], vcc
	s_xor_b64 vcc, exec, s[44:45]
; %bb.1391:                             ;   in Loop: Header=BB8_1371 Depth=4
	v_bfe_u32 v20, v17, 16, 1
	v_add3_u32 v20, v17, v20, s96
                                        ; implicit-def: $vgpr17
; %bb.1392:                             ;   in Loop: Header=BB8_1371 Depth=4
	s_andn2_saveexec_b64 s[34:35], vcc
; %bb.1393:                             ;   in Loop: Header=BB8_1371 Depth=4
	v_or_b32_e32 v20, 0x10000, v17
	v_cmp_eq_u32_sdwa vcc, v17, v2 src0_sel:WORD_0 src1_sel:DWORD
	v_cndmask_b32_e32 v20, v20, v17, vcc
; %bb.1394:                             ;   in Loop: Header=BB8_1371 Depth=4
	s_or_b64 exec, exec, s[34:35]
	v_and_b32_e32 v5, 0xffff0000, v5
	v_mul_f32_e32 v17, v16, v5
	v_and_b32_e32 v5, 0x7f800000, v17
	v_cmp_ne_u32_e32 vcc, s87, v5
                                        ; implicit-def: $vgpr5
	s_and_saveexec_b64 s[44:45], vcc
	s_xor_b64 vcc, exec, s[44:45]
; %bb.1395:                             ;   in Loop: Header=BB8_1371 Depth=4
	v_bfe_u32 v5, v17, 16, 1
	v_add3_u32 v5, v17, v5, s96
                                        ; implicit-def: $vgpr17
; %bb.1396:                             ;   in Loop: Header=BB8_1371 Depth=4
	s_andn2_saveexec_b64 s[34:35], vcc
; %bb.1397:                             ;   in Loop: Header=BB8_1371 Depth=4
	v_or_b32_e32 v5, 0x10000, v17
	v_cmp_eq_u32_sdwa vcc, v17, v2 src0_sel:WORD_0 src1_sel:DWORD
	v_cndmask_b32_e32 v5, v5, v17, vcc
; %bb.1398:                             ;   in Loop: Header=BB8_1371 Depth=4
	s_or_b64 exec, exec, s[34:35]
	s_waitcnt vmcnt(0)
	v_lshlrev_b32_e32 v17, 16, v3
	v_mul_f32_e32 v23, v16, v17
	v_and_b32_e32 v17, 0x7f800000, v23
	v_cmp_ne_u32_e32 vcc, s87, v17
                                        ; implicit-def: $vgpr17
	s_and_saveexec_b64 s[44:45], vcc
	s_xor_b64 vcc, exec, s[44:45]
; %bb.1399:                             ;   in Loop: Header=BB8_1371 Depth=4
	v_bfe_u32 v17, v23, 16, 1
	v_add3_u32 v17, v23, v17, s96
                                        ; implicit-def: $vgpr23
; %bb.1400:                             ;   in Loop: Header=BB8_1371 Depth=4
	s_andn2_saveexec_b64 s[34:35], vcc
; %bb.1401:                             ;   in Loop: Header=BB8_1371 Depth=4
	v_or_b32_e32 v17, 0x10000, v23
	v_cmp_eq_u32_sdwa vcc, v23, v2 src0_sel:WORD_0 src1_sel:DWORD
	v_cndmask_b32_e32 v17, v17, v23, vcc
; %bb.1402:                             ;   in Loop: Header=BB8_1371 Depth=4
	s_or_b64 exec, exec, s[34:35]
	v_and_b32_e32 v3, 0xffff0000, v3
	v_mul_f32_e32 v23, v16, v3
	v_and_b32_e32 v3, 0x7f800000, v23
	v_cmp_ne_u32_e32 vcc, s87, v3
                                        ; implicit-def: $vgpr3
	s_and_saveexec_b64 s[44:45], vcc
	s_xor_b64 vcc, exec, s[44:45]
; %bb.1403:                             ;   in Loop: Header=BB8_1371 Depth=4
	v_bfe_u32 v3, v23, 16, 1
	v_add3_u32 v3, v23, v3, s96
                                        ; implicit-def: $vgpr23
; %bb.1404:                             ;   in Loop: Header=BB8_1371 Depth=4
	s_andn2_saveexec_b64 s[34:35], vcc
; %bb.1405:                             ;   in Loop: Header=BB8_1371 Depth=4
	v_or_b32_e32 v3, 0x10000, v23
	v_cmp_eq_u32_sdwa vcc, v23, v2 src0_sel:WORD_0 src1_sel:DWORD
	v_cndmask_b32_e32 v3, v3, v23, vcc
; %bb.1406:                             ;   in Loop: Header=BB8_1371 Depth=4
	s_or_b64 exec, exec, s[34:35]
	buffer_load_dword v26, off, s[0:3], s33 offset:112
	buffer_load_dword v25, off, s[0:3], s33 offset:116
	;; [unrolled: 1-line block ×4, first 2 shown]
	v_and_b32_e32 v18, 0xffff0000, v18
	s_waitcnt vmcnt(3)
	v_lshlrev_b32_e32 v27, 16, v26
	v_add_f32_e32 v27, v18, v27
	v_and_b32_e32 v18, 0x7f800000, v27
	v_cmp_ne_u32_e32 vcc, s87, v18
                                        ; implicit-def: $vgpr18
	s_and_saveexec_b64 s[44:45], vcc
	s_xor_b64 vcc, exec, s[44:45]
; %bb.1407:                             ;   in Loop: Header=BB8_1371 Depth=4
	v_bfe_u32 v18, v27, 16, 1
	v_add3_u32 v18, v27, v18, s96
                                        ; implicit-def: $vgpr27
; %bb.1408:                             ;   in Loop: Header=BB8_1371 Depth=4
	s_andn2_saveexec_b64 s[34:35], vcc
; %bb.1409:                             ;   in Loop: Header=BB8_1371 Depth=4
	v_or_b32_e32 v18, 0x10000, v27
	v_cmp_eq_u32_sdwa vcc, v27, v2 src0_sel:WORD_0 src1_sel:DWORD
	v_cndmask_b32_e32 v18, v18, v27, vcc
; %bb.1410:                             ;   in Loop: Header=BB8_1371 Depth=4
	s_or_b64 exec, exec, s[34:35]
	v_and_b32_e32 v22, 0xffff0000, v22
	v_and_b32_e32 v26, 0xffff0000, v26
	v_add_f32_e32 v26, v22, v26
	v_and_b32_e32 v22, 0x7f800000, v26
	v_cmp_ne_u32_e32 vcc, s87, v22
                                        ; implicit-def: $vgpr22
	s_and_saveexec_b64 s[44:45], vcc
	s_xor_b64 vcc, exec, s[44:45]
; %bb.1411:                             ;   in Loop: Header=BB8_1371 Depth=4
	v_bfe_u32 v22, v26, 16, 1
	v_add3_u32 v22, v26, v22, s96
                                        ; implicit-def: $vgpr26
; %bb.1412:                             ;   in Loop: Header=BB8_1371 Depth=4
	s_andn2_saveexec_b64 s[34:35], vcc
; %bb.1413:                             ;   in Loop: Header=BB8_1371 Depth=4
	v_or_b32_e32 v22, 0x10000, v26
	v_cmp_eq_u32_sdwa vcc, v26, v2 src0_sel:WORD_0 src1_sel:DWORD
	v_cndmask_b32_e32 v22, v22, v26, vcc
; %bb.1414:                             ;   in Loop: Header=BB8_1371 Depth=4
	s_or_b64 exec, exec, s[34:35]
	v_and_b32_e32 v21, 0xffff0000, v21
	s_waitcnt vmcnt(2)
	v_lshlrev_b32_e32 v26, 16, v25
	v_add_f32_e32 v26, v21, v26
	v_and_b32_e32 v21, 0x7f800000, v26
	v_cmp_ne_u32_e32 vcc, s87, v21
                                        ; implicit-def: $vgpr21
	s_and_saveexec_b64 s[44:45], vcc
	s_xor_b64 vcc, exec, s[44:45]
; %bb.1415:                             ;   in Loop: Header=BB8_1371 Depth=4
	v_bfe_u32 v21, v26, 16, 1
	v_add3_u32 v21, v26, v21, s96
                                        ; implicit-def: $vgpr26
; %bb.1416:                             ;   in Loop: Header=BB8_1371 Depth=4
	s_andn2_saveexec_b64 s[34:35], vcc
; %bb.1417:                             ;   in Loop: Header=BB8_1371 Depth=4
	v_or_b32_e32 v21, 0x10000, v26
	v_cmp_eq_u32_sdwa vcc, v26, v2 src0_sel:WORD_0 src1_sel:DWORD
	v_cndmask_b32_e32 v21, v21, v26, vcc
; %bb.1418:                             ;   in Loop: Header=BB8_1371 Depth=4
	s_or_b64 exec, exec, s[34:35]
	v_and_b32_e32 v25, 0xffff0000, v25
	v_and_b32_e32 v19, 0xffff0000, v19
	v_add_f32_e32 v25, v19, v25
	v_and_b32_e32 v19, 0x7f800000, v25
	v_cmp_ne_u32_e32 vcc, s87, v19
                                        ; implicit-def: $vgpr19
	s_and_saveexec_b64 s[44:45], vcc
	s_xor_b64 vcc, exec, s[44:45]
; %bb.1419:                             ;   in Loop: Header=BB8_1371 Depth=4
	v_bfe_u32 v19, v25, 16, 1
	v_add3_u32 v19, v25, v19, s96
                                        ; implicit-def: $vgpr25
; %bb.1420:                             ;   in Loop: Header=BB8_1371 Depth=4
	s_andn2_saveexec_b64 s[34:35], vcc
; %bb.1421:                             ;   in Loop: Header=BB8_1371 Depth=4
	v_or_b32_e32 v19, 0x10000, v25
	v_cmp_eq_u32_sdwa vcc, v25, v2 src0_sel:WORD_0 src1_sel:DWORD
	v_cndmask_b32_e32 v19, v19, v25, vcc
; %bb.1422:                             ;   in Loop: Header=BB8_1371 Depth=4
	s_or_b64 exec, exec, s[34:35]
	v_and_b32_e32 v20, 0xffff0000, v20
	s_waitcnt vmcnt(1)
	v_lshlrev_b32_e32 v25, 16, v24
	v_add_f32_e32 v25, v20, v25
	v_and_b32_e32 v20, 0x7f800000, v25
	v_cmp_ne_u32_e32 vcc, s87, v20
                                        ; implicit-def: $vgpr20
	s_and_saveexec_b64 s[44:45], vcc
	s_xor_b64 vcc, exec, s[44:45]
; %bb.1423:                             ;   in Loop: Header=BB8_1371 Depth=4
	v_bfe_u32 v20, v25, 16, 1
	v_add3_u32 v20, v25, v20, s96
                                        ; implicit-def: $vgpr25
; %bb.1424:                             ;   in Loop: Header=BB8_1371 Depth=4
	s_andn2_saveexec_b64 s[34:35], vcc
; %bb.1425:                             ;   in Loop: Header=BB8_1371 Depth=4
	v_or_b32_e32 v20, 0x10000, v25
	v_cmp_eq_u32_sdwa vcc, v25, v2 src0_sel:WORD_0 src1_sel:DWORD
	v_cndmask_b32_e32 v20, v20, v25, vcc
; %bb.1426:                             ;   in Loop: Header=BB8_1371 Depth=4
	s_or_b64 exec, exec, s[34:35]
	v_and_b32_e32 v24, 0xffff0000, v24
	v_and_b32_e32 v5, 0xffff0000, v5
	v_add_f32_e32 v24, v5, v24
	v_and_b32_e32 v5, 0x7f800000, v24
	v_cmp_ne_u32_e32 vcc, s87, v5
                                        ; implicit-def: $vgpr5
	s_and_saveexec_b64 s[44:45], vcc
	s_xor_b64 vcc, exec, s[44:45]
; %bb.1427:                             ;   in Loop: Header=BB8_1371 Depth=4
	v_bfe_u32 v5, v24, 16, 1
	v_add3_u32 v5, v24, v5, s96
                                        ; implicit-def: $vgpr24
; %bb.1428:                             ;   in Loop: Header=BB8_1371 Depth=4
	s_andn2_saveexec_b64 s[34:35], vcc
; %bb.1429:                             ;   in Loop: Header=BB8_1371 Depth=4
	v_or_b32_e32 v5, 0x10000, v24
	v_cmp_eq_u32_sdwa vcc, v24, v2 src0_sel:WORD_0 src1_sel:DWORD
	v_cndmask_b32_e32 v5, v5, v24, vcc
; %bb.1430:                             ;   in Loop: Header=BB8_1371 Depth=4
	s_or_b64 exec, exec, s[34:35]
	v_and_b32_e32 v17, 0xffff0000, v17
	s_waitcnt vmcnt(0)
	v_lshlrev_b32_e32 v24, 16, v23
	v_add_f32_e32 v24, v17, v24
	v_and_b32_e32 v17, 0x7f800000, v24
	v_cmp_ne_u32_e32 vcc, s87, v17
                                        ; implicit-def: $vgpr17
	s_and_saveexec_b64 s[44:45], vcc
	s_xor_b64 vcc, exec, s[44:45]
; %bb.1431:                             ;   in Loop: Header=BB8_1371 Depth=4
	v_bfe_u32 v17, v24, 16, 1
	v_add3_u32 v17, v24, v17, s96
                                        ; implicit-def: $vgpr24
; %bb.1432:                             ;   in Loop: Header=BB8_1371 Depth=4
	s_andn2_saveexec_b64 s[34:35], vcc
; %bb.1433:                             ;   in Loop: Header=BB8_1371 Depth=4
	v_or_b32_e32 v17, 0x10000, v24
	v_cmp_eq_u32_sdwa vcc, v24, v2 src0_sel:WORD_0 src1_sel:DWORD
	v_cndmask_b32_e32 v17, v17, v24, vcc
; %bb.1434:                             ;   in Loop: Header=BB8_1371 Depth=4
	s_or_b64 exec, exec, s[34:35]
	v_and_b32_e32 v23, 0xffff0000, v23
	v_and_b32_e32 v3, 0xffff0000, v3
	v_add_f32_e32 v23, v3, v23
	v_and_b32_e32 v3, 0x7f800000, v23
	v_cmp_ne_u32_e32 vcc, s87, v3
                                        ; implicit-def: $vgpr3
	s_and_saveexec_b64 s[44:45], vcc
	s_xor_b64 vcc, exec, s[44:45]
; %bb.1435:                             ;   in Loop: Header=BB8_1371 Depth=4
	v_bfe_u32 v3, v23, 16, 1
	v_add3_u32 v3, v23, v3, s96
                                        ; implicit-def: $vgpr23
; %bb.1436:                             ;   in Loop: Header=BB8_1371 Depth=4
	s_andn2_saveexec_b64 s[34:35], vcc
; %bb.1437:                             ;   in Loop: Header=BB8_1371 Depth=4
	v_or_b32_e32 v3, 0x10000, v23
	v_cmp_eq_u32_sdwa vcc, v23, v2 src0_sel:WORD_0 src1_sel:DWORD
	v_cndmask_b32_e32 v3, v3, v23, vcc
; %bb.1438:                             ;   in Loop: Header=BB8_1371 Depth=4
	s_or_b64 exec, exec, s[34:35]
	v_lshrrev_b32_e32 v21, 16, v21
	v_lshrrev_b32_e32 v20, 16, v20
	v_and_or_b32 v19, v19, s97, v21
	v_lshrrev_b32_e32 v18, 16, v18
	v_and_or_b32 v20, v5, s97, v20
	;; [unrolled: 2-line block ×3, first 2 shown]
	v_and_or_b32 v21, v3, s97, v5
	buffer_store_dword v19, off, s[0:3], s33 offset:100
	buffer_store_dword v18, off, s[0:3], s33 offset:96
	;; [unrolled: 1-line block ×4, first 2 shown]
	buffer_load_dword v3, off, s[0:3], s33 offset:136 ; 4-byte Folded Reload
	s_nop 0
	global_store_dwordx4 v[6:7], v[18:21], off glc slc
	s_waitcnt vmcnt(1)
	v_add_co_u32_e32 v6, vcc, v3, v6
	buffer_load_dword v3, off, s[0:3], s33 offset:140 ; 4-byte Folded Reload
	s_waitcnt vmcnt(0)
	v_addc_co_u32_e32 v7, vcc, v3, v7, vcc
.LBB8_1439:                             ;   in Loop: Header=BB8_1371 Depth=4
	s_or_b64 exec, exec, s[40:41]
	buffer_load_dword v3, off, s[0:3], s33 offset:180 ; 4-byte Folded Reload
	v_add_co_u32_e32 v12, vcc, v12, v54
	v_addc_co_u32_e32 v13, vcc, v13, v55, vcc
	v_add_co_u32_e32 v14, vcc, v14, v54
	v_addc_co_u32_e32 v15, vcc, v15, v55, vcc
	s_waitcnt vmcnt(0)
	v_sub_u32_e32 v11, v11, v3
	v_cmp_lt_i32_e64 s[34:35], 15, v11
	s_and_saveexec_b64 s[36:37], s[34:35]
	s_cbranch_execz .LBB8_1442
; %bb.1440:                             ;   in Loop: Header=BB8_1371 Depth=4
	s_lshr_b32 s44, s33, 6
	s_addk_i32 s44, 0x60
	s_mov_b64 s[48:49], 0
	s_mov_b64 s[38:39], -1
.LBB8_1441:                             ;   Parent Loop BB8_47 Depth=1
                                        ;     Parent Loop BB8_888 Depth=2
                                        ;       Parent Loop BB8_891 Depth=3
                                        ;         Parent Loop BB8_1371 Depth=4
                                        ; =>        This Inner Loop Header: Depth=5
	s_cmp_eq_u32 s48, 1
	s_cselect_b64 s[40:41], -1, 0
	v_cndmask_b32_e64 v22, v13, v15, s[40:41]
	v_cndmask_b32_e64 v21, v12, v14, s[40:41]
	global_load_dwordx4 v[17:20], v[21:22], off glc slc
	v_mov_b32_e32 v3, s44
	s_cmp_eq_u32 s48, 0
	s_mov_b64 s[48:49], 1
	s_mov_b32 s44, s70
	s_waitcnt vmcnt(0)
	buffer_store_dword v18, v3, s[0:3], 0 offen offset:4
	buffer_store_dword v17, v3, s[0:3], 0 offen
	buffer_store_dword v20, v3, s[0:3], 0 offen offset:12
	buffer_store_dword v19, v3, s[0:3], 0 offen offset:8
	v_add_co_u32_e32 v3, vcc, s55, v21
	v_addc_co_u32_e32 v5, vcc, 0, v22, vcc
	s_cselect_b64 vcc, -1, 0
	v_cndmask_b32_e32 v13, v13, v5, vcc
	v_cndmask_b32_e32 v12, v12, v3, vcc
	v_cndmask_b32_e64 v15, v15, v5, s[40:41]
	v_cndmask_b32_e64 v14, v14, v3, s[40:41]
	s_and_b64 vcc, exec, s[38:39]
	s_mov_b64 s[38:39], 0
	s_cbranch_vccnz .LBB8_1441
.LBB8_1442:                             ;   in Loop: Header=BB8_1371 Depth=4
	s_or_b64 exec, exec, s[36:37]
	buffer_load_dword v19, off, s[0:3], s33 offset:64
	buffer_load_dword v17, off, s[0:3], s33 offset:68
	;; [unrolled: 1-line block ×4, first 2 shown]
	s_waitcnt vmcnt(3)
	v_lshlrev_b32_e32 v18, 16, v19
	v_mul_f32_e32 v20, v16, v18
	v_and_b32_e32 v18, 0x7f800000, v20
	v_cmp_ne_u32_e32 vcc, s87, v18
                                        ; implicit-def: $vgpr18
	s_and_saveexec_b64 s[40:41], vcc
	s_xor_b64 s[40:41], exec, s[40:41]
; %bb.1443:                             ;   in Loop: Header=BB8_1371 Depth=4
	v_bfe_u32 v18, v20, 16, 1
	v_add3_u32 v18, v20, v18, s96
                                        ; implicit-def: $vgpr20
; %bb.1444:                             ;   in Loop: Header=BB8_1371 Depth=4
	s_andn2_saveexec_b64 s[40:41], s[40:41]
; %bb.1445:                             ;   in Loop: Header=BB8_1371 Depth=4
	v_or_b32_e32 v18, 0x10000, v20
	v_cmp_eq_u32_sdwa vcc, v20, v2 src0_sel:WORD_0 src1_sel:DWORD
	v_cndmask_b32_e32 v18, v18, v20, vcc
; %bb.1446:                             ;   in Loop: Header=BB8_1371 Depth=4
	s_or_b64 exec, exec, s[40:41]
	v_and_b32_e32 v19, 0xffff0000, v19
	v_mul_f32_e32 v19, v16, v19
	v_and_b32_e32 v20, 0x7f800000, v19
	v_cmp_ne_u32_e32 vcc, s87, v20
                                        ; implicit-def: $vgpr22
	s_and_saveexec_b64 s[40:41], vcc
	s_xor_b64 s[40:41], exec, s[40:41]
; %bb.1447:                             ;   in Loop: Header=BB8_1371 Depth=4
	v_bfe_u32 v20, v19, 16, 1
	v_add3_u32 v22, v19, v20, s96
                                        ; implicit-def: $vgpr19
; %bb.1448:                             ;   in Loop: Header=BB8_1371 Depth=4
	s_andn2_saveexec_b64 s[40:41], s[40:41]
; %bb.1449:                             ;   in Loop: Header=BB8_1371 Depth=4
	v_or_b32_e32 v20, 0x10000, v19
	v_cmp_eq_u32_sdwa vcc, v19, v2 src0_sel:WORD_0 src1_sel:DWORD
	v_cndmask_b32_e32 v22, v20, v19, vcc
; %bb.1450:                             ;   in Loop: Header=BB8_1371 Depth=4
	s_or_b64 exec, exec, s[40:41]
	s_waitcnt vmcnt(2)
	v_lshlrev_b32_e32 v19, 16, v17
	v_mul_f32_e32 v19, v16, v19
	v_and_b32_e32 v20, 0x7f800000, v19
	v_cmp_ne_u32_e32 vcc, s87, v20
                                        ; implicit-def: $vgpr21
	s_and_saveexec_b64 s[40:41], vcc
	s_xor_b64 s[40:41], exec, s[40:41]
; %bb.1451:                             ;   in Loop: Header=BB8_1371 Depth=4
	v_bfe_u32 v20, v19, 16, 1
	v_add3_u32 v21, v19, v20, s96
                                        ; implicit-def: $vgpr19
; %bb.1452:                             ;   in Loop: Header=BB8_1371 Depth=4
	s_andn2_saveexec_b64 s[40:41], s[40:41]
; %bb.1453:                             ;   in Loop: Header=BB8_1371 Depth=4
	v_or_b32_e32 v20, 0x10000, v19
	v_cmp_eq_u32_sdwa vcc, v19, v2 src0_sel:WORD_0 src1_sel:DWORD
	v_cndmask_b32_e32 v21, v20, v19, vcc
; %bb.1454:                             ;   in Loop: Header=BB8_1371 Depth=4
	s_or_b64 exec, exec, s[40:41]
	v_and_b32_e32 v17, 0xffff0000, v17
	v_mul_f32_e32 v17, v16, v17
	v_and_b32_e32 v19, 0x7f800000, v17
	v_cmp_ne_u32_e32 vcc, s87, v19
                                        ; implicit-def: $vgpr19
	s_and_saveexec_b64 s[40:41], vcc
	s_xor_b64 s[40:41], exec, s[40:41]
; %bb.1455:                             ;   in Loop: Header=BB8_1371 Depth=4
	v_bfe_u32 v19, v17, 16, 1
	v_add3_u32 v19, v17, v19, s96
                                        ; implicit-def: $vgpr17
; %bb.1456:                             ;   in Loop: Header=BB8_1371 Depth=4
	s_andn2_saveexec_b64 s[40:41], s[40:41]
; %bb.1457:                             ;   in Loop: Header=BB8_1371 Depth=4
	v_or_b32_e32 v19, 0x10000, v17
	v_cmp_eq_u32_sdwa vcc, v17, v2 src0_sel:WORD_0 src1_sel:DWORD
	v_cndmask_b32_e32 v19, v19, v17, vcc
; %bb.1458:                             ;   in Loop: Header=BB8_1371 Depth=4
	s_or_b64 exec, exec, s[40:41]
	s_waitcnt vmcnt(1)
	v_lshlrev_b32_e32 v17, 16, v5
	v_mul_f32_e32 v17, v16, v17
	v_and_b32_e32 v20, 0x7f800000, v17
	v_cmp_ne_u32_e32 vcc, s87, v20
                                        ; implicit-def: $vgpr20
	s_and_saveexec_b64 s[40:41], vcc
	s_xor_b64 s[40:41], exec, s[40:41]
; %bb.1459:                             ;   in Loop: Header=BB8_1371 Depth=4
	v_bfe_u32 v20, v17, 16, 1
	v_add3_u32 v20, v17, v20, s96
                                        ; implicit-def: $vgpr17
; %bb.1460:                             ;   in Loop: Header=BB8_1371 Depth=4
	s_andn2_saveexec_b64 s[40:41], s[40:41]
; %bb.1461:                             ;   in Loop: Header=BB8_1371 Depth=4
	v_or_b32_e32 v20, 0x10000, v17
	v_cmp_eq_u32_sdwa vcc, v17, v2 src0_sel:WORD_0 src1_sel:DWORD
	v_cndmask_b32_e32 v20, v20, v17, vcc
; %bb.1462:                             ;   in Loop: Header=BB8_1371 Depth=4
	s_or_b64 exec, exec, s[40:41]
	v_and_b32_e32 v5, 0xffff0000, v5
	v_mul_f32_e32 v17, v16, v5
	v_and_b32_e32 v5, 0x7f800000, v17
	v_cmp_ne_u32_e32 vcc, s87, v5
                                        ; implicit-def: $vgpr5
	s_and_saveexec_b64 s[40:41], vcc
	s_xor_b64 s[40:41], exec, s[40:41]
; %bb.1463:                             ;   in Loop: Header=BB8_1371 Depth=4
	v_bfe_u32 v5, v17, 16, 1
	v_add3_u32 v5, v17, v5, s96
                                        ; implicit-def: $vgpr17
; %bb.1464:                             ;   in Loop: Header=BB8_1371 Depth=4
	s_andn2_saveexec_b64 s[40:41], s[40:41]
; %bb.1465:                             ;   in Loop: Header=BB8_1371 Depth=4
	v_or_b32_e32 v5, 0x10000, v17
	v_cmp_eq_u32_sdwa vcc, v17, v2 src0_sel:WORD_0 src1_sel:DWORD
	v_cndmask_b32_e32 v5, v5, v17, vcc
; %bb.1466:                             ;   in Loop: Header=BB8_1371 Depth=4
	s_or_b64 exec, exec, s[40:41]
	s_waitcnt vmcnt(0)
	v_lshlrev_b32_e32 v17, 16, v3
	v_mul_f32_e32 v23, v16, v17
	v_and_b32_e32 v17, 0x7f800000, v23
	v_cmp_ne_u32_e32 vcc, s87, v17
                                        ; implicit-def: $vgpr17
	s_and_saveexec_b64 s[40:41], vcc
	s_xor_b64 s[40:41], exec, s[40:41]
; %bb.1467:                             ;   in Loop: Header=BB8_1371 Depth=4
	v_bfe_u32 v17, v23, 16, 1
	v_add3_u32 v17, v23, v17, s96
                                        ; implicit-def: $vgpr23
; %bb.1468:                             ;   in Loop: Header=BB8_1371 Depth=4
	s_andn2_saveexec_b64 s[40:41], s[40:41]
; %bb.1469:                             ;   in Loop: Header=BB8_1371 Depth=4
	v_or_b32_e32 v17, 0x10000, v23
	v_cmp_eq_u32_sdwa vcc, v23, v2 src0_sel:WORD_0 src1_sel:DWORD
	v_cndmask_b32_e32 v17, v17, v23, vcc
; %bb.1470:                             ;   in Loop: Header=BB8_1371 Depth=4
	s_or_b64 exec, exec, s[40:41]
	v_and_b32_e32 v3, 0xffff0000, v3
	v_mul_f32_e32 v23, v16, v3
	v_and_b32_e32 v3, 0x7f800000, v23
	v_cmp_ne_u32_e32 vcc, s87, v3
                                        ; implicit-def: $vgpr3
	s_and_saveexec_b64 s[40:41], vcc
	s_xor_b64 s[40:41], exec, s[40:41]
; %bb.1471:                             ;   in Loop: Header=BB8_1371 Depth=4
	v_bfe_u32 v3, v23, 16, 1
	v_add3_u32 v3, v23, v3, s96
                                        ; implicit-def: $vgpr23
; %bb.1472:                             ;   in Loop: Header=BB8_1371 Depth=4
	s_andn2_saveexec_b64 s[40:41], s[40:41]
; %bb.1473:                             ;   in Loop: Header=BB8_1371 Depth=4
	v_or_b32_e32 v3, 0x10000, v23
	v_cmp_eq_u32_sdwa vcc, v23, v2 src0_sel:WORD_0 src1_sel:DWORD
	v_cndmask_b32_e32 v3, v3, v23, vcc
; %bb.1474:                             ;   in Loop: Header=BB8_1371 Depth=4
	s_or_b64 exec, exec, s[40:41]
	buffer_load_dword v26, off, s[0:3], s33 offset:80
	buffer_load_dword v25, off, s[0:3], s33 offset:84
	;; [unrolled: 1-line block ×4, first 2 shown]
	v_and_b32_e32 v18, 0xffff0000, v18
	s_waitcnt vmcnt(3)
	v_lshlrev_b32_e32 v27, 16, v26
	v_add_f32_e32 v27, v18, v27
	v_and_b32_e32 v18, 0x7f800000, v27
	v_cmp_ne_u32_e32 vcc, s87, v18
                                        ; implicit-def: $vgpr18
	s_and_saveexec_b64 s[40:41], vcc
	s_xor_b64 s[40:41], exec, s[40:41]
; %bb.1475:                             ;   in Loop: Header=BB8_1371 Depth=4
	v_bfe_u32 v18, v27, 16, 1
	v_add3_u32 v18, v27, v18, s96
                                        ; implicit-def: $vgpr27
; %bb.1476:                             ;   in Loop: Header=BB8_1371 Depth=4
	s_andn2_saveexec_b64 s[40:41], s[40:41]
; %bb.1477:                             ;   in Loop: Header=BB8_1371 Depth=4
	v_or_b32_e32 v18, 0x10000, v27
	v_cmp_eq_u32_sdwa vcc, v27, v2 src0_sel:WORD_0 src1_sel:DWORD
	v_cndmask_b32_e32 v18, v18, v27, vcc
; %bb.1478:                             ;   in Loop: Header=BB8_1371 Depth=4
	s_or_b64 exec, exec, s[40:41]
	v_and_b32_e32 v22, 0xffff0000, v22
	v_and_b32_e32 v26, 0xffff0000, v26
	v_add_f32_e32 v26, v22, v26
	v_and_b32_e32 v22, 0x7f800000, v26
	v_cmp_ne_u32_e32 vcc, s87, v22
                                        ; implicit-def: $vgpr22
	s_and_saveexec_b64 s[40:41], vcc
	s_xor_b64 s[40:41], exec, s[40:41]
; %bb.1479:                             ;   in Loop: Header=BB8_1371 Depth=4
	v_bfe_u32 v22, v26, 16, 1
	v_add3_u32 v22, v26, v22, s96
                                        ; implicit-def: $vgpr26
; %bb.1480:                             ;   in Loop: Header=BB8_1371 Depth=4
	s_andn2_saveexec_b64 s[40:41], s[40:41]
; %bb.1481:                             ;   in Loop: Header=BB8_1371 Depth=4
	v_or_b32_e32 v22, 0x10000, v26
	v_cmp_eq_u32_sdwa vcc, v26, v2 src0_sel:WORD_0 src1_sel:DWORD
	v_cndmask_b32_e32 v22, v22, v26, vcc
; %bb.1482:                             ;   in Loop: Header=BB8_1371 Depth=4
	s_or_b64 exec, exec, s[40:41]
	v_and_b32_e32 v21, 0xffff0000, v21
	s_waitcnt vmcnt(2)
	v_lshlrev_b32_e32 v26, 16, v25
	v_add_f32_e32 v26, v21, v26
	v_and_b32_e32 v21, 0x7f800000, v26
	v_cmp_ne_u32_e32 vcc, s87, v21
                                        ; implicit-def: $vgpr21
	s_and_saveexec_b64 s[40:41], vcc
	s_xor_b64 s[40:41], exec, s[40:41]
; %bb.1483:                             ;   in Loop: Header=BB8_1371 Depth=4
	v_bfe_u32 v21, v26, 16, 1
	v_add3_u32 v21, v26, v21, s96
                                        ; implicit-def: $vgpr26
; %bb.1484:                             ;   in Loop: Header=BB8_1371 Depth=4
	s_andn2_saveexec_b64 s[40:41], s[40:41]
; %bb.1485:                             ;   in Loop: Header=BB8_1371 Depth=4
	v_or_b32_e32 v21, 0x10000, v26
	v_cmp_eq_u32_sdwa vcc, v26, v2 src0_sel:WORD_0 src1_sel:DWORD
	v_cndmask_b32_e32 v21, v21, v26, vcc
; %bb.1486:                             ;   in Loop: Header=BB8_1371 Depth=4
	s_or_b64 exec, exec, s[40:41]
	v_and_b32_e32 v25, 0xffff0000, v25
	v_and_b32_e32 v19, 0xffff0000, v19
	v_add_f32_e32 v25, v19, v25
	v_and_b32_e32 v19, 0x7f800000, v25
	v_cmp_ne_u32_e32 vcc, s87, v19
                                        ; implicit-def: $vgpr19
	s_and_saveexec_b64 s[40:41], vcc
	s_xor_b64 s[40:41], exec, s[40:41]
; %bb.1487:                             ;   in Loop: Header=BB8_1371 Depth=4
	v_bfe_u32 v19, v25, 16, 1
	v_add3_u32 v19, v25, v19, s96
                                        ; implicit-def: $vgpr25
; %bb.1488:                             ;   in Loop: Header=BB8_1371 Depth=4
	s_andn2_saveexec_b64 s[40:41], s[40:41]
; %bb.1489:                             ;   in Loop: Header=BB8_1371 Depth=4
	v_or_b32_e32 v19, 0x10000, v25
	v_cmp_eq_u32_sdwa vcc, v25, v2 src0_sel:WORD_0 src1_sel:DWORD
	v_cndmask_b32_e32 v19, v19, v25, vcc
; %bb.1490:                             ;   in Loop: Header=BB8_1371 Depth=4
	s_or_b64 exec, exec, s[40:41]
	v_and_b32_e32 v20, 0xffff0000, v20
	s_waitcnt vmcnt(1)
	v_lshlrev_b32_e32 v25, 16, v24
	v_add_f32_e32 v25, v20, v25
	v_and_b32_e32 v20, 0x7f800000, v25
	v_cmp_ne_u32_e32 vcc, s87, v20
                                        ; implicit-def: $vgpr20
	s_and_saveexec_b64 s[40:41], vcc
	s_xor_b64 s[40:41], exec, s[40:41]
; %bb.1491:                             ;   in Loop: Header=BB8_1371 Depth=4
	v_bfe_u32 v20, v25, 16, 1
	v_add3_u32 v20, v25, v20, s96
                                        ; implicit-def: $vgpr25
; %bb.1492:                             ;   in Loop: Header=BB8_1371 Depth=4
	s_andn2_saveexec_b64 s[40:41], s[40:41]
; %bb.1493:                             ;   in Loop: Header=BB8_1371 Depth=4
	v_or_b32_e32 v20, 0x10000, v25
	v_cmp_eq_u32_sdwa vcc, v25, v2 src0_sel:WORD_0 src1_sel:DWORD
	v_cndmask_b32_e32 v20, v20, v25, vcc
; %bb.1494:                             ;   in Loop: Header=BB8_1371 Depth=4
	s_or_b64 exec, exec, s[40:41]
	v_and_b32_e32 v24, 0xffff0000, v24
	v_and_b32_e32 v5, 0xffff0000, v5
	v_add_f32_e32 v24, v5, v24
	v_and_b32_e32 v5, 0x7f800000, v24
	v_cmp_ne_u32_e32 vcc, s87, v5
                                        ; implicit-def: $vgpr5
	s_and_saveexec_b64 s[40:41], vcc
	s_xor_b64 s[40:41], exec, s[40:41]
; %bb.1495:                             ;   in Loop: Header=BB8_1371 Depth=4
	v_bfe_u32 v5, v24, 16, 1
	v_add3_u32 v5, v24, v5, s96
                                        ; implicit-def: $vgpr24
; %bb.1496:                             ;   in Loop: Header=BB8_1371 Depth=4
	s_andn2_saveexec_b64 s[40:41], s[40:41]
; %bb.1497:                             ;   in Loop: Header=BB8_1371 Depth=4
	v_or_b32_e32 v5, 0x10000, v24
	v_cmp_eq_u32_sdwa vcc, v24, v2 src0_sel:WORD_0 src1_sel:DWORD
	v_cndmask_b32_e32 v5, v5, v24, vcc
; %bb.1498:                             ;   in Loop: Header=BB8_1371 Depth=4
	s_or_b64 exec, exec, s[40:41]
	v_and_b32_e32 v17, 0xffff0000, v17
	s_waitcnt vmcnt(0)
	v_lshlrev_b32_e32 v24, 16, v23
	v_add_f32_e32 v24, v17, v24
	v_and_b32_e32 v17, 0x7f800000, v24
	v_cmp_ne_u32_e32 vcc, s87, v17
                                        ; implicit-def: $vgpr17
	s_and_saveexec_b64 s[40:41], vcc
	s_xor_b64 s[40:41], exec, s[40:41]
; %bb.1499:                             ;   in Loop: Header=BB8_1371 Depth=4
	v_bfe_u32 v17, v24, 16, 1
	v_add3_u32 v17, v24, v17, s96
                                        ; implicit-def: $vgpr24
; %bb.1500:                             ;   in Loop: Header=BB8_1371 Depth=4
	s_andn2_saveexec_b64 s[40:41], s[40:41]
; %bb.1501:                             ;   in Loop: Header=BB8_1371 Depth=4
	v_or_b32_e32 v17, 0x10000, v24
	v_cmp_eq_u32_sdwa vcc, v24, v2 src0_sel:WORD_0 src1_sel:DWORD
	v_cndmask_b32_e32 v17, v17, v24, vcc
; %bb.1502:                             ;   in Loop: Header=BB8_1371 Depth=4
	s_or_b64 exec, exec, s[40:41]
	v_and_b32_e32 v23, 0xffff0000, v23
	v_and_b32_e32 v3, 0xffff0000, v3
	v_add_f32_e32 v23, v3, v23
	v_and_b32_e32 v3, 0x7f800000, v23
	v_cmp_ne_u32_e32 vcc, s87, v3
                                        ; implicit-def: $vgpr3
	s_and_saveexec_b64 s[40:41], vcc
	s_xor_b64 s[40:41], exec, s[40:41]
; %bb.1503:                             ;   in Loop: Header=BB8_1371 Depth=4
	v_bfe_u32 v3, v23, 16, 1
	v_add3_u32 v3, v23, v3, s96
                                        ; implicit-def: $vgpr23
; %bb.1504:                             ;   in Loop: Header=BB8_1371 Depth=4
	s_andn2_saveexec_b64 s[40:41], s[40:41]
; %bb.1505:                             ;   in Loop: Header=BB8_1371 Depth=4
	v_or_b32_e32 v3, 0x10000, v23
	v_cmp_eq_u32_sdwa vcc, v23, v2 src0_sel:WORD_0 src1_sel:DWORD
	v_cndmask_b32_e32 v3, v3, v23, vcc
; %bb.1506:                             ;   in Loop: Header=BB8_1371 Depth=4
	s_or_b64 exec, exec, s[40:41]
	buffer_load_dword v23, off, s[0:3], s33 offset:128 ; 4-byte Folded Reload
	v_lshrrev_b32_e32 v20, 16, v20
	v_lshrrev_b32_e32 v21, 16, v21
	;; [unrolled: 1-line block ×3, first 2 shown]
	v_and_or_b32 v20, v5, s97, v20
	v_lshrrev_b32_e32 v5, 16, v17
	v_and_or_b32 v19, v19, s97, v21
	v_and_or_b32 v18, v22, s97, v18
	;; [unrolled: 1-line block ×3, first 2 shown]
	buffer_store_dword v19, off, s[0:3], s33 offset:68
	buffer_store_dword v18, off, s[0:3], s33 offset:64
	;; [unrolled: 1-line block ×4, first 2 shown]
	global_store_dwordx4 v[6:7], v[18:21], off glc slc
	v_add_co_u32_e32 v6, vcc, 0x400, v6
	v_addc_co_u32_e32 v7, vcc, 0, v7, vcc
	s_waitcnt vmcnt(5)
	v_sub_u32_e32 v10, v10, v23
	s_and_saveexec_b64 s[40:41], s[34:35]
	s_cbranch_execz .LBB8_1370
; %bb.1507:                             ;   in Loop: Header=BB8_1371 Depth=4
	buffer_load_dword v3, off, s[0:3], s33 offset:180 ; 4-byte Folded Reload
	v_add_co_u32_e32 v12, vcc, v12, v54
	v_addc_co_u32_e32 v13, vcc, v13, v55, vcc
	v_add_co_u32_e32 v14, vcc, v14, v54
	v_addc_co_u32_e32 v15, vcc, v15, v55, vcc
	;; [unrolled: 2-line block ×3, first 2 shown]
	s_waitcnt vmcnt(0)
	v_sub_u32_e32 v11, v11, v3
	buffer_load_dword v3, off, s[0:3], s33 offset:128 ; 4-byte Folded Reload
	s_waitcnt vmcnt(0)
	v_sub_u32_e32 v10, v10, v3
	s_branch .LBB8_1370
.LBB8_1508:                             ;   in Loop: Header=BB8_891 Depth=3
	s_or_b64 exec, exec, s[94:95]
	s_and_b64 s[94:95], s[30:31], exec
.LBB8_1509:                             ;   in Loop: Header=BB8_891 Depth=3
	s_or_b64 exec, exec, s[92:93]
	s_and_saveexec_b64 s[40:41], s[94:95]
	s_cbranch_execz .LBB8_1575
; %bb.1510:                             ;   in Loop: Header=BB8_891 Depth=3
	s_trap 2
	buffer_load_dword v13, off, s[0:3], s33 offset:96
	buffer_load_dword v11, off, s[0:3], s33 offset:100
	;; [unrolled: 1-line block ×4, first 2 shown]
	ds_read_b32 v12, v0
	s_waitcnt lgkmcnt(0)
	v_lshlrev_b32_e32 v17, 16, v12
	s_waitcnt vmcnt(3)
	v_lshlrev_b32_e32 v12, 16, v13
	v_mul_f32_e32 v14, v17, v12
	v_and_b32_e32 v12, 0x7f800000, v14
	v_cmp_ne_u32_e32 vcc, s87, v12
                                        ; implicit-def: $vgpr12
	s_and_saveexec_b64 s[44:45], vcc
	s_xor_b64 s[92:93], exec, s[44:45]
; %bb.1511:                             ;   in Loop: Header=BB8_891 Depth=3
	v_bfe_u32 v12, v14, 16, 1
	v_add3_u32 v12, v14, v12, s96
                                        ; implicit-def: $vgpr14
; %bb.1512:                             ;   in Loop: Header=BB8_891 Depth=3
	s_andn2_saveexec_b64 s[92:93], s[92:93]
; %bb.1513:                             ;   in Loop: Header=BB8_891 Depth=3
	v_or_b32_e32 v12, 0x10000, v14
	v_cmp_eq_u32_sdwa vcc, v14, v2 src0_sel:WORD_0 src1_sel:DWORD
	v_cndmask_b32_e32 v12, v12, v14, vcc
; %bb.1514:                             ;   in Loop: Header=BB8_891 Depth=3
	s_or_b64 exec, exec, s[92:93]
	v_and_b32_e32 v13, 0xffff0000, v13
	v_mul_f32_e32 v13, v17, v13
	v_and_b32_e32 v14, 0x7f800000, v13
	v_cmp_ne_u32_e32 vcc, s87, v14
                                        ; implicit-def: $vgpr16
	s_and_saveexec_b64 s[44:45], vcc
	s_xor_b64 s[92:93], exec, s[44:45]
; %bb.1515:                             ;   in Loop: Header=BB8_891 Depth=3
	v_bfe_u32 v14, v13, 16, 1
	v_add3_u32 v16, v13, v14, s96
                                        ; implicit-def: $vgpr13
; %bb.1516:                             ;   in Loop: Header=BB8_891 Depth=3
	s_andn2_saveexec_b64 s[92:93], s[92:93]
; %bb.1517:                             ;   in Loop: Header=BB8_891 Depth=3
	v_or_b32_e32 v14, 0x10000, v13
	v_cmp_eq_u32_sdwa vcc, v13, v2 src0_sel:WORD_0 src1_sel:DWORD
	v_cndmask_b32_e32 v16, v14, v13, vcc
; %bb.1518:                             ;   in Loop: Header=BB8_891 Depth=3
	s_or_b64 exec, exec, s[92:93]
	s_waitcnt vmcnt(2)
	v_lshlrev_b32_e32 v13, 16, v11
	v_mul_f32_e32 v13, v17, v13
	v_and_b32_e32 v14, 0x7f800000, v13
	v_cmp_ne_u32_e32 vcc, s87, v14
                                        ; implicit-def: $vgpr15
	s_and_saveexec_b64 s[44:45], vcc
	s_xor_b64 s[92:93], exec, s[44:45]
; %bb.1519:                             ;   in Loop: Header=BB8_891 Depth=3
	v_bfe_u32 v14, v13, 16, 1
	v_add3_u32 v15, v13, v14, s96
                                        ; implicit-def: $vgpr13
; %bb.1520:                             ;   in Loop: Header=BB8_891 Depth=3
	s_andn2_saveexec_b64 s[92:93], s[92:93]
; %bb.1521:                             ;   in Loop: Header=BB8_891 Depth=3
	v_or_b32_e32 v14, 0x10000, v13
	v_cmp_eq_u32_sdwa vcc, v13, v2 src0_sel:WORD_0 src1_sel:DWORD
	v_cndmask_b32_e32 v15, v14, v13, vcc
; %bb.1522:                             ;   in Loop: Header=BB8_891 Depth=3
	s_or_b64 exec, exec, s[92:93]
	v_and_b32_e32 v11, 0xffff0000, v11
	v_mul_f32_e32 v11, v17, v11
	v_and_b32_e32 v13, 0x7f800000, v11
	v_cmp_ne_u32_e32 vcc, s87, v13
                                        ; implicit-def: $vgpr13
	s_and_saveexec_b64 s[44:45], vcc
	s_xor_b64 s[92:93], exec, s[44:45]
; %bb.1523:                             ;   in Loop: Header=BB8_891 Depth=3
	v_bfe_u32 v13, v11, 16, 1
	v_add3_u32 v13, v11, v13, s96
                                        ; implicit-def: $vgpr11
; %bb.1524:                             ;   in Loop: Header=BB8_891 Depth=3
	s_andn2_saveexec_b64 s[92:93], s[92:93]
; %bb.1525:                             ;   in Loop: Header=BB8_891 Depth=3
	v_or_b32_e32 v13, 0x10000, v11
	v_cmp_eq_u32_sdwa vcc, v11, v2 src0_sel:WORD_0 src1_sel:DWORD
	v_cndmask_b32_e32 v13, v13, v11, vcc
; %bb.1526:                             ;   in Loop: Header=BB8_891 Depth=3
	s_or_b64 exec, exec, s[92:93]
	s_waitcnt vmcnt(1)
	v_lshlrev_b32_e32 v11, 16, v5
	v_mul_f32_e32 v11, v17, v11
	v_and_b32_e32 v14, 0x7f800000, v11
	v_cmp_ne_u32_e32 vcc, s87, v14
                                        ; implicit-def: $vgpr14
	s_and_saveexec_b64 s[44:45], vcc
	s_xor_b64 s[92:93], exec, s[44:45]
; %bb.1527:                             ;   in Loop: Header=BB8_891 Depth=3
	v_bfe_u32 v14, v11, 16, 1
	v_add3_u32 v14, v11, v14, s96
                                        ; implicit-def: $vgpr11
; %bb.1528:                             ;   in Loop: Header=BB8_891 Depth=3
	s_andn2_saveexec_b64 s[92:93], s[92:93]
; %bb.1529:                             ;   in Loop: Header=BB8_891 Depth=3
	v_or_b32_e32 v14, 0x10000, v11
	v_cmp_eq_u32_sdwa vcc, v11, v2 src0_sel:WORD_0 src1_sel:DWORD
	v_cndmask_b32_e32 v14, v14, v11, vcc
; %bb.1530:                             ;   in Loop: Header=BB8_891 Depth=3
	s_or_b64 exec, exec, s[92:93]
	v_and_b32_e32 v5, 0xffff0000, v5
	v_mul_f32_e32 v11, v17, v5
	v_and_b32_e32 v5, 0x7f800000, v11
	v_cmp_ne_u32_e32 vcc, s87, v5
                                        ; implicit-def: $vgpr5
	s_and_saveexec_b64 s[44:45], vcc
	s_xor_b64 s[92:93], exec, s[44:45]
; %bb.1531:                             ;   in Loop: Header=BB8_891 Depth=3
	v_bfe_u32 v5, v11, 16, 1
	v_add3_u32 v5, v11, v5, s96
                                        ; implicit-def: $vgpr11
; %bb.1532:                             ;   in Loop: Header=BB8_891 Depth=3
	s_andn2_saveexec_b64 s[92:93], s[92:93]
; %bb.1533:                             ;   in Loop: Header=BB8_891 Depth=3
	v_or_b32_e32 v5, 0x10000, v11
	v_cmp_eq_u32_sdwa vcc, v11, v2 src0_sel:WORD_0 src1_sel:DWORD
	v_cndmask_b32_e32 v5, v5, v11, vcc
; %bb.1534:                             ;   in Loop: Header=BB8_891 Depth=3
	s_or_b64 exec, exec, s[92:93]
	s_waitcnt vmcnt(0)
	v_lshlrev_b32_e32 v11, 16, v3
	v_mul_f32_e32 v18, v17, v11
	v_and_b32_e32 v11, 0x7f800000, v18
	v_cmp_ne_u32_e32 vcc, s87, v11
                                        ; implicit-def: $vgpr11
	s_and_saveexec_b64 s[44:45], vcc
	s_xor_b64 s[92:93], exec, s[44:45]
; %bb.1535:                             ;   in Loop: Header=BB8_891 Depth=3
	v_bfe_u32 v11, v18, 16, 1
	v_add3_u32 v11, v18, v11, s96
                                        ; implicit-def: $vgpr18
; %bb.1536:                             ;   in Loop: Header=BB8_891 Depth=3
	s_andn2_saveexec_b64 s[92:93], s[92:93]
; %bb.1537:                             ;   in Loop: Header=BB8_891 Depth=3
	v_or_b32_e32 v11, 0x10000, v18
	v_cmp_eq_u32_sdwa vcc, v18, v2 src0_sel:WORD_0 src1_sel:DWORD
	v_cndmask_b32_e32 v11, v11, v18, vcc
; %bb.1538:                             ;   in Loop: Header=BB8_891 Depth=3
	s_or_b64 exec, exec, s[92:93]
	v_and_b32_e32 v3, 0xffff0000, v3
	v_mul_f32_e32 v17, v17, v3
	v_and_b32_e32 v3, 0x7f800000, v17
	v_cmp_ne_u32_e32 vcc, s87, v3
                                        ; implicit-def: $vgpr3
	s_and_saveexec_b64 s[44:45], vcc
	s_xor_b64 s[92:93], exec, s[44:45]
; %bb.1539:                             ;   in Loop: Header=BB8_891 Depth=3
	v_bfe_u32 v3, v17, 16, 1
	v_add3_u32 v3, v17, v3, s96
                                        ; implicit-def: $vgpr17
; %bb.1540:                             ;   in Loop: Header=BB8_891 Depth=3
	s_andn2_saveexec_b64 s[92:93], s[92:93]
; %bb.1541:                             ;   in Loop: Header=BB8_891 Depth=3
	v_or_b32_e32 v3, 0x10000, v17
	v_cmp_eq_u32_sdwa vcc, v17, v2 src0_sel:WORD_0 src1_sel:DWORD
	v_cndmask_b32_e32 v3, v3, v17, vcc
; %bb.1542:                             ;   in Loop: Header=BB8_891 Depth=3
	s_or_b64 exec, exec, s[92:93]
	buffer_load_dword v20, off, s[0:3], s33 offset:112
	buffer_load_dword v19, off, s[0:3], s33 offset:116
	buffer_load_dword v18, off, s[0:3], s33 offset:120
	buffer_load_dword v17, off, s[0:3], s33 offset:124
	v_and_b32_e32 v12, 0xffff0000, v12
	s_waitcnt vmcnt(3)
	v_lshlrev_b32_e32 v21, 16, v20
	v_add_f32_e32 v21, v12, v21
	v_and_b32_e32 v12, 0x7f800000, v21
	v_cmp_ne_u32_e32 vcc, s87, v12
                                        ; implicit-def: $vgpr12
	s_and_saveexec_b64 s[44:45], vcc
	s_xor_b64 s[92:93], exec, s[44:45]
; %bb.1543:                             ;   in Loop: Header=BB8_891 Depth=3
	v_bfe_u32 v12, v21, 16, 1
	v_add3_u32 v12, v21, v12, s96
                                        ; implicit-def: $vgpr21
; %bb.1544:                             ;   in Loop: Header=BB8_891 Depth=3
	s_andn2_saveexec_b64 s[92:93], s[92:93]
; %bb.1545:                             ;   in Loop: Header=BB8_891 Depth=3
	v_or_b32_e32 v12, 0x10000, v21
	v_cmp_eq_u32_sdwa vcc, v21, v2 src0_sel:WORD_0 src1_sel:DWORD
	v_cndmask_b32_e32 v12, v12, v21, vcc
; %bb.1546:                             ;   in Loop: Header=BB8_891 Depth=3
	s_or_b64 exec, exec, s[92:93]
	v_and_b32_e32 v16, 0xffff0000, v16
	v_and_b32_e32 v20, 0xffff0000, v20
	v_add_f32_e32 v20, v16, v20
	v_and_b32_e32 v16, 0x7f800000, v20
	v_cmp_ne_u32_e32 vcc, s87, v16
                                        ; implicit-def: $vgpr16
	s_and_saveexec_b64 s[44:45], vcc
	s_xor_b64 s[92:93], exec, s[44:45]
; %bb.1547:                             ;   in Loop: Header=BB8_891 Depth=3
	v_bfe_u32 v16, v20, 16, 1
	v_add3_u32 v16, v20, v16, s96
                                        ; implicit-def: $vgpr20
; %bb.1548:                             ;   in Loop: Header=BB8_891 Depth=3
	s_andn2_saveexec_b64 s[92:93], s[92:93]
; %bb.1549:                             ;   in Loop: Header=BB8_891 Depth=3
	v_or_b32_e32 v16, 0x10000, v20
	v_cmp_eq_u32_sdwa vcc, v20, v2 src0_sel:WORD_0 src1_sel:DWORD
	v_cndmask_b32_e32 v16, v16, v20, vcc
; %bb.1550:                             ;   in Loop: Header=BB8_891 Depth=3
	s_or_b64 exec, exec, s[92:93]
	v_and_b32_e32 v15, 0xffff0000, v15
	s_waitcnt vmcnt(2)
	v_lshlrev_b32_e32 v20, 16, v19
	v_add_f32_e32 v20, v15, v20
	v_and_b32_e32 v15, 0x7f800000, v20
	v_cmp_ne_u32_e32 vcc, s87, v15
                                        ; implicit-def: $vgpr15
	s_and_saveexec_b64 s[44:45], vcc
	s_xor_b64 s[92:93], exec, s[44:45]
; %bb.1551:                             ;   in Loop: Header=BB8_891 Depth=3
	v_bfe_u32 v15, v20, 16, 1
	v_add3_u32 v15, v20, v15, s96
                                        ; implicit-def: $vgpr20
; %bb.1552:                             ;   in Loop: Header=BB8_891 Depth=3
	s_andn2_saveexec_b64 s[92:93], s[92:93]
; %bb.1553:                             ;   in Loop: Header=BB8_891 Depth=3
	v_or_b32_e32 v15, 0x10000, v20
	v_cmp_eq_u32_sdwa vcc, v20, v2 src0_sel:WORD_0 src1_sel:DWORD
	v_cndmask_b32_e32 v15, v15, v20, vcc
; %bb.1554:                             ;   in Loop: Header=BB8_891 Depth=3
	s_or_b64 exec, exec, s[92:93]
	v_and_b32_e32 v19, 0xffff0000, v19
	v_and_b32_e32 v13, 0xffff0000, v13
	v_add_f32_e32 v19, v13, v19
	v_and_b32_e32 v13, 0x7f800000, v19
	v_cmp_ne_u32_e32 vcc, s87, v13
                                        ; implicit-def: $vgpr13
	s_and_saveexec_b64 s[44:45], vcc
	s_xor_b64 s[92:93], exec, s[44:45]
; %bb.1555:                             ;   in Loop: Header=BB8_891 Depth=3
	v_bfe_u32 v13, v19, 16, 1
	v_add3_u32 v13, v19, v13, s96
                                        ; implicit-def: $vgpr19
; %bb.1556:                             ;   in Loop: Header=BB8_891 Depth=3
	s_andn2_saveexec_b64 s[92:93], s[92:93]
; %bb.1557:                             ;   in Loop: Header=BB8_891 Depth=3
	v_or_b32_e32 v13, 0x10000, v19
	v_cmp_eq_u32_sdwa vcc, v19, v2 src0_sel:WORD_0 src1_sel:DWORD
	v_cndmask_b32_e32 v13, v13, v19, vcc
; %bb.1558:                             ;   in Loop: Header=BB8_891 Depth=3
	s_or_b64 exec, exec, s[92:93]
	v_and_b32_e32 v14, 0xffff0000, v14
	s_waitcnt vmcnt(1)
	v_lshlrev_b32_e32 v19, 16, v18
	v_add_f32_e32 v19, v14, v19
	v_and_b32_e32 v14, 0x7f800000, v19
	v_cmp_ne_u32_e32 vcc, s87, v14
                                        ; implicit-def: $vgpr14
	s_and_saveexec_b64 s[44:45], vcc
	s_xor_b64 s[92:93], exec, s[44:45]
; %bb.1559:                             ;   in Loop: Header=BB8_891 Depth=3
	v_bfe_u32 v14, v19, 16, 1
	v_add3_u32 v14, v19, v14, s96
                                        ; implicit-def: $vgpr19
; %bb.1560:                             ;   in Loop: Header=BB8_891 Depth=3
	s_andn2_saveexec_b64 s[92:93], s[92:93]
; %bb.1561:                             ;   in Loop: Header=BB8_891 Depth=3
	v_or_b32_e32 v14, 0x10000, v19
	v_cmp_eq_u32_sdwa vcc, v19, v2 src0_sel:WORD_0 src1_sel:DWORD
	v_cndmask_b32_e32 v14, v14, v19, vcc
; %bb.1562:                             ;   in Loop: Header=BB8_891 Depth=3
	s_or_b64 exec, exec, s[92:93]
	v_and_b32_e32 v18, 0xffff0000, v18
	v_and_b32_e32 v5, 0xffff0000, v5
	v_add_f32_e32 v18, v5, v18
	v_and_b32_e32 v5, 0x7f800000, v18
	v_cmp_ne_u32_e32 vcc, s87, v5
                                        ; implicit-def: $vgpr5
	s_and_saveexec_b64 s[44:45], vcc
	s_xor_b64 s[92:93], exec, s[44:45]
; %bb.1563:                             ;   in Loop: Header=BB8_891 Depth=3
	v_bfe_u32 v5, v18, 16, 1
	v_add3_u32 v5, v18, v5, s96
                                        ; implicit-def: $vgpr18
; %bb.1564:                             ;   in Loop: Header=BB8_891 Depth=3
	s_andn2_saveexec_b64 s[92:93], s[92:93]
; %bb.1565:                             ;   in Loop: Header=BB8_891 Depth=3
	v_or_b32_e32 v5, 0x10000, v18
	v_cmp_eq_u32_sdwa vcc, v18, v2 src0_sel:WORD_0 src1_sel:DWORD
	v_cndmask_b32_e32 v5, v5, v18, vcc
; %bb.1566:                             ;   in Loop: Header=BB8_891 Depth=3
	s_or_b64 exec, exec, s[92:93]
	v_and_b32_e32 v11, 0xffff0000, v11
	s_waitcnt vmcnt(0)
	v_lshlrev_b32_e32 v18, 16, v17
	v_add_f32_e32 v18, v11, v18
	v_and_b32_e32 v11, 0x7f800000, v18
	v_cmp_ne_u32_e32 vcc, s87, v11
                                        ; implicit-def: $vgpr11
	s_and_saveexec_b64 s[44:45], vcc
	s_xor_b64 s[92:93], exec, s[44:45]
; %bb.1567:                             ;   in Loop: Header=BB8_891 Depth=3
	v_bfe_u32 v11, v18, 16, 1
	v_add3_u32 v11, v18, v11, s96
                                        ; implicit-def: $vgpr18
; %bb.1568:                             ;   in Loop: Header=BB8_891 Depth=3
	s_andn2_saveexec_b64 s[92:93], s[92:93]
; %bb.1569:                             ;   in Loop: Header=BB8_891 Depth=3
	v_or_b32_e32 v11, 0x10000, v18
	v_cmp_eq_u32_sdwa vcc, v18, v2 src0_sel:WORD_0 src1_sel:DWORD
	v_cndmask_b32_e32 v11, v11, v18, vcc
; %bb.1570:                             ;   in Loop: Header=BB8_891 Depth=3
	s_or_b64 exec, exec, s[92:93]
	v_and_b32_e32 v17, 0xffff0000, v17
	v_and_b32_e32 v3, 0xffff0000, v3
	v_add_f32_e32 v17, v3, v17
	v_and_b32_e32 v3, 0x7f800000, v17
	v_cmp_ne_u32_e32 vcc, s87, v3
                                        ; implicit-def: $vgpr3
	s_and_saveexec_b64 s[44:45], vcc
	s_xor_b64 s[92:93], exec, s[44:45]
; %bb.1571:                             ;   in Loop: Header=BB8_891 Depth=3
	v_bfe_u32 v3, v17, 16, 1
	v_add3_u32 v3, v17, v3, s96
                                        ; implicit-def: $vgpr17
; %bb.1572:                             ;   in Loop: Header=BB8_891 Depth=3
	s_andn2_saveexec_b64 s[92:93], s[92:93]
; %bb.1573:                             ;   in Loop: Header=BB8_891 Depth=3
	v_or_b32_e32 v3, 0x10000, v17
	v_cmp_eq_u32_sdwa vcc, v17, v2 src0_sel:WORD_0 src1_sel:DWORD
	v_cndmask_b32_e32 v3, v3, v17, vcc
; %bb.1574:                             ;   in Loop: Header=BB8_891 Depth=3
	s_or_b64 exec, exec, s[92:93]
	v_lshrrev_b32_e32 v14, 16, v14
	v_lshrrev_b32_e32 v15, 16, v15
	v_lshrrev_b32_e32 v12, 16, v12
	v_and_or_b32 v14, v5, s97, v14
	v_lshrrev_b32_e32 v5, 16, v11
	v_and_or_b32 v13, v13, s97, v15
	v_and_or_b32 v12, v16, s97, v12
	;; [unrolled: 1-line block ×3, first 2 shown]
	global_store_dwordx4 v[6:7], v[12:15], off glc slc
.LBB8_1575:                             ;   in Loop: Header=BB8_891 Depth=3
	s_or_b64 exec, exec, s[40:41]
	v_and_b32_e32 v5, 14, v50
	v_cndmask_b32_e64 v50, v9, v5, s[28:29]
	v_cmp_ne_u32_e32 vcc, 0, v50
	s_mov_b64 s[92:93], s[88:89]
                                        ; implicit-def: $vgpr12
                                        ; implicit-def: $vgpr3
                                        ; implicit-def: $vgpr45
	s_and_saveexec_b64 s[40:41], vcc
	s_cbranch_execz .LBB8_1577
; %bb.1576:                             ;   in Loop: Header=BB8_891 Depth=3
	v_sub_u32_e32 v3, v9, v5
	v_cndmask_b32_e64 v3, 0, v3, s[28:29]
	v_add3_u32 v12, v8, v4, v3
	buffer_load_dword v3, off, s[0:3], s33 offset:128 ; 4-byte Folded Reload
	v_cmp_lt_i32_e32 vcc, 0, v10
	s_or_b64 s[92:93], s[88:89], exec
	s_waitcnt vmcnt(0)
	v_cndmask_b32_e32 v3, 0, v3, vcc
	v_sub_u32_e32 v3, v3, v10
	v_lshl_add_u32 v3, v3, 6, v1
	v_ashrrev_i32_e32 v1, 31, v3
	v_lshrrev_b32_e32 v1, 26, v1
	v_add_u32_e32 v1, v3, v1
	v_and_b32_e32 v1, 0xffffffc0, v1
	v_sub_u32_e32 v45, v3, v1
.LBB8_1577:                             ;   in Loop: Header=BB8_891 Depth=3
	s_or_b64 exec, exec, s[40:41]
	s_andn2_b64 s[28:29], s[88:89], exec
	s_and_b64 s[40:41], s[92:93], exec
	s_or_b64 s[88:89], s[28:29], s[40:41]
.LBB8_1578:                             ;   in Loop: Header=BB8_891 Depth=3
	s_or_b64 exec, exec, s[90:91]
	s_and_saveexec_b64 s[40:41], s[88:89]
	s_cbranch_execz .LBB8_1818
.LBB8_1579:                             ;   in Loop: Header=BB8_891 Depth=3
	s_waitcnt vmcnt(1)
	v_ashrrev_i32_e32 v1, 31, v3
	v_lshrrev_b32_e32 v1, 26, v1
	v_add_u32_e32 v1, v3, v1
	v_ashrrev_i32_e32 v3, 6, v1
	v_lshlrev_b32_e32 v1, 10, v3
	s_waitcnt vmcnt(0)
	v_lshlrev_b32_e32 v4, 1, v45
	v_add3_u32 v15, v12, v4, v1
	v_ashrrev_i32_e32 v1, 31, v50
	v_lshrrev_b32_e32 v1, 22, v1
	v_add_u32_e32 v1, v50, v1
	v_ashrrev_i32_e32 v1, 10, v1
	v_ashrrev_i32_e32 v16, 31, v15
	v_add_co_u32_e32 v6, vcc, v48, v15
	v_sub_u32_e32 v4, v1, v3
	v_addc_co_u32_e32 v7, vcc, v49, v16, vcc
	v_cmp_lt_i32_e32 vcc, 0, v4
	v_mov_b32_e32 v30, 0
	s_mov_b64 s[88:89], 0
	v_mov_b32_e32 v24, 0
	v_mov_b32_e32 v29, 0
	;; [unrolled: 1-line block ×15, first 2 shown]
	s_and_saveexec_b64 s[28:29], vcc
	s_cbranch_execz .LBB8_1715
; %bb.1580:                             ;   in Loop: Header=BB8_891 Depth=3
	s_trap 2
	ds_read_b64 v[10:11], v0
	buffer_load_dword v8, off, s[0:3], s33 offset:240 ; 4-byte Folded Reload
	buffer_load_dword v9, off, s[0:3], s33 offset:244 ; 4-byte Folded Reload
	v_mov_b32_e32 v57, v49
	v_mov_b32_e32 v53, v50
	v_mov_b32_e32 v56, v48
	v_mov_b32_e32 v52, v39
	s_mov_b64 s[92:93], 0
	s_mov_b64 s[90:91], 0
                                        ; implicit-def: $sgpr88_sgpr89
                                        ; implicit-def: $vgpr42
                                        ; implicit-def: $vgpr50
                                        ; implicit-def: $vgpr48
                                        ; implicit-def: $vgpr38
                                        ; implicit-def: $vgpr36
                                        ; implicit-def: $vgpr34
                                        ; implicit-def: $vgpr32
                                        ; implicit-def: $vgpr28
                                        ; implicit-def: $vgpr14
                                        ; implicit-def: $vgpr17
                                        ; implicit-def: $vgpr18
                                        ; implicit-def: $vgpr19
                                        ; implicit-def: $vgpr20
                                        ; implicit-def: $vgpr21
	s_waitcnt vmcnt(1)
	v_add_co_u32_e32 v8, vcc, v15, v8
	s_waitcnt vmcnt(0)
	v_addc_co_u32_e32 v9, vcc, v16, v9, vcc
	s_waitcnt lgkmcnt(0)
	v_add_co_u32_e32 v10, vcc, v10, v15
	v_addc_co_u32_e32 v11, vcc, v11, v16, vcc
                                        ; implicit-def: $vgpr15
                                        ; implicit-def: $vgpr16
	s_branch .LBB8_1582
.LBB8_1581:                             ;   in Loop: Header=BB8_1582 Depth=4
	s_or_b64 exec, exec, s[94:95]
	flat_store_short_d16_hi v[6:7], v5 glc slc
	flat_store_short_d16_hi v[6:7], v29 offset:128 glc slc
	flat_store_short_d16_hi v[6:7], v27 offset:256 glc slc
	;; [unrolled: 1-line block ×7, first 2 shown]
	v_add_co_u32_e32 v3, vcc, v8, v54
	buffer_load_dword v23, off, s[0:3], s33 offset:140 ; 4-byte Folded Reload
	buffer_load_dword v24, off, s[0:3], s33 offset:136 ; 4-byte Folded Reload
	v_cndmask_b32_e64 v8, v8, v3, s[92:93]
	buffer_load_dword v3, off, s[0:3], s33 offset:128 ; 4-byte Folded Reload
	v_addc_co_u32_e32 v5, vcc, v9, v55, vcc
	v_add_co_u32_e32 v13, vcc, v10, v54
	v_mov_b32_e32 v25, 0x400
	v_addc_co_u32_e32 v22, vcc, v11, v55, vcc
	v_cndmask_b32_e64 v9, v9, v5, s[92:93]
	v_cndmask_b32_e64 v11, v11, v22, s[92:93]
	;; [unrolled: 1-line block ×3, first 2 shown]
	s_waitcnt vmcnt(0)
	v_cndmask_b32_e64 v23, 0, v23, s[92:93]
	v_cndmask_b32_e64 v24, v25, v24, s[92:93]
	v_add_co_u32_e32 v6, vcc, v6, v24
	v_cndmask_b32_e64 v3, 0, v3, s[92:93]
	v_addc_co_u32_e32 v7, vcc, v7, v23, vcc
	v_sub_u32_e32 v4, v4, v3
	v_cmp_gt_i32_e32 vcc, 1, v4
	s_or_b64 s[90:91], vcc, s[90:91]
	s_andn2_b64 s[44:45], s[88:89], exec
	s_and_b64 s[88:89], s[92:93], exec
	s_or_b64 s[88:89], s[44:45], s[88:89]
	s_andn2_b64 exec, exec, s[90:91]
	s_cbranch_execz .LBB8_1714
.LBB8_1582:                             ;   Parent Loop BB8_47 Depth=1
                                        ;     Parent Loop BB8_888 Depth=2
                                        ;       Parent Loop BB8_891 Depth=3
                                        ; =>      This Inner Loop Header: Depth=4
	flat_load_ushort v13, v[8:9] glc slc
	flat_load_ushort v61, v[8:9] offset:128 glc slc
	flat_load_ushort v43, v[8:9] offset:256 glc slc
	;; [unrolled: 1-line block ×7, first 2 shown]
	flat_load_ushort v33, v[10:11] glc slc
	flat_load_ushort v29, v[10:11] offset:128 glc slc
	flat_load_ushort v27, v[10:11] offset:256 glc slc
	flat_load_ushort v26, v[10:11] offset:384 glc slc
	flat_load_ushort v25, v[10:11] offset:512 glc slc
	flat_load_ushort v24, v[10:11] offset:640 glc slc
	flat_load_ushort v23, v[10:11] offset:768 glc slc
	flat_load_ushort v22, v[10:11] offset:896 glc slc
	s_and_saveexec_b64 s[94:95], s[92:93]
	s_cbranch_execz .LBB8_1648
; %bb.1583:                             ;   in Loop: Header=BB8_1582 Depth=4
	s_trap 2
	ds_read_b32 v3, v0
	s_waitcnt lgkmcnt(0)
	v_lshlrev_b32_e32 v5, 16, v3
	v_lshlrev_b32_e32 v3, 16, v42
	v_mul_f32_e32 v30, v3, v5
	v_and_b32_e32 v3, 0x7f800000, v30
	v_cmp_ne_u32_e32 vcc, s87, v3
                                        ; implicit-def: $vgpr3
	s_and_saveexec_b64 s[44:45], vcc
	s_xor_b64 s[92:93], exec, s[44:45]
; %bb.1584:                             ;   in Loop: Header=BB8_1582 Depth=4
	v_bfe_u32 v3, v30, 16, 1
	v_add3_u32 v3, v30, v3, s96
                                        ; implicit-def: $vgpr30
; %bb.1585:                             ;   in Loop: Header=BB8_1582 Depth=4
	s_andn2_saveexec_b64 s[92:93], s[92:93]
; %bb.1586:                             ;   in Loop: Header=BB8_1582 Depth=4
	v_or_b32_e32 v3, 0x10000, v30
	v_cmp_eq_u32_sdwa vcc, v30, v2 src0_sel:WORD_0 src1_sel:DWORD
	v_cndmask_b32_e32 v3, v3, v30, vcc
; %bb.1587:                             ;   in Loop: Header=BB8_1582 Depth=4
	s_or_b64 exec, exec, s[92:93]
	v_lshlrev_b32_e32 v30, 16, v50
	v_mul_f32_e32 v30, v30, v5
	v_and_b32_e32 v31, 0x7f800000, v30
	v_cmp_ne_u32_e32 vcc, s87, v31
                                        ; implicit-def: $vgpr50
	s_and_saveexec_b64 s[44:45], vcc
	s_xor_b64 s[92:93], exec, s[44:45]
; %bb.1588:                             ;   in Loop: Header=BB8_1582 Depth=4
	v_bfe_u32 v31, v30, 16, 1
	v_add3_u32 v50, v30, v31, s96
                                        ; implicit-def: $vgpr30
; %bb.1589:                             ;   in Loop: Header=BB8_1582 Depth=4
	s_andn2_saveexec_b64 s[92:93], s[92:93]
; %bb.1590:                             ;   in Loop: Header=BB8_1582 Depth=4
	v_or_b32_e32 v31, 0x10000, v30
	v_cmp_eq_u32_sdwa vcc, v30, v2 src0_sel:WORD_0 src1_sel:DWORD
	v_cndmask_b32_e32 v50, v31, v30, vcc
; %bb.1591:                             ;   in Loop: Header=BB8_1582 Depth=4
	s_or_b64 exec, exec, s[92:93]
	v_lshlrev_b32_e32 v30, 16, v48
	v_mul_f32_e32 v30, v30, v5
	v_and_b32_e32 v31, 0x7f800000, v30
	v_cmp_ne_u32_e32 vcc, s87, v31
                                        ; implicit-def: $vgpr48
	s_and_saveexec_b64 s[44:45], vcc
	s_xor_b64 s[92:93], exec, s[44:45]
; %bb.1592:                             ;   in Loop: Header=BB8_1582 Depth=4
	v_bfe_u32 v31, v30, 16, 1
	v_add3_u32 v48, v30, v31, s96
                                        ; implicit-def: $vgpr30
; %bb.1593:                             ;   in Loop: Header=BB8_1582 Depth=4
	s_andn2_saveexec_b64 s[92:93], s[92:93]
; %bb.1594:                             ;   in Loop: Header=BB8_1582 Depth=4
	v_or_b32_e32 v31, 0x10000, v30
	v_cmp_eq_u32_sdwa vcc, v30, v2 src0_sel:WORD_0 src1_sel:DWORD
	v_cndmask_b32_e32 v48, v31, v30, vcc
; %bb.1595:                             ;   in Loop: Header=BB8_1582 Depth=4
	s_or_b64 exec, exec, s[92:93]
	v_lshlrev_b32_e32 v30, 16, v38
	v_mul_f32_e32 v30, v30, v5
	v_and_b32_e32 v31, 0x7f800000, v30
	v_cmp_ne_u32_e32 vcc, s87, v31
                                        ; implicit-def: $vgpr38
	s_and_saveexec_b64 s[44:45], vcc
	s_xor_b64 s[92:93], exec, s[44:45]
; %bb.1596:                             ;   in Loop: Header=BB8_1582 Depth=4
	v_bfe_u32 v31, v30, 16, 1
	v_add3_u32 v38, v30, v31, s96
                                        ; implicit-def: $vgpr30
; %bb.1597:                             ;   in Loop: Header=BB8_1582 Depth=4
	s_andn2_saveexec_b64 s[92:93], s[92:93]
; %bb.1598:                             ;   in Loop: Header=BB8_1582 Depth=4
	v_or_b32_e32 v31, 0x10000, v30
	v_cmp_eq_u32_sdwa vcc, v30, v2 src0_sel:WORD_0 src1_sel:DWORD
	v_cndmask_b32_e32 v38, v31, v30, vcc
; %bb.1599:                             ;   in Loop: Header=BB8_1582 Depth=4
	s_or_b64 exec, exec, s[92:93]
	v_lshlrev_b32_e32 v30, 16, v36
	v_mul_f32_e32 v30, v30, v5
	v_and_b32_e32 v31, 0x7f800000, v30
	v_cmp_ne_u32_e32 vcc, s87, v31
                                        ; implicit-def: $vgpr36
	s_and_saveexec_b64 s[44:45], vcc
	s_xor_b64 s[92:93], exec, s[44:45]
; %bb.1600:                             ;   in Loop: Header=BB8_1582 Depth=4
	v_bfe_u32 v31, v30, 16, 1
	v_add3_u32 v36, v30, v31, s96
                                        ; implicit-def: $vgpr30
; %bb.1601:                             ;   in Loop: Header=BB8_1582 Depth=4
	s_andn2_saveexec_b64 s[92:93], s[92:93]
; %bb.1602:                             ;   in Loop: Header=BB8_1582 Depth=4
	v_or_b32_e32 v31, 0x10000, v30
	v_cmp_eq_u32_sdwa vcc, v30, v2 src0_sel:WORD_0 src1_sel:DWORD
	v_cndmask_b32_e32 v36, v31, v30, vcc
; %bb.1603:                             ;   in Loop: Header=BB8_1582 Depth=4
	s_or_b64 exec, exec, s[92:93]
	v_lshlrev_b32_e32 v30, 16, v34
	v_mul_f32_e32 v30, v30, v5
	v_and_b32_e32 v31, 0x7f800000, v30
	v_cmp_ne_u32_e32 vcc, s87, v31
                                        ; implicit-def: $vgpr31
	s_and_saveexec_b64 s[44:45], vcc
	s_xor_b64 s[92:93], exec, s[44:45]
; %bb.1604:                             ;   in Loop: Header=BB8_1582 Depth=4
	v_bfe_u32 v31, v30, 16, 1
	v_add3_u32 v31, v30, v31, s96
                                        ; implicit-def: $vgpr30
; %bb.1605:                             ;   in Loop: Header=BB8_1582 Depth=4
	s_andn2_saveexec_b64 s[92:93], s[92:93]
; %bb.1606:                             ;   in Loop: Header=BB8_1582 Depth=4
	v_or_b32_e32 v31, 0x10000, v30
	v_cmp_eq_u32_sdwa vcc, v30, v2 src0_sel:WORD_0 src1_sel:DWORD
	v_cndmask_b32_e32 v31, v31, v30, vcc
; %bb.1607:                             ;   in Loop: Header=BB8_1582 Depth=4
	s_or_b64 exec, exec, s[92:93]
	v_lshlrev_b32_e32 v30, 16, v32
	v_mul_f32_e32 v32, v30, v5
	v_and_b32_e32 v30, 0x7f800000, v32
	v_cmp_ne_u32_e32 vcc, s87, v30
                                        ; implicit-def: $vgpr30
	s_and_saveexec_b64 s[44:45], vcc
	s_xor_b64 s[92:93], exec, s[44:45]
; %bb.1608:                             ;   in Loop: Header=BB8_1582 Depth=4
	v_bfe_u32 v30, v32, 16, 1
	v_add3_u32 v30, v32, v30, s96
                                        ; implicit-def: $vgpr32
; %bb.1609:                             ;   in Loop: Header=BB8_1582 Depth=4
	s_andn2_saveexec_b64 s[92:93], s[92:93]
; %bb.1610:                             ;   in Loop: Header=BB8_1582 Depth=4
	v_or_b32_e32 v30, 0x10000, v32
	v_cmp_eq_u32_sdwa vcc, v32, v2 src0_sel:WORD_0 src1_sel:DWORD
	v_cndmask_b32_e32 v30, v30, v32, vcc
; %bb.1611:                             ;   in Loop: Header=BB8_1582 Depth=4
	s_or_b64 exec, exec, s[92:93]
	v_lshlrev_b32_e32 v28, 16, v28
	v_mul_f32_e32 v28, v28, v5
	v_and_b32_e32 v5, 0x7f800000, v28
	v_cmp_ne_u32_e32 vcc, s87, v5
                                        ; implicit-def: $vgpr5
	s_and_saveexec_b64 s[44:45], vcc
	s_xor_b64 s[92:93], exec, s[44:45]
; %bb.1612:                             ;   in Loop: Header=BB8_1582 Depth=4
	v_bfe_u32 v5, v28, 16, 1
	v_add3_u32 v5, v28, v5, s96
                                        ; implicit-def: $vgpr28
; %bb.1613:                             ;   in Loop: Header=BB8_1582 Depth=4
	s_andn2_saveexec_b64 s[92:93], s[92:93]
; %bb.1614:                             ;   in Loop: Header=BB8_1582 Depth=4
	v_or_b32_e32 v5, 0x10000, v28
	v_cmp_eq_u32_sdwa vcc, v28, v2 src0_sel:WORD_0 src1_sel:DWORD
	v_cndmask_b32_e32 v5, v5, v28, vcc
; %bb.1615:                             ;   in Loop: Header=BB8_1582 Depth=4
	s_or_b64 exec, exec, s[92:93]
	v_and_b32_e32 v3, 0xffff0000, v3
	v_lshlrev_b32_e32 v28, 16, v14
	v_add_f32_e32 v28, v28, v3
	v_and_b32_e32 v3, 0x7f800000, v28
	v_cmp_ne_u32_e32 vcc, s87, v3
                                        ; implicit-def: $vgpr3
	s_and_saveexec_b64 s[44:45], vcc
	s_xor_b64 s[92:93], exec, s[44:45]
; %bb.1616:                             ;   in Loop: Header=BB8_1582 Depth=4
	v_bfe_u32 v3, v28, 16, 1
	v_add3_u32 v3, v28, v3, s96
                                        ; implicit-def: $vgpr28
; %bb.1617:                             ;   in Loop: Header=BB8_1582 Depth=4
	s_andn2_saveexec_b64 s[92:93], s[92:93]
; %bb.1618:                             ;   in Loop: Header=BB8_1582 Depth=4
	v_or_b32_e32 v3, 0x10000, v28
	v_cmp_eq_u32_sdwa vcc, v28, v2 src0_sel:WORD_0 src1_sel:DWORD
	v_cndmask_b32_e32 v3, v3, v28, vcc
; %bb.1619:                             ;   in Loop: Header=BB8_1582 Depth=4
	s_or_b64 exec, exec, s[92:93]
	v_and_b32_e32 v28, 0xffff0000, v50
	v_lshlrev_b32_e32 v32, 16, v15
	v_add_f32_e32 v32, v32, v28
	v_and_b32_e32 v28, 0x7f800000, v32
	v_cmp_ne_u32_e32 vcc, s87, v28
                                        ; implicit-def: $vgpr28
	s_and_saveexec_b64 s[44:45], vcc
	s_xor_b64 s[92:93], exec, s[44:45]
; %bb.1620:                             ;   in Loop: Header=BB8_1582 Depth=4
	v_bfe_u32 v28, v32, 16, 1
	v_add3_u32 v28, v32, v28, s96
                                        ; implicit-def: $vgpr32
; %bb.1621:                             ;   in Loop: Header=BB8_1582 Depth=4
	s_andn2_saveexec_b64 s[92:93], s[92:93]
; %bb.1622:                             ;   in Loop: Header=BB8_1582 Depth=4
	v_or_b32_e32 v28, 0x10000, v32
	v_cmp_eq_u32_sdwa vcc, v32, v2 src0_sel:WORD_0 src1_sel:DWORD
	v_cndmask_b32_e32 v28, v28, v32, vcc
; %bb.1623:                             ;   in Loop: Header=BB8_1582 Depth=4
	s_or_b64 exec, exec, s[92:93]
	v_and_b32_e32 v32, 0xffff0000, v48
	v_lshlrev_b32_e32 v34, 16, v16
	v_add_f32_e32 v32, v34, v32
	v_and_b32_e32 v34, 0x7f800000, v32
	v_cmp_ne_u32_e32 vcc, s87, v34
                                        ; implicit-def: $vgpr48
	s_and_saveexec_b64 s[44:45], vcc
	s_xor_b64 s[92:93], exec, s[44:45]
; %bb.1624:                             ;   in Loop: Header=BB8_1582 Depth=4
	v_bfe_u32 v34, v32, 16, 1
	v_add3_u32 v48, v32, v34, s96
                                        ; implicit-def: $vgpr32
; %bb.1625:                             ;   in Loop: Header=BB8_1582 Depth=4
	s_andn2_saveexec_b64 s[92:93], s[92:93]
; %bb.1626:                             ;   in Loop: Header=BB8_1582 Depth=4
	v_or_b32_e32 v34, 0x10000, v32
	v_cmp_eq_u32_sdwa vcc, v32, v2 src0_sel:WORD_0 src1_sel:DWORD
	v_cndmask_b32_e32 v48, v34, v32, vcc
; %bb.1627:                             ;   in Loop: Header=BB8_1582 Depth=4
	s_or_b64 exec, exec, s[92:93]
	v_and_b32_e32 v32, 0xffff0000, v38
	v_lshlrev_b32_e32 v34, 16, v17
	v_add_f32_e32 v32, v34, v32
	v_and_b32_e32 v34, 0x7f800000, v32
	v_cmp_ne_u32_e32 vcc, s87, v34
                                        ; implicit-def: $vgpr38
	s_and_saveexec_b64 s[44:45], vcc
	s_xor_b64 s[92:93], exec, s[44:45]
; %bb.1628:                             ;   in Loop: Header=BB8_1582 Depth=4
	v_bfe_u32 v34, v32, 16, 1
	v_add3_u32 v38, v32, v34, s96
                                        ; implicit-def: $vgpr32
; %bb.1629:                             ;   in Loop: Header=BB8_1582 Depth=4
	s_andn2_saveexec_b64 s[92:93], s[92:93]
; %bb.1630:                             ;   in Loop: Header=BB8_1582 Depth=4
	v_or_b32_e32 v34, 0x10000, v32
	v_cmp_eq_u32_sdwa vcc, v32, v2 src0_sel:WORD_0 src1_sel:DWORD
	v_cndmask_b32_e32 v38, v34, v32, vcc
; %bb.1631:                             ;   in Loop: Header=BB8_1582 Depth=4
	s_or_b64 exec, exec, s[92:93]
	v_and_b32_e32 v32, 0xffff0000, v36
	v_lshlrev_b32_e32 v34, 16, v18
	v_add_f32_e32 v32, v34, v32
	v_and_b32_e32 v34, 0x7f800000, v32
	v_cmp_ne_u32_e32 vcc, s87, v34
                                        ; implicit-def: $vgpr36
	s_and_saveexec_b64 s[44:45], vcc
	s_xor_b64 s[92:93], exec, s[44:45]
; %bb.1632:                             ;   in Loop: Header=BB8_1582 Depth=4
	v_bfe_u32 v34, v32, 16, 1
	v_add3_u32 v36, v32, v34, s96
                                        ; implicit-def: $vgpr32
; %bb.1633:                             ;   in Loop: Header=BB8_1582 Depth=4
	s_andn2_saveexec_b64 s[92:93], s[92:93]
; %bb.1634:                             ;   in Loop: Header=BB8_1582 Depth=4
	v_or_b32_e32 v34, 0x10000, v32
	v_cmp_eq_u32_sdwa vcc, v32, v2 src0_sel:WORD_0 src1_sel:DWORD
	v_cndmask_b32_e32 v36, v34, v32, vcc
; %bb.1635:                             ;   in Loop: Header=BB8_1582 Depth=4
	s_or_b64 exec, exec, s[92:93]
	v_and_b32_e32 v31, 0xffff0000, v31
	v_lshlrev_b32_e32 v32, 16, v19
	v_add_f32_e32 v32, v32, v31
	v_and_b32_e32 v31, 0x7f800000, v32
	v_cmp_ne_u32_e32 vcc, s87, v31
                                        ; implicit-def: $vgpr31
	s_and_saveexec_b64 s[44:45], vcc
	s_xor_b64 s[92:93], exec, s[44:45]
; %bb.1636:                             ;   in Loop: Header=BB8_1582 Depth=4
	v_bfe_u32 v31, v32, 16, 1
	v_add3_u32 v31, v32, v31, s96
                                        ; implicit-def: $vgpr32
; %bb.1637:                             ;   in Loop: Header=BB8_1582 Depth=4
	s_andn2_saveexec_b64 s[92:93], s[92:93]
; %bb.1638:                             ;   in Loop: Header=BB8_1582 Depth=4
	v_or_b32_e32 v31, 0x10000, v32
	v_cmp_eq_u32_sdwa vcc, v32, v2 src0_sel:WORD_0 src1_sel:DWORD
	v_cndmask_b32_e32 v31, v31, v32, vcc
; %bb.1639:                             ;   in Loop: Header=BB8_1582 Depth=4
	s_or_b64 exec, exec, s[92:93]
	v_and_b32_e32 v30, 0xffff0000, v30
	v_lshlrev_b32_e32 v32, 16, v20
	v_add_f32_e32 v32, v32, v30
	v_and_b32_e32 v30, 0x7f800000, v32
	v_cmp_ne_u32_e32 vcc, s87, v30
                                        ; implicit-def: $vgpr30
	s_and_saveexec_b64 s[44:45], vcc
	s_xor_b64 s[92:93], exec, s[44:45]
; %bb.1640:                             ;   in Loop: Header=BB8_1582 Depth=4
	v_bfe_u32 v30, v32, 16, 1
	v_add3_u32 v30, v32, v30, s96
                                        ; implicit-def: $vgpr32
; %bb.1641:                             ;   in Loop: Header=BB8_1582 Depth=4
	s_andn2_saveexec_b64 s[92:93], s[92:93]
; %bb.1642:                             ;   in Loop: Header=BB8_1582 Depth=4
	v_or_b32_e32 v30, 0x10000, v32
	v_cmp_eq_u32_sdwa vcc, v32, v2 src0_sel:WORD_0 src1_sel:DWORD
	v_cndmask_b32_e32 v30, v30, v32, vcc
; %bb.1643:                             ;   in Loop: Header=BB8_1582 Depth=4
	s_or_b64 exec, exec, s[92:93]
	v_and_b32_e32 v5, 0xffff0000, v5
	v_lshlrev_b32_e32 v32, 16, v21
	v_add_f32_e32 v32, v32, v5
	v_and_b32_e32 v5, 0x7f800000, v32
	v_cmp_ne_u32_e32 vcc, s87, v5
                                        ; implicit-def: $vgpr5
	s_and_saveexec_b64 s[44:45], vcc
	s_xor_b64 s[92:93], exec, s[44:45]
; %bb.1644:                             ;   in Loop: Header=BB8_1582 Depth=4
	v_bfe_u32 v5, v32, 16, 1
	v_add3_u32 v5, v32, v5, s96
                                        ; implicit-def: $vgpr32
; %bb.1645:                             ;   in Loop: Header=BB8_1582 Depth=4
	s_andn2_saveexec_b64 s[92:93], s[92:93]
; %bb.1646:                             ;   in Loop: Header=BB8_1582 Depth=4
	v_or_b32_e32 v5, 0x10000, v32
	v_cmp_eq_u32_sdwa vcc, v32, v2 src0_sel:WORD_0 src1_sel:DWORD
	v_cndmask_b32_e32 v5, v5, v32, vcc
; %bb.1647:                             ;   in Loop: Header=BB8_1582 Depth=4
	s_or_b64 exec, exec, s[92:93]
	v_lshrrev_b32_e32 v42, 16, v3
	v_lshrrev_b32_e32 v32, 16, v30
	;; [unrolled: 1-line block ×8, first 2 shown]
	flat_store_short v[6:7], v42 glc slc
	flat_store_short v[6:7], v50 offset:128 glc slc
	flat_store_short v[6:7], v48 offset:256 glc slc
	;; [unrolled: 1-line block ×7, first 2 shown]
	buffer_load_dword v3, off, s[0:3], s33 offset:136 ; 4-byte Folded Reload
	s_waitcnt vmcnt(0)
	v_add_co_u32_e32 v6, vcc, v6, v3
	buffer_load_dword v3, off, s[0:3], s33 offset:140 ; 4-byte Folded Reload
	s_waitcnt vmcnt(0)
	v_addc_co_u32_e32 v7, vcc, v7, v3, vcc
.LBB8_1648:                             ;   in Loop: Header=BB8_1582 Depth=4
	s_or_b64 exec, exec, s[94:95]
	buffer_load_dword v3, off, s[0:3], s33 offset:136 ; 4-byte Folded Reload
	buffer_load_dword v5, off, s[0:3], s33 offset:140 ; 4-byte Folded Reload
	s_waitcnt vmcnt(0)
	v_add_co_u32_e32 v8, vcc, v8, v3
	v_addc_co_u32_e32 v9, vcc, v9, v5, vcc
	v_add_co_u32_e32 v10, vcc, v10, v3
	buffer_load_dword v3, off, s[0:3], s33 offset:128 ; 4-byte Folded Reload
	v_addc_co_u32_e32 v11, vcc, v11, v5, vcc
	s_waitcnt vmcnt(0)
	v_sub_u32_e32 v4, v4, v3
	v_cmp_lt_i32_e64 s[92:93], 0, v4
	s_and_saveexec_b64 s[94:95], s[92:93]
	s_cbranch_execz .LBB8_1650
; %bb.1649:                             ;   in Loop: Header=BB8_1582 Depth=4
	flat_load_ushort v42, v[8:9] glc slc
	flat_load_ushort v50, v[8:9] offset:128 glc slc
	flat_load_ushort v48, v[8:9] offset:256 glc slc
	flat_load_ushort v38, v[8:9] offset:384 glc slc
	flat_load_ushort v36, v[8:9] offset:512 glc slc
	flat_load_ushort v34, v[8:9] offset:640 glc slc
	flat_load_ushort v32, v[8:9] offset:768 glc slc
	flat_load_ushort v28, v[8:9] offset:896 glc slc
	flat_load_ushort v14, v[10:11] glc slc
	flat_load_ushort v15, v[10:11] offset:128 glc slc
	flat_load_ushort v16, v[10:11] offset:256 glc slc
	;; [unrolled: 1-line block ×7, first 2 shown]
	v_add_co_u32_e32 v8, vcc, 0x400, v8
	v_addc_co_u32_e32 v9, vcc, 0, v9, vcc
	v_add_co_u32_e32 v10, vcc, 0x400, v10
	v_addc_co_u32_e32 v11, vcc, 0, v11, vcc
.LBB8_1650:                             ;   in Loop: Header=BB8_1582 Depth=4
	s_or_b64 exec, exec, s[94:95]
	s_trap 2
	ds_read_b32 v3, v0
	s_waitcnt lgkmcnt(0)
	v_lshlrev_b32_e32 v5, 16, v13
	v_lshlrev_b32_e32 v3, 16, v3
	v_mul_f32_e32 v13, v5, v3
	v_and_b32_e32 v5, 0x7f800000, v13
	v_cmp_ne_u32_e32 vcc, s87, v5
                                        ; implicit-def: $vgpr5
	s_and_saveexec_b64 s[44:45], vcc
	s_xor_b64 s[94:95], exec, s[44:45]
; %bb.1651:                             ;   in Loop: Header=BB8_1582 Depth=4
	v_bfe_u32 v5, v13, 16, 1
	v_add3_u32 v5, v13, v5, s96
                                        ; implicit-def: $vgpr13
; %bb.1652:                             ;   in Loop: Header=BB8_1582 Depth=4
	s_andn2_saveexec_b64 s[94:95], s[94:95]
; %bb.1653:                             ;   in Loop: Header=BB8_1582 Depth=4
	v_or_b32_e32 v5, 0x10000, v13
	v_cmp_eq_u32_sdwa vcc, v13, v2 src0_sel:WORD_0 src1_sel:DWORD
	v_cndmask_b32_e32 v5, v5, v13, vcc
; %bb.1654:                             ;   in Loop: Header=BB8_1582 Depth=4
	s_or_b64 exec, exec, s[94:95]
	v_lshlrev_b32_e32 v13, 16, v61
	v_mul_f32_e32 v13, v13, v3
	v_and_b32_e32 v30, 0x7f800000, v13
	v_cmp_ne_u32_e32 vcc, s87, v30
                                        ; implicit-def: $vgpr44
	s_and_saveexec_b64 s[44:45], vcc
	s_xor_b64 s[94:95], exec, s[44:45]
; %bb.1655:                             ;   in Loop: Header=BB8_1582 Depth=4
	v_bfe_u32 v30, v13, 16, 1
	v_add3_u32 v44, v13, v30, s96
                                        ; implicit-def: $vgpr13
; %bb.1656:                             ;   in Loop: Header=BB8_1582 Depth=4
	s_andn2_saveexec_b64 s[94:95], s[94:95]
; %bb.1657:                             ;   in Loop: Header=BB8_1582 Depth=4
	v_or_b32_e32 v30, 0x10000, v13
	v_cmp_eq_u32_sdwa vcc, v13, v2 src0_sel:WORD_0 src1_sel:DWORD
	v_cndmask_b32_e32 v44, v30, v13, vcc
; %bb.1658:                             ;   in Loop: Header=BB8_1582 Depth=4
	s_or_b64 exec, exec, s[94:95]
	v_lshlrev_b32_e32 v13, 16, v43
	v_mul_f32_e32 v13, v13, v3
	v_and_b32_e32 v30, 0x7f800000, v13
	v_cmp_ne_u32_e32 vcc, s87, v30
                                        ; implicit-def: $vgpr43
	s_and_saveexec_b64 s[44:45], vcc
	s_xor_b64 s[94:95], exec, s[44:45]
; %bb.1659:                             ;   in Loop: Header=BB8_1582 Depth=4
	v_bfe_u32 v30, v13, 16, 1
	v_add3_u32 v43, v13, v30, s96
                                        ; implicit-def: $vgpr13
; %bb.1660:                             ;   in Loop: Header=BB8_1582 Depth=4
	s_andn2_saveexec_b64 s[94:95], s[94:95]
; %bb.1661:                             ;   in Loop: Header=BB8_1582 Depth=4
	v_or_b32_e32 v30, 0x10000, v13
	v_cmp_eq_u32_sdwa vcc, v13, v2 src0_sel:WORD_0 src1_sel:DWORD
	v_cndmask_b32_e32 v43, v30, v13, vcc
; %bb.1662:                             ;   in Loop: Header=BB8_1582 Depth=4
	s_or_b64 exec, exec, s[94:95]
	v_lshlrev_b32_e32 v13, 16, v51
	v_mul_f32_e32 v13, v13, v3
	v_and_b32_e32 v30, 0x7f800000, v13
	v_cmp_ne_u32_e32 vcc, s87, v30
                                        ; implicit-def: $vgpr51
	s_and_saveexec_b64 s[44:45], vcc
	s_xor_b64 s[94:95], exec, s[44:45]
; %bb.1663:                             ;   in Loop: Header=BB8_1582 Depth=4
	v_bfe_u32 v30, v13, 16, 1
	v_add3_u32 v51, v13, v30, s96
                                        ; implicit-def: $vgpr13
; %bb.1664:                             ;   in Loop: Header=BB8_1582 Depth=4
	s_andn2_saveexec_b64 s[94:95], s[94:95]
; %bb.1665:                             ;   in Loop: Header=BB8_1582 Depth=4
	v_or_b32_e32 v30, 0x10000, v13
	v_cmp_eq_u32_sdwa vcc, v13, v2 src0_sel:WORD_0 src1_sel:DWORD
	v_cndmask_b32_e32 v51, v30, v13, vcc
; %bb.1666:                             ;   in Loop: Header=BB8_1582 Depth=4
	s_or_b64 exec, exec, s[94:95]
	v_lshlrev_b32_e32 v13, 16, v49
	v_mul_f32_e32 v13, v13, v3
	v_and_b32_e32 v30, 0x7f800000, v13
	v_cmp_ne_u32_e32 vcc, s87, v30
                                        ; implicit-def: $vgpr31
	s_and_saveexec_b64 s[44:45], vcc
	s_xor_b64 s[94:95], exec, s[44:45]
; %bb.1667:                             ;   in Loop: Header=BB8_1582 Depth=4
	v_bfe_u32 v30, v13, 16, 1
	v_add3_u32 v31, v13, v30, s96
                                        ; implicit-def: $vgpr13
; %bb.1668:                             ;   in Loop: Header=BB8_1582 Depth=4
	s_andn2_saveexec_b64 s[94:95], s[94:95]
; %bb.1669:                             ;   in Loop: Header=BB8_1582 Depth=4
	v_or_b32_e32 v30, 0x10000, v13
	v_cmp_eq_u32_sdwa vcc, v13, v2 src0_sel:WORD_0 src1_sel:DWORD
	v_cndmask_b32_e32 v31, v30, v13, vcc
; %bb.1670:                             ;   in Loop: Header=BB8_1582 Depth=4
	s_or_b64 exec, exec, s[94:95]
	v_lshlrev_b32_e32 v13, 16, v39
	v_mul_f32_e32 v13, v13, v3
	v_and_b32_e32 v30, 0x7f800000, v13
	v_cmp_ne_u32_e32 vcc, s87, v30
                                        ; implicit-def: $vgpr30
	s_and_saveexec_b64 s[44:45], vcc
	s_xor_b64 s[94:95], exec, s[44:45]
; %bb.1671:                             ;   in Loop: Header=BB8_1582 Depth=4
	v_bfe_u32 v30, v13, 16, 1
	v_add3_u32 v30, v13, v30, s96
                                        ; implicit-def: $vgpr13
; %bb.1672:                             ;   in Loop: Header=BB8_1582 Depth=4
	s_andn2_saveexec_b64 s[94:95], s[94:95]
; %bb.1673:                             ;   in Loop: Header=BB8_1582 Depth=4
	v_or_b32_e32 v30, 0x10000, v13
	v_cmp_eq_u32_sdwa vcc, v13, v2 src0_sel:WORD_0 src1_sel:DWORD
	v_cndmask_b32_e32 v30, v30, v13, vcc
; %bb.1674:                             ;   in Loop: Header=BB8_1582 Depth=4
	s_or_b64 exec, exec, s[94:95]
	v_lshlrev_b32_e32 v13, 16, v37
	v_mul_f32_e32 v37, v13, v3
	v_and_b32_e32 v13, 0x7f800000, v37
	v_cmp_ne_u32_e32 vcc, s87, v13
                                        ; implicit-def: $vgpr13
	s_and_saveexec_b64 s[44:45], vcc
	s_xor_b64 s[94:95], exec, s[44:45]
; %bb.1675:                             ;   in Loop: Header=BB8_1582 Depth=4
	v_bfe_u32 v13, v37, 16, 1
	v_add3_u32 v13, v37, v13, s96
                                        ; implicit-def: $vgpr37
; %bb.1676:                             ;   in Loop: Header=BB8_1582 Depth=4
	s_andn2_saveexec_b64 s[94:95], s[94:95]
; %bb.1677:                             ;   in Loop: Header=BB8_1582 Depth=4
	v_or_b32_e32 v13, 0x10000, v37
	v_cmp_eq_u32_sdwa vcc, v37, v2 src0_sel:WORD_0 src1_sel:DWORD
	v_cndmask_b32_e32 v13, v13, v37, vcc
; %bb.1678:                             ;   in Loop: Header=BB8_1582 Depth=4
	s_or_b64 exec, exec, s[94:95]
	v_lshlrev_b32_e32 v35, 16, v35
	v_mul_f32_e32 v35, v35, v3
	v_and_b32_e32 v3, 0x7f800000, v35
	v_cmp_ne_u32_e32 vcc, s87, v3
                                        ; implicit-def: $vgpr3
	s_and_saveexec_b64 s[44:45], vcc
	s_xor_b64 s[94:95], exec, s[44:45]
; %bb.1679:                             ;   in Loop: Header=BB8_1582 Depth=4
	v_bfe_u32 v3, v35, 16, 1
	v_add3_u32 v3, v35, v3, s96
                                        ; implicit-def: $vgpr35
; %bb.1680:                             ;   in Loop: Header=BB8_1582 Depth=4
	s_andn2_saveexec_b64 s[94:95], s[94:95]
; %bb.1681:                             ;   in Loop: Header=BB8_1582 Depth=4
	v_or_b32_e32 v3, 0x10000, v35
	v_cmp_eq_u32_sdwa vcc, v35, v2 src0_sel:WORD_0 src1_sel:DWORD
	v_cndmask_b32_e32 v3, v3, v35, vcc
; %bb.1682:                             ;   in Loop: Header=BB8_1582 Depth=4
	s_or_b64 exec, exec, s[94:95]
	v_and_b32_e32 v5, 0xffff0000, v5
	v_lshlrev_b32_e32 v33, 16, v33
	v_add_f32_e32 v33, v33, v5
	v_and_b32_e32 v5, 0x7f800000, v33
	v_cmp_ne_u32_e32 vcc, s87, v5
                                        ; implicit-def: $vgpr5
	s_and_saveexec_b64 s[44:45], vcc
	s_xor_b64 s[94:95], exec, s[44:45]
; %bb.1683:                             ;   in Loop: Header=BB8_1582 Depth=4
	v_bfe_u32 v5, v33, 16, 1
	v_add3_u32 v5, v33, v5, s96
                                        ; implicit-def: $vgpr33
; %bb.1684:                             ;   in Loop: Header=BB8_1582 Depth=4
	s_andn2_saveexec_b64 s[94:95], s[94:95]
; %bb.1685:                             ;   in Loop: Header=BB8_1582 Depth=4
	v_or_b32_e32 v5, 0x10000, v33
	v_cmp_eq_u32_sdwa vcc, v33, v2 src0_sel:WORD_0 src1_sel:DWORD
	v_cndmask_b32_e32 v5, v5, v33, vcc
; %bb.1686:                             ;   in Loop: Header=BB8_1582 Depth=4
	s_or_b64 exec, exec, s[94:95]
	v_and_b32_e32 v33, 0xffff0000, v44
	v_lshlrev_b32_e32 v29, 16, v29
	v_add_f32_e32 v33, v29, v33
	v_and_b32_e32 v29, 0x7f800000, v33
	v_cmp_ne_u32_e32 vcc, s87, v29
                                        ; implicit-def: $vgpr29
	s_and_saveexec_b64 s[44:45], vcc
	s_xor_b64 s[94:95], exec, s[44:45]
; %bb.1687:                             ;   in Loop: Header=BB8_1582 Depth=4
	v_bfe_u32 v29, v33, 16, 1
	v_add3_u32 v29, v33, v29, s96
                                        ; implicit-def: $vgpr33
; %bb.1688:                             ;   in Loop: Header=BB8_1582 Depth=4
	s_andn2_saveexec_b64 s[94:95], s[94:95]
; %bb.1689:                             ;   in Loop: Header=BB8_1582 Depth=4
	v_or_b32_e32 v29, 0x10000, v33
	v_cmp_eq_u32_sdwa vcc, v33, v2 src0_sel:WORD_0 src1_sel:DWORD
	v_cndmask_b32_e32 v29, v29, v33, vcc
; %bb.1690:                             ;   in Loop: Header=BB8_1582 Depth=4
	s_or_b64 exec, exec, s[94:95]
	v_and_b32_e32 v33, 0xffff0000, v43
	v_lshlrev_b32_e32 v27, 16, v27
	v_add_f32_e32 v33, v27, v33
	v_and_b32_e32 v27, 0x7f800000, v33
	v_cmp_ne_u32_e32 vcc, s87, v27
                                        ; implicit-def: $vgpr27
	s_and_saveexec_b64 s[44:45], vcc
	s_xor_b64 s[94:95], exec, s[44:45]
; %bb.1691:                             ;   in Loop: Header=BB8_1582 Depth=4
	v_bfe_u32 v27, v33, 16, 1
	v_add3_u32 v27, v33, v27, s96
                                        ; implicit-def: $vgpr33
; %bb.1692:                             ;   in Loop: Header=BB8_1582 Depth=4
	s_andn2_saveexec_b64 s[94:95], s[94:95]
; %bb.1693:                             ;   in Loop: Header=BB8_1582 Depth=4
	v_or_b32_e32 v27, 0x10000, v33
	v_cmp_eq_u32_sdwa vcc, v33, v2 src0_sel:WORD_0 src1_sel:DWORD
	v_cndmask_b32_e32 v27, v27, v33, vcc
; %bb.1694:                             ;   in Loop: Header=BB8_1582 Depth=4
	s_or_b64 exec, exec, s[94:95]
	v_and_b32_e32 v33, 0xffff0000, v51
	v_lshlrev_b32_e32 v26, 16, v26
	v_add_f32_e32 v33, v26, v33
	v_and_b32_e32 v26, 0x7f800000, v33
	v_cmp_ne_u32_e32 vcc, s87, v26
                                        ; implicit-def: $vgpr26
	s_and_saveexec_b64 s[44:45], vcc
	s_xor_b64 s[94:95], exec, s[44:45]
; %bb.1695:                             ;   in Loop: Header=BB8_1582 Depth=4
	v_bfe_u32 v26, v33, 16, 1
	v_add3_u32 v26, v33, v26, s96
                                        ; implicit-def: $vgpr33
; %bb.1696:                             ;   in Loop: Header=BB8_1582 Depth=4
	s_andn2_saveexec_b64 s[94:95], s[94:95]
; %bb.1697:                             ;   in Loop: Header=BB8_1582 Depth=4
	v_or_b32_e32 v26, 0x10000, v33
	v_cmp_eq_u32_sdwa vcc, v33, v2 src0_sel:WORD_0 src1_sel:DWORD
	v_cndmask_b32_e32 v26, v26, v33, vcc
; %bb.1698:                             ;   in Loop: Header=BB8_1582 Depth=4
	s_or_b64 exec, exec, s[94:95]
	v_and_b32_e32 v31, 0xffff0000, v31
	v_lshlrev_b32_e32 v25, 16, v25
	v_add_f32_e32 v31, v25, v31
	v_and_b32_e32 v25, 0x7f800000, v31
	v_cmp_ne_u32_e32 vcc, s87, v25
                                        ; implicit-def: $vgpr25
	s_and_saveexec_b64 s[44:45], vcc
	s_xor_b64 s[94:95], exec, s[44:45]
; %bb.1699:                             ;   in Loop: Header=BB8_1582 Depth=4
	v_bfe_u32 v25, v31, 16, 1
	v_add3_u32 v25, v31, v25, s96
                                        ; implicit-def: $vgpr31
; %bb.1700:                             ;   in Loop: Header=BB8_1582 Depth=4
	s_andn2_saveexec_b64 s[94:95], s[94:95]
; %bb.1701:                             ;   in Loop: Header=BB8_1582 Depth=4
	v_or_b32_e32 v25, 0x10000, v31
	v_cmp_eq_u32_sdwa vcc, v31, v2 src0_sel:WORD_0 src1_sel:DWORD
	v_cndmask_b32_e32 v25, v25, v31, vcc
; %bb.1702:                             ;   in Loop: Header=BB8_1582 Depth=4
	s_or_b64 exec, exec, s[94:95]
	v_and_b32_e32 v30, 0xffff0000, v30
	v_lshlrev_b32_e32 v24, 16, v24
	v_add_f32_e32 v30, v24, v30
	v_and_b32_e32 v24, 0x7f800000, v30
	v_cmp_ne_u32_e32 vcc, s87, v24
                                        ; implicit-def: $vgpr24
	s_and_saveexec_b64 s[44:45], vcc
	s_xor_b64 s[94:95], exec, s[44:45]
; %bb.1703:                             ;   in Loop: Header=BB8_1582 Depth=4
	v_bfe_u32 v24, v30, 16, 1
	v_add3_u32 v24, v30, v24, s96
                                        ; implicit-def: $vgpr30
; %bb.1704:                             ;   in Loop: Header=BB8_1582 Depth=4
	s_andn2_saveexec_b64 s[94:95], s[94:95]
; %bb.1705:                             ;   in Loop: Header=BB8_1582 Depth=4
	v_or_b32_e32 v24, 0x10000, v30
	v_cmp_eq_u32_sdwa vcc, v30, v2 src0_sel:WORD_0 src1_sel:DWORD
	v_cndmask_b32_e32 v24, v24, v30, vcc
; %bb.1706:                             ;   in Loop: Header=BB8_1582 Depth=4
	s_or_b64 exec, exec, s[94:95]
	v_and_b32_e32 v13, 0xffff0000, v13
	v_lshlrev_b32_e32 v23, 16, v23
	v_add_f32_e32 v23, v23, v13
	v_and_b32_e32 v13, 0x7f800000, v23
	v_cmp_ne_u32_e32 vcc, s87, v13
                                        ; implicit-def: $vgpr13
	s_and_saveexec_b64 s[44:45], vcc
	s_xor_b64 s[94:95], exec, s[44:45]
; %bb.1707:                             ;   in Loop: Header=BB8_1582 Depth=4
	v_bfe_u32 v13, v23, 16, 1
	v_add3_u32 v13, v23, v13, s96
                                        ; implicit-def: $vgpr23
; %bb.1708:                             ;   in Loop: Header=BB8_1582 Depth=4
	s_andn2_saveexec_b64 s[94:95], s[94:95]
; %bb.1709:                             ;   in Loop: Header=BB8_1582 Depth=4
	v_or_b32_e32 v13, 0x10000, v23
	v_cmp_eq_u32_sdwa vcc, v23, v2 src0_sel:WORD_0 src1_sel:DWORD
	v_cndmask_b32_e32 v13, v13, v23, vcc
; %bb.1710:                             ;   in Loop: Header=BB8_1582 Depth=4
	s_or_b64 exec, exec, s[94:95]
	v_and_b32_e32 v3, 0xffff0000, v3
	v_lshlrev_b32_e32 v22, 16, v22
	v_add_f32_e32 v22, v22, v3
	v_and_b32_e32 v3, 0x7f800000, v22
	v_cmp_ne_u32_e32 vcc, s87, v3
                                        ; implicit-def: $vgpr3
	s_and_saveexec_b64 s[44:45], vcc
	s_xor_b64 s[94:95], exec, s[44:45]
; %bb.1711:                             ;   in Loop: Header=BB8_1582 Depth=4
	v_bfe_u32 v3, v22, 16, 1
	v_add3_u32 v3, v22, v3, s96
                                        ; implicit-def: $vgpr22
; %bb.1712:                             ;   in Loop: Header=BB8_1582 Depth=4
	s_andn2_saveexec_b64 s[94:95], s[94:95]
	s_cbranch_execz .LBB8_1581
; %bb.1713:                             ;   in Loop: Header=BB8_1582 Depth=4
	v_or_b32_e32 v3, 0x10000, v22
	v_cmp_eq_u32_sdwa vcc, v22, v2 src0_sel:WORD_0 src1_sel:DWORD
	v_cndmask_b32_e32 v3, v3, v22, vcc
	s_branch .LBB8_1581
.LBB8_1714:                             ;   in Loop: Header=BB8_891 Depth=3
	s_or_b64 exec, exec, s[90:91]
	v_lshlrev_b32_e32 v27, 16, v38
	v_lshlrev_b32_e32 v26, 16, v36
	buffer_load_dword v36, off, s[0:3], s33 offset:276 ; 4-byte Folded Reload
	buffer_load_dword v37, off, s[0:3], s33 offset:312 ; 4-byte Folded Reload
	;; [unrolled: 1-line block ×3, first 2 shown]
	v_lshlrev_b32_e32 v29, 16, v48
	v_mov_b32_e32 v48, v56
	v_lshlrev_b32_e32 v30, 16, v42
	v_lshlrev_b32_e32 v24, 16, v50
	;; [unrolled: 1-line block ×13, first 2 shown]
	s_and_b64 s[88:89], s[88:89], exec
	v_mov_b32_e32 v39, v52
	v_mov_b32_e32 v49, v57
	;; [unrolled: 1-line block ×3, first 2 shown]
.LBB8_1715:                             ;   in Loop: Header=BB8_891 Depth=3
	s_or_b64 exec, exec, s[28:29]
	s_and_saveexec_b64 s[28:29], s[88:89]
	s_cbranch_execz .LBB8_1781
; %bb.1716:                             ;   in Loop: Header=BB8_891 Depth=3
	s_trap 2
	ds_read_b32 v15, v0
                                        ; implicit-def: $vgpr21
	s_waitcnt lgkmcnt(0)
	v_lshlrev_b32_e32 v15, 16, v15
	v_mul_f32_e32 v16, v30, v15
	v_and_b32_e32 v17, 0x7f800000, v16
	v_cmp_ne_u32_e32 vcc, s87, v17
	s_and_saveexec_b64 s[44:45], vcc
	s_xor_b64 s[88:89], exec, s[44:45]
; %bb.1717:                             ;   in Loop: Header=BB8_891 Depth=3
	v_bfe_u32 v17, v16, 16, 1
	v_add3_u32 v21, v16, v17, s96
                                        ; implicit-def: $vgpr16
; %bb.1718:                             ;   in Loop: Header=BB8_891 Depth=3
	s_andn2_saveexec_b64 s[88:89], s[88:89]
; %bb.1719:                             ;   in Loop: Header=BB8_891 Depth=3
	v_or_b32_e32 v17, 0x10000, v16
	v_cmp_eq_u32_sdwa vcc, v16, v2 src0_sel:WORD_0 src1_sel:DWORD
	v_cndmask_b32_e32 v21, v17, v16, vcc
; %bb.1720:                             ;   in Loop: Header=BB8_891 Depth=3
	s_or_b64 exec, exec, s[88:89]
	v_mul_f32_e32 v16, v24, v15
	v_and_b32_e32 v17, 0x7f800000, v16
	v_cmp_ne_u32_e32 vcc, s87, v17
                                        ; implicit-def: $vgpr24
	s_and_saveexec_b64 s[44:45], vcc
	s_xor_b64 s[88:89], exec, s[44:45]
; %bb.1721:                             ;   in Loop: Header=BB8_891 Depth=3
	v_bfe_u32 v17, v16, 16, 1
	v_add3_u32 v24, v16, v17, s96
                                        ; implicit-def: $vgpr16
; %bb.1722:                             ;   in Loop: Header=BB8_891 Depth=3
	s_andn2_saveexec_b64 s[88:89], s[88:89]
; %bb.1723:                             ;   in Loop: Header=BB8_891 Depth=3
	v_or_b32_e32 v17, 0x10000, v16
	v_cmp_eq_u32_sdwa vcc, v16, v2 src0_sel:WORD_0 src1_sel:DWORD
	v_cndmask_b32_e32 v24, v17, v16, vcc
; %bb.1724:                             ;   in Loop: Header=BB8_891 Depth=3
	s_or_b64 exec, exec, s[88:89]
	v_mul_f32_e32 v16, v29, v15
	v_and_b32_e32 v17, 0x7f800000, v16
	v_cmp_ne_u32_e32 vcc, s87, v17
                                        ; implicit-def: $vgpr20
	s_and_saveexec_b64 s[44:45], vcc
	s_xor_b64 s[88:89], exec, s[44:45]
; %bb.1725:                             ;   in Loop: Header=BB8_891 Depth=3
	v_bfe_u32 v17, v16, 16, 1
	v_add3_u32 v20, v16, v17, s96
                                        ; implicit-def: $vgpr16
; %bb.1726:                             ;   in Loop: Header=BB8_891 Depth=3
	s_andn2_saveexec_b64 s[88:89], s[88:89]
; %bb.1727:                             ;   in Loop: Header=BB8_891 Depth=3
	v_or_b32_e32 v17, 0x10000, v16
	v_cmp_eq_u32_sdwa vcc, v16, v2 src0_sel:WORD_0 src1_sel:DWORD
	v_cndmask_b32_e32 v20, v17, v16, vcc
; %bb.1728:                             ;   in Loop: Header=BB8_891 Depth=3
	s_or_b64 exec, exec, s[88:89]
	v_mul_f32_e32 v16, v27, v15
	v_and_b32_e32 v17, 0x7f800000, v16
	v_cmp_ne_u32_e32 vcc, s87, v17
                                        ; implicit-def: $vgpr19
	s_and_saveexec_b64 s[44:45], vcc
	s_xor_b64 s[88:89], exec, s[44:45]
; %bb.1729:                             ;   in Loop: Header=BB8_891 Depth=3
	v_bfe_u32 v17, v16, 16, 1
	v_add3_u32 v19, v16, v17, s96
                                        ; implicit-def: $vgpr16
; %bb.1730:                             ;   in Loop: Header=BB8_891 Depth=3
	s_andn2_saveexec_b64 s[88:89], s[88:89]
; %bb.1731:                             ;   in Loop: Header=BB8_891 Depth=3
	v_or_b32_e32 v17, 0x10000, v16
	v_cmp_eq_u32_sdwa vcc, v16, v2 src0_sel:WORD_0 src1_sel:DWORD
	v_cndmask_b32_e32 v19, v17, v16, vcc
; %bb.1732:                             ;   in Loop: Header=BB8_891 Depth=3
	s_or_b64 exec, exec, s[88:89]
	v_mul_f32_e32 v16, v26, v15
	v_and_b32_e32 v17, 0x7f800000, v16
	v_cmp_ne_u32_e32 vcc, s87, v17
                                        ; implicit-def: $vgpr18
	s_and_saveexec_b64 s[44:45], vcc
	s_xor_b64 s[88:89], exec, s[44:45]
; %bb.1733:                             ;   in Loop: Header=BB8_891 Depth=3
	v_bfe_u32 v17, v16, 16, 1
	v_add3_u32 v18, v16, v17, s96
                                        ; implicit-def: $vgpr16
; %bb.1734:                             ;   in Loop: Header=BB8_891 Depth=3
	s_andn2_saveexec_b64 s[88:89], s[88:89]
; %bb.1735:                             ;   in Loop: Header=BB8_891 Depth=3
	v_or_b32_e32 v17, 0x10000, v16
	v_cmp_eq_u32_sdwa vcc, v16, v2 src0_sel:WORD_0 src1_sel:DWORD
	v_cndmask_b32_e32 v18, v17, v16, vcc
; %bb.1736:                             ;   in Loop: Header=BB8_891 Depth=3
	s_or_b64 exec, exec, s[88:89]
	v_mul_f32_e32 v16, v25, v15
	v_and_b32_e32 v17, 0x7f800000, v16
	v_cmp_ne_u32_e32 vcc, s87, v17
                                        ; implicit-def: $vgpr17
	s_and_saveexec_b64 s[44:45], vcc
	s_xor_b64 s[88:89], exec, s[44:45]
; %bb.1737:                             ;   in Loop: Header=BB8_891 Depth=3
	v_bfe_u32 v17, v16, 16, 1
	v_add3_u32 v17, v16, v17, s96
                                        ; implicit-def: $vgpr16
; %bb.1738:                             ;   in Loop: Header=BB8_891 Depth=3
	s_andn2_saveexec_b64 s[88:89], s[88:89]
; %bb.1739:                             ;   in Loop: Header=BB8_891 Depth=3
	v_or_b32_e32 v17, 0x10000, v16
	v_cmp_eq_u32_sdwa vcc, v16, v2 src0_sel:WORD_0 src1_sel:DWORD
	v_cndmask_b32_e32 v17, v17, v16, vcc
; %bb.1740:                             ;   in Loop: Header=BB8_891 Depth=3
	s_or_b64 exec, exec, s[88:89]
	v_mul_f32_e32 v23, v23, v15
	v_and_b32_e32 v16, 0x7f800000, v23
	v_cmp_ne_u32_e32 vcc, s87, v16
                                        ; implicit-def: $vgpr16
	s_and_saveexec_b64 s[44:45], vcc
	s_xor_b64 s[88:89], exec, s[44:45]
; %bb.1741:                             ;   in Loop: Header=BB8_891 Depth=3
	v_bfe_u32 v16, v23, 16, 1
	v_add3_u32 v16, v23, v16, s96
                                        ; implicit-def: $vgpr23
; %bb.1742:                             ;   in Loop: Header=BB8_891 Depth=3
	s_andn2_saveexec_b64 s[88:89], s[88:89]
; %bb.1743:                             ;   in Loop: Header=BB8_891 Depth=3
	v_or_b32_e32 v16, 0x10000, v23
	v_cmp_eq_u32_sdwa vcc, v23, v2 src0_sel:WORD_0 src1_sel:DWORD
	v_cndmask_b32_e32 v16, v16, v23, vcc
; %bb.1744:                             ;   in Loop: Header=BB8_891 Depth=3
	s_or_b64 exec, exec, s[88:89]
	v_mul_f32_e32 v22, v22, v15
	v_and_b32_e32 v15, 0x7f800000, v22
	v_cmp_ne_u32_e32 vcc, s87, v15
                                        ; implicit-def: $vgpr15
	s_and_saveexec_b64 s[44:45], vcc
	s_xor_b64 s[88:89], exec, s[44:45]
; %bb.1745:                             ;   in Loop: Header=BB8_891 Depth=3
	v_bfe_u32 v15, v22, 16, 1
	v_add3_u32 v15, v22, v15, s96
                                        ; implicit-def: $vgpr22
; %bb.1746:                             ;   in Loop: Header=BB8_891 Depth=3
	s_andn2_saveexec_b64 s[88:89], s[88:89]
; %bb.1747:                             ;   in Loop: Header=BB8_891 Depth=3
	v_or_b32_e32 v15, 0x10000, v22
	v_cmp_eq_u32_sdwa vcc, v22, v2 src0_sel:WORD_0 src1_sel:DWORD
	v_cndmask_b32_e32 v15, v15, v22, vcc
; %bb.1748:                             ;   in Loop: Header=BB8_891 Depth=3
	s_or_b64 exec, exec, s[88:89]
	v_and_b32_e32 v21, 0xffff0000, v21
	v_add_f32_e32 v21, v14, v21
	v_and_b32_e32 v14, 0x7f800000, v21
	v_cmp_ne_u32_e32 vcc, s87, v14
                                        ; implicit-def: $vgpr14
	s_and_saveexec_b64 s[44:45], vcc
	s_xor_b64 s[88:89], exec, s[44:45]
; %bb.1749:                             ;   in Loop: Header=BB8_891 Depth=3
	v_bfe_u32 v14, v21, 16, 1
	v_add3_u32 v14, v21, v14, s96
                                        ; implicit-def: $vgpr21
; %bb.1750:                             ;   in Loop: Header=BB8_891 Depth=3
	s_andn2_saveexec_b64 s[88:89], s[88:89]
; %bb.1751:                             ;   in Loop: Header=BB8_891 Depth=3
	v_or_b32_e32 v14, 0x10000, v21
	v_cmp_eq_u32_sdwa vcc, v21, v2 src0_sel:WORD_0 src1_sel:DWORD
	v_cndmask_b32_e32 v14, v14, v21, vcc
; %bb.1752:                             ;   in Loop: Header=BB8_891 Depth=3
	s_or_b64 exec, exec, s[88:89]
	v_and_b32_e32 v21, 0xffff0000, v24
	v_add_f32_e32 v21, v13, v21
	v_and_b32_e32 v13, 0x7f800000, v21
	v_cmp_ne_u32_e32 vcc, s87, v13
                                        ; implicit-def: $vgpr13
	s_and_saveexec_b64 s[44:45], vcc
	s_xor_b64 s[88:89], exec, s[44:45]
; %bb.1753:                             ;   in Loop: Header=BB8_891 Depth=3
	v_bfe_u32 v13, v21, 16, 1
	v_add3_u32 v13, v21, v13, s96
                                        ; implicit-def: $vgpr21
; %bb.1754:                             ;   in Loop: Header=BB8_891 Depth=3
	s_andn2_saveexec_b64 s[88:89], s[88:89]
; %bb.1755:                             ;   in Loop: Header=BB8_891 Depth=3
	v_or_b32_e32 v13, 0x10000, v21
	v_cmp_eq_u32_sdwa vcc, v21, v2 src0_sel:WORD_0 src1_sel:DWORD
	v_cndmask_b32_e32 v13, v13, v21, vcc
; %bb.1756:                             ;   in Loop: Header=BB8_891 Depth=3
	s_or_b64 exec, exec, s[88:89]
	v_and_b32_e32 v20, 0xffff0000, v20
	v_add_f32_e32 v20, v11, v20
	v_and_b32_e32 v11, 0x7f800000, v20
	v_cmp_ne_u32_e32 vcc, s87, v11
                                        ; implicit-def: $vgpr11
	s_and_saveexec_b64 s[44:45], vcc
	s_xor_b64 s[88:89], exec, s[44:45]
; %bb.1757:                             ;   in Loop: Header=BB8_891 Depth=3
	v_bfe_u32 v11, v20, 16, 1
	v_add3_u32 v11, v20, v11, s96
                                        ; implicit-def: $vgpr20
; %bb.1758:                             ;   in Loop: Header=BB8_891 Depth=3
	s_andn2_saveexec_b64 s[88:89], s[88:89]
; %bb.1759:                             ;   in Loop: Header=BB8_891 Depth=3
	v_or_b32_e32 v11, 0x10000, v20
	v_cmp_eq_u32_sdwa vcc, v20, v2 src0_sel:WORD_0 src1_sel:DWORD
	v_cndmask_b32_e32 v11, v11, v20, vcc
; %bb.1760:                             ;   in Loop: Header=BB8_891 Depth=3
	s_or_b64 exec, exec, s[88:89]
	v_and_b32_e32 v19, 0xffff0000, v19
	v_add_f32_e32 v19, v10, v19
	v_and_b32_e32 v10, 0x7f800000, v19
	v_cmp_ne_u32_e32 vcc, s87, v10
                                        ; implicit-def: $vgpr10
	s_and_saveexec_b64 s[44:45], vcc
	s_xor_b64 s[88:89], exec, s[44:45]
; %bb.1761:                             ;   in Loop: Header=BB8_891 Depth=3
	v_bfe_u32 v10, v19, 16, 1
	v_add3_u32 v10, v19, v10, s96
                                        ; implicit-def: $vgpr19
; %bb.1762:                             ;   in Loop: Header=BB8_891 Depth=3
	s_andn2_saveexec_b64 s[88:89], s[88:89]
; %bb.1763:                             ;   in Loop: Header=BB8_891 Depth=3
	v_or_b32_e32 v10, 0x10000, v19
	v_cmp_eq_u32_sdwa vcc, v19, v2 src0_sel:WORD_0 src1_sel:DWORD
	v_cndmask_b32_e32 v10, v10, v19, vcc
; %bb.1764:                             ;   in Loop: Header=BB8_891 Depth=3
	s_or_b64 exec, exec, s[88:89]
	v_and_b32_e32 v18, 0xffff0000, v18
	v_add_f32_e32 v18, v9, v18
	v_and_b32_e32 v9, 0x7f800000, v18
	v_cmp_ne_u32_e32 vcc, s87, v9
                                        ; implicit-def: $vgpr9
	s_and_saveexec_b64 s[44:45], vcc
	s_xor_b64 s[88:89], exec, s[44:45]
; %bb.1765:                             ;   in Loop: Header=BB8_891 Depth=3
	v_bfe_u32 v9, v18, 16, 1
	v_add3_u32 v9, v18, v9, s96
                                        ; implicit-def: $vgpr18
; %bb.1766:                             ;   in Loop: Header=BB8_891 Depth=3
	s_andn2_saveexec_b64 s[88:89], s[88:89]
; %bb.1767:                             ;   in Loop: Header=BB8_891 Depth=3
	v_or_b32_e32 v9, 0x10000, v18
	v_cmp_eq_u32_sdwa vcc, v18, v2 src0_sel:WORD_0 src1_sel:DWORD
	v_cndmask_b32_e32 v9, v9, v18, vcc
; %bb.1768:                             ;   in Loop: Header=BB8_891 Depth=3
	s_or_b64 exec, exec, s[88:89]
	v_and_b32_e32 v17, 0xffff0000, v17
	v_add_f32_e32 v17, v5, v17
	v_and_b32_e32 v5, 0x7f800000, v17
	v_cmp_ne_u32_e32 vcc, s87, v5
                                        ; implicit-def: $vgpr5
	s_and_saveexec_b64 s[44:45], vcc
	s_xor_b64 s[88:89], exec, s[44:45]
; %bb.1769:                             ;   in Loop: Header=BB8_891 Depth=3
	v_bfe_u32 v5, v17, 16, 1
	v_add3_u32 v5, v17, v5, s96
                                        ; implicit-def: $vgpr17
; %bb.1770:                             ;   in Loop: Header=BB8_891 Depth=3
	s_andn2_saveexec_b64 s[88:89], s[88:89]
; %bb.1771:                             ;   in Loop: Header=BB8_891 Depth=3
	v_or_b32_e32 v5, 0x10000, v17
	v_cmp_eq_u32_sdwa vcc, v17, v2 src0_sel:WORD_0 src1_sel:DWORD
	v_cndmask_b32_e32 v5, v5, v17, vcc
; %bb.1772:                             ;   in Loop: Header=BB8_891 Depth=3
	s_or_b64 exec, exec, s[88:89]
	v_and_b32_e32 v16, 0xffff0000, v16
	v_add_f32_e32 v16, v3, v16
	v_and_b32_e32 v3, 0x7f800000, v16
	v_cmp_ne_u32_e32 vcc, s87, v3
                                        ; implicit-def: $vgpr3
	s_and_saveexec_b64 s[44:45], vcc
	s_xor_b64 s[88:89], exec, s[44:45]
; %bb.1773:                             ;   in Loop: Header=BB8_891 Depth=3
	v_bfe_u32 v3, v16, 16, 1
	v_add3_u32 v3, v16, v3, s96
                                        ; implicit-def: $vgpr16
; %bb.1774:                             ;   in Loop: Header=BB8_891 Depth=3
	s_andn2_saveexec_b64 s[88:89], s[88:89]
; %bb.1775:                             ;   in Loop: Header=BB8_891 Depth=3
	v_or_b32_e32 v3, 0x10000, v16
	v_cmp_eq_u32_sdwa vcc, v16, v2 src0_sel:WORD_0 src1_sel:DWORD
	v_cndmask_b32_e32 v3, v3, v16, vcc
; %bb.1776:                             ;   in Loop: Header=BB8_891 Depth=3
	s_or_b64 exec, exec, s[88:89]
	v_and_b32_e32 v15, 0xffff0000, v15
	v_add_f32_e32 v15, v8, v15
	v_and_b32_e32 v8, 0x7f800000, v15
	v_cmp_ne_u32_e32 vcc, s87, v8
                                        ; implicit-def: $vgpr8
	s_and_saveexec_b64 s[44:45], vcc
	s_xor_b64 s[88:89], exec, s[44:45]
; %bb.1777:                             ;   in Loop: Header=BB8_891 Depth=3
	v_bfe_u32 v8, v15, 16, 1
	v_add3_u32 v8, v15, v8, s96
                                        ; implicit-def: $vgpr15
; %bb.1778:                             ;   in Loop: Header=BB8_891 Depth=3
	s_andn2_saveexec_b64 s[88:89], s[88:89]
; %bb.1779:                             ;   in Loop: Header=BB8_891 Depth=3
	v_or_b32_e32 v8, 0x10000, v15
	v_cmp_eq_u32_sdwa vcc, v15, v2 src0_sel:WORD_0 src1_sel:DWORD
	v_cndmask_b32_e32 v8, v8, v15, vcc
; %bb.1780:                             ;   in Loop: Header=BB8_891 Depth=3
	s_or_b64 exec, exec, s[88:89]
	flat_store_short_d16_hi v[6:7], v14 glc slc
	flat_store_short_d16_hi v[6:7], v13 offset:128 glc slc
	flat_store_short_d16_hi v[6:7], v11 offset:256 glc slc
	;; [unrolled: 1-line block ×7, first 2 shown]
.LBB8_1781:                             ;   in Loop: Header=BB8_891 Depth=3
	s_or_b64 exec, exec, s[28:29]
	v_lshlrev_b32_e32 v1, 10, v1
	v_cmp_ne_u32_e32 vcc, v50, v1
	s_and_b64 exec, exec, vcc
	s_cbranch_execz .LBB8_1818
; %bb.1782:                             ;   in Loop: Header=BB8_891 Depth=3
	v_lshlrev_b32_e32 v3, 6, v4
	v_sub_u32_e32 v3, v45, v3
	v_ashrrev_i32_e32 v4, 31, v3
	v_lshrrev_b32_e32 v4, 26, v4
	v_add_u32_e32 v4, v3, v4
	v_and_b32_e32 v5, 0x7fffffc0, v4
	v_sub_u32_e32 v3, v3, v5
	v_lshlrev_b32_e32 v4, 1, v4
	v_and_b32_e32 v4, 0xffffff80, v4
	v_lshlrev_b32_e32 v3, 1, v3
	v_add3_u32 v3, v4, v3, v1
	v_sub_u32_e32 v1, v50, v3
	v_cmp_lt_i32_e32 vcc, 1, v1
	s_and_b64 exec, exec, vcc
	s_cbranch_execz .LBB8_1818
; %bb.1783:                             ;   in Loop: Header=BB8_891 Depth=3
	s_trap 2
	ds_read_b64 v[9:10], v0
	buffer_load_dword v4, off, s[0:3], s33 offset:240 ; 4-byte Folded Reload
	buffer_load_dword v5, off, s[0:3], s33 offset:244 ; 4-byte Folded Reload
	v_add_u32_e32 v3, v3, v12
	v_ashrrev_i32_e32 v11, 31, v3
	v_add_co_u32_e32 v6, vcc, v48, v3
	v_addc_co_u32_e32 v7, vcc, v49, v11, vcc
	s_mov_b64 s[92:93], 0
	s_mov_b64 s[88:89], 0
                                        ; implicit-def: $sgpr90_sgpr91
	s_waitcnt vmcnt(0)
	v_add_co_u32_e32 v8, vcc, v3, v4
	v_addc_co_u32_e32 v5, vcc, v11, v5, vcc
	s_waitcnt lgkmcnt(0)
	v_add_co_u32_e32 v4, vcc, v9, v3
	v_addc_co_u32_e32 v3, vcc, v10, v11, vcc
	s_branch .LBB8_1785
.LBB8_1784:                             ;   in Loop: Header=BB8_1785 Depth=4
	s_or_b64 exec, exec, s[28:29]
	v_lshrrev_b32_e32 v9, 16, v10
	buffer_store_short v9, off, s[0:3], s33 offset:64
	flat_store_short v[6:7], v9 glc slc
	buffer_load_dword v11, off, s[0:3], s33 offset:184 ; 4-byte Folded Reload
	buffer_load_dword v12, off, s[0:3], s33 offset:188 ; 4-byte Folded Reload
	;; [unrolled: 1-line block ×4, first 2 shown]
	v_mov_b32_e32 v15, 0x80
	s_waitcnt vmcnt(0)
	v_add_co_u32_e32 v9, vcc, v8, v11
	v_cndmask_b32_e64 v8, v8, v9, s[92:93]
	buffer_load_dword v9, off, s[0:3], s33 offset:168 ; 4-byte Folded Reload
	v_addc_co_u32_e32 v10, vcc, v5, v12, vcc
	v_add_co_u32_e32 v11, vcc, v4, v11
	v_addc_co_u32_e32 v12, vcc, v3, v12, vcc
	v_cndmask_b32_e64 v14, v15, v14, s[92:93]
	v_cndmask_b32_e64 v13, 0, v13, s[92:93]
	v_add_co_u32_e32 v6, vcc, v6, v14
	v_addc_co_u32_e32 v7, vcc, v7, v13, vcc
	v_cndmask_b32_e64 v3, v3, v12, s[92:93]
	v_cndmask_b32_e64 v4, v4, v11, s[92:93]
	;; [unrolled: 1-line block ×3, first 2 shown]
	s_waitcnt vmcnt(0)
	v_cndmask_b32_e64 v9, 0, v9, s[92:93]
	v_sub_u32_e32 v1, v1, v9
	v_cmp_gt_i32_e32 vcc, 2, v1
	s_or_b64 s[88:89], vcc, s[88:89]
	s_andn2_b64 s[28:29], s[90:91], exec
	s_and_b64 s[44:45], s[92:93], exec
	s_or_b64 s[90:91], s[28:29], s[44:45]
	s_andn2_b64 exec, exec, s[88:89]
	s_cbranch_execz .LBB8_1808
.LBB8_1785:                             ;   Parent Loop BB8_47 Depth=1
                                        ;     Parent Loop BB8_888 Depth=2
                                        ;       Parent Loop BB8_891 Depth=3
                                        ; =>      This Loop Header: Depth=4
                                        ;           Child Loop BB8_1786 Depth 5
                                        ;           Child Loop BB8_1799 Depth 5
	s_lshr_b32 s44, s33, 6
	s_add_i32 s44, s44, 64
	s_mov_b64 s[94:95], -1
	s_mov_b64 s[30:31], 0
.LBB8_1786:                             ;   Parent Loop BB8_47 Depth=1
                                        ;     Parent Loop BB8_888 Depth=2
                                        ;       Parent Loop BB8_891 Depth=3
                                        ;         Parent Loop BB8_1785 Depth=4
                                        ; =>        This Inner Loop Header: Depth=5
	s_cmp_eq_u32 s30, 1
	s_cselect_b64 s[28:29], -1, 0
	v_cndmask_b32_e64 v10, v5, v3, s[28:29]
	v_cndmask_b32_e64 v9, v8, v4, s[28:29]
	flat_load_ushort v11, v[9:10] glc slc
	v_add_co_u32_e32 v9, vcc, 0x80, v9
	v_addc_co_u32_e32 v10, vcc, 0, v10, vcc
	s_cmp_eq_u32 s30, 0
	v_mov_b32_e32 v12, s44
	s_cselect_b64 vcc, -1, 0
	s_lshr_b32 s44, s33, 6
	s_addk_i32 s44, 0x60
	v_cndmask_b32_e64 v3, v3, v10, s[28:29]
	v_cndmask_b32_e64 v4, v4, v9, s[28:29]
	v_cndmask_b32_e32 v5, v5, v10, vcc
	v_cndmask_b32_e32 v8, v8, v9, vcc
	s_mov_b64 s[30:31], 1
	s_and_b64 vcc, exec, s[94:95]
	s_mov_b64 s[94:95], 0
	s_waitcnt vmcnt(0) lgkmcnt(0)
	buffer_store_short v11, v12, s[0:3], 0 offen
	s_cbranch_vccnz .LBB8_1786
; %bb.1787:                             ;   in Loop: Header=BB8_1785 Depth=4
	s_and_saveexec_b64 s[28:29], s[92:93]
	s_cbranch_execz .LBB8_1797
; %bb.1788:                             ;   in Loop: Header=BB8_1785 Depth=4
	s_trap 2
	buffer_load_ushort v9, off, s[0:3], s33 offset:56
	ds_read_b32 v10, v0
	s_waitcnt lgkmcnt(0)
	v_lshlrev_b32_e32 v10, 16, v10
	s_waitcnt vmcnt(0)
	v_lshlrev_b32_e32 v9, 16, v9
	v_mul_f32_e32 v10, v10, v9
	v_and_b32_e32 v9, 0x7f800000, v10
	v_cmp_ne_u32_e32 vcc, s87, v9
                                        ; implicit-def: $vgpr9
	s_and_saveexec_b64 s[44:45], vcc
	s_xor_b64 s[92:93], exec, s[44:45]
; %bb.1789:                             ;   in Loop: Header=BB8_1785 Depth=4
	v_bfe_u32 v9, v10, 16, 1
	v_add3_u32 v9, v10, v9, s96
                                        ; implicit-def: $vgpr10
; %bb.1790:                             ;   in Loop: Header=BB8_1785 Depth=4
	s_andn2_saveexec_b64 s[92:93], s[92:93]
; %bb.1791:                             ;   in Loop: Header=BB8_1785 Depth=4
	v_or_b32_e32 v9, 0x10000, v10
	v_cmp_eq_u32_sdwa vcc, v10, v2 src0_sel:WORD_0 src1_sel:DWORD
	v_cndmask_b32_e32 v9, v9, v10, vcc
; %bb.1792:                             ;   in Loop: Header=BB8_1785 Depth=4
	s_or_b64 exec, exec, s[92:93]
	buffer_load_ushort v10, off, s[0:3], s33 offset:58
	v_and_b32_e32 v9, 0xffff0000, v9
	s_waitcnt vmcnt(0)
	v_lshlrev_b32_e32 v10, 16, v10
	v_add_f32_e32 v9, v9, v10
	v_and_b32_e32 v10, 0x7f800000, v9
	v_cmp_ne_u32_e32 vcc, s87, v10
                                        ; implicit-def: $vgpr10
	s_and_saveexec_b64 s[44:45], vcc
	s_xor_b64 s[92:93], exec, s[44:45]
; %bb.1793:                             ;   in Loop: Header=BB8_1785 Depth=4
	v_bfe_u32 v10, v9, 16, 1
	v_add3_u32 v10, v9, v10, s96
                                        ; implicit-def: $vgpr9
; %bb.1794:                             ;   in Loop: Header=BB8_1785 Depth=4
	s_andn2_saveexec_b64 s[92:93], s[92:93]
; %bb.1795:                             ;   in Loop: Header=BB8_1785 Depth=4
	v_or_b32_e32 v10, 0x10000, v9
	v_cmp_eq_u32_sdwa vcc, v9, v2 src0_sel:WORD_0 src1_sel:DWORD
	v_cndmask_b32_e32 v10, v10, v9, vcc
; %bb.1796:                             ;   in Loop: Header=BB8_1785 Depth=4
	s_or_b64 exec, exec, s[92:93]
	v_lshrrev_b32_e32 v9, 16, v10
	buffer_store_short v9, off, s[0:3], s33 offset:56
	flat_store_short v[6:7], v9 glc slc
	buffer_load_dword v9, off, s[0:3], s33 offset:192 ; 4-byte Folded Reload
	s_waitcnt vmcnt(0)
	v_add_co_u32_e32 v6, vcc, v6, v9
	buffer_load_dword v9, off, s[0:3], s33 offset:196 ; 4-byte Folded Reload
	s_waitcnt vmcnt(0)
	v_addc_co_u32_e32 v7, vcc, v7, v9, vcc
.LBB8_1797:                             ;   in Loop: Header=BB8_1785 Depth=4
	s_or_b64 exec, exec, s[28:29]
	buffer_load_dword v9, off, s[0:3], s33 offset:184 ; 4-byte Folded Reload
	buffer_load_dword v10, off, s[0:3], s33 offset:188 ; 4-byte Folded Reload
	s_waitcnt vmcnt(0)
	v_add_co_u32_e32 v8, vcc, v8, v9
	v_addc_co_u32_e32 v5, vcc, v5, v10, vcc
	v_add_co_u32_e32 v4, vcc, v4, v9
	buffer_load_dword v9, off, s[0:3], s33 offset:168 ; 4-byte Folded Reload
	v_addc_co_u32_e32 v3, vcc, v3, v10, vcc
	s_waitcnt vmcnt(0)
	v_sub_u32_e32 v1, v1, v9
	v_cmp_lt_i32_e64 s[92:93], 1, v1
	s_and_saveexec_b64 s[94:95], s[92:93]
	s_cbranch_execz .LBB8_1800
; %bb.1798:                             ;   in Loop: Header=BB8_1785 Depth=4
	s_lshr_b32 s44, s33, 6
	s_add_i32 s44, s44, 56
	s_mov_b64 s[34:35], 0
	s_mov_b64 s[30:31], -1
.LBB8_1799:                             ;   Parent Loop BB8_47 Depth=1
                                        ;     Parent Loop BB8_888 Depth=2
                                        ;       Parent Loop BB8_891 Depth=3
                                        ;         Parent Loop BB8_1785 Depth=4
                                        ; =>        This Inner Loop Header: Depth=5
	s_cmp_eq_u32 s34, 1
	s_cselect_b64 s[28:29], -1, 0
	v_cndmask_b32_e64 v10, v5, v3, s[28:29]
	v_cndmask_b32_e64 v9, v8, v4, s[28:29]
	flat_load_ushort v11, v[9:10] glc slc
	v_add_co_u32_e32 v9, vcc, 0x80, v9
	v_addc_co_u32_e32 v10, vcc, 0, v10, vcc
	s_cmp_eq_u32 s34, 0
	v_mov_b32_e32 v12, s44
	s_cselect_b64 vcc, -1, 0
	s_lshr_b32 s44, s33, 6
	s_add_i32 s44, s44, 58
	v_cndmask_b32_e32 v5, v5, v10, vcc
	v_cndmask_b32_e32 v8, v8, v9, vcc
	v_cndmask_b32_e64 v3, v3, v10, s[28:29]
	v_cndmask_b32_e64 v4, v4, v9, s[28:29]
	s_mov_b64 s[34:35], 1
	s_and_b64 vcc, exec, s[30:31]
	s_mov_b64 s[30:31], 0
	s_waitcnt vmcnt(0) lgkmcnt(0)
	buffer_store_short v11, v12, s[0:3], 0 offen
	s_cbranch_vccnz .LBB8_1799
.LBB8_1800:                             ;   in Loop: Header=BB8_1785 Depth=4
	s_or_b64 exec, exec, s[94:95]
	s_trap 2
	buffer_load_ushort v9, off, s[0:3], s33 offset:64
	ds_read_b32 v10, v0
	s_waitcnt lgkmcnt(0)
	v_lshlrev_b32_e32 v10, 16, v10
	s_waitcnt vmcnt(0)
	v_lshlrev_b32_e32 v9, 16, v9
	v_mul_f32_e32 v9, v10, v9
	v_and_b32_e32 v10, 0x7f800000, v9
	v_cmp_ne_u32_e32 vcc, s87, v10
                                        ; implicit-def: $vgpr10
	s_and_saveexec_b64 s[28:29], vcc
	s_xor_b64 s[28:29], exec, s[28:29]
; %bb.1801:                             ;   in Loop: Header=BB8_1785 Depth=4
	v_bfe_u32 v10, v9, 16, 1
	v_add3_u32 v10, v9, v10, s96
                                        ; implicit-def: $vgpr9
; %bb.1802:                             ;   in Loop: Header=BB8_1785 Depth=4
	s_andn2_saveexec_b64 s[28:29], s[28:29]
; %bb.1803:                             ;   in Loop: Header=BB8_1785 Depth=4
	v_or_b32_e32 v10, 0x10000, v9
	v_cmp_eq_u32_sdwa vcc, v9, v2 src0_sel:WORD_0 src1_sel:DWORD
	v_cndmask_b32_e32 v10, v10, v9, vcc
; %bb.1804:                             ;   in Loop: Header=BB8_1785 Depth=4
	s_or_b64 exec, exec, s[28:29]
	buffer_load_ushort v9, off, s[0:3], s33 offset:96
	v_and_b32_e32 v10, 0xffff0000, v10
	s_waitcnt vmcnt(0)
	v_lshlrev_b32_e32 v9, 16, v9
	v_add_f32_e32 v9, v10, v9
	v_and_b32_e32 v10, 0x7f800000, v9
	v_cmp_ne_u32_e32 vcc, s87, v10
                                        ; implicit-def: $vgpr10
	s_and_saveexec_b64 s[28:29], vcc
	s_xor_b64 s[28:29], exec, s[28:29]
; %bb.1805:                             ;   in Loop: Header=BB8_1785 Depth=4
	v_bfe_u32 v10, v9, 16, 1
	v_add3_u32 v10, v9, v10, s96
                                        ; implicit-def: $vgpr9
; %bb.1806:                             ;   in Loop: Header=BB8_1785 Depth=4
	s_andn2_saveexec_b64 s[28:29], s[28:29]
	s_cbranch_execz .LBB8_1784
; %bb.1807:                             ;   in Loop: Header=BB8_1785 Depth=4
	v_or_b32_e32 v10, 0x10000, v9
	v_cmp_eq_u32_sdwa vcc, v9, v2 src0_sel:WORD_0 src1_sel:DWORD
	v_cndmask_b32_e32 v10, v10, v9, vcc
	s_branch .LBB8_1784
.LBB8_1808:                             ;   in Loop: Header=BB8_891 Depth=3
	s_or_b64 exec, exec, s[88:89]
	s_and_b64 exec, exec, s[90:91]
	s_cbranch_execz .LBB8_1818
; %bb.1809:                             ;   in Loop: Header=BB8_891 Depth=3
	s_trap 2
	buffer_load_ushort v1, off, s[0:3], s33 offset:56
	ds_read_b32 v3, v0
	s_waitcnt lgkmcnt(0)
	v_lshlrev_b32_e32 v3, 16, v3
	s_waitcnt vmcnt(0)
	v_lshlrev_b32_e32 v1, 16, v1
	v_mul_f32_e32 v3, v3, v1
	v_and_b32_e32 v1, 0x7f800000, v3
	v_cmp_ne_u32_e32 vcc, s87, v1
                                        ; implicit-def: $vgpr1
	s_and_saveexec_b64 s[28:29], vcc
	s_xor_b64 s[28:29], exec, s[28:29]
; %bb.1810:                             ;   in Loop: Header=BB8_891 Depth=3
	v_bfe_u32 v1, v3, 16, 1
	v_add3_u32 v1, v3, v1, s96
                                        ; implicit-def: $vgpr3
; %bb.1811:                             ;   in Loop: Header=BB8_891 Depth=3
	s_andn2_saveexec_b64 s[28:29], s[28:29]
; %bb.1812:                             ;   in Loop: Header=BB8_891 Depth=3
	v_or_b32_e32 v1, 0x10000, v3
	v_cmp_eq_u32_sdwa vcc, v3, v2 src0_sel:WORD_0 src1_sel:DWORD
	v_cndmask_b32_e32 v1, v1, v3, vcc
; %bb.1813:                             ;   in Loop: Header=BB8_891 Depth=3
	s_or_b64 exec, exec, s[28:29]
	buffer_load_ushort v3, off, s[0:3], s33 offset:58
	v_and_b32_e32 v1, 0xffff0000, v1
	s_waitcnt vmcnt(0)
	v_lshlrev_b32_e32 v3, 16, v3
	v_add_f32_e32 v1, v1, v3
	v_and_b32_e32 v3, 0x7f800000, v1
	v_cmp_ne_u32_e32 vcc, s87, v3
                                        ; implicit-def: $vgpr3
	s_and_saveexec_b64 s[28:29], vcc
	s_xor_b64 s[28:29], exec, s[28:29]
; %bb.1814:                             ;   in Loop: Header=BB8_891 Depth=3
	v_bfe_u32 v3, v1, 16, 1
	v_add3_u32 v3, v1, v3, s96
                                        ; implicit-def: $vgpr1
; %bb.1815:                             ;   in Loop: Header=BB8_891 Depth=3
	s_andn2_saveexec_b64 s[28:29], s[28:29]
; %bb.1816:                             ;   in Loop: Header=BB8_891 Depth=3
	v_or_b32_e32 v3, 0x10000, v1
	v_cmp_eq_u32_sdwa vcc, v1, v2 src0_sel:WORD_0 src1_sel:DWORD
	v_cndmask_b32_e32 v3, v3, v1, vcc
; %bb.1817:                             ;   in Loop: Header=BB8_891 Depth=3
	s_or_b64 exec, exec, s[28:29]
	flat_store_short_d16_hi v[6:7], v3 glc slc
.LBB8_1818:                             ;   in Loop: Header=BB8_891 Depth=3
	s_or_b64 exec, exec, s[40:41]
	v_cmp_lt_i32_e64 s[28:29], 0, v39
	s_and_saveexec_b64 s[40:41], s[10:11]
	s_cbranch_execz .LBB8_966
.LBB8_1819:                             ;   in Loop: Header=BB8_891 Depth=3
	s_and_saveexec_b64 s[44:45], s[56:57]
	s_xor_b64 s[88:89], exec, s[44:45]
	s_cbranch_execz .LBB8_1834
; %bb.1820:                             ;   in Loop: Header=BB8_891 Depth=3
	s_and_saveexec_b64 s[90:91], s[16:17]
	s_cbranch_execz .LBB8_1833
; %bb.1821:                             ;   in Loop: Header=BB8_891 Depth=3
	s_mov_b64 s[94:95], exec
	v_mbcnt_lo_u32_b32 v1, s94, 0
	v_mbcnt_hi_u32_b32 v1, s95, v1
	v_cmp_eq_u32_e32 vcc, 0, v1
	s_waitcnt vmcnt(0) lgkmcnt(0)
	buffer_wbinvl1_vol
	s_and_saveexec_b64 s[92:93], vcc
	s_cbranch_execz .LBB8_1823
; %bb.1822:                             ;   in Loop: Header=BB8_891 Depth=3
	s_bcnt1_i32_b64 s44, s[94:95]
	v_mov_b32_e32 v3, s44
	v_mov_b32_e32 v4, v2
	ds_add_u64 v0, v[3:4]
	s_trap 2
.LBB8_1823:                             ;   in Loop: Header=BB8_891 Depth=3
	s_or_b64 exec, exec, s[92:93]
	s_trap 2
	ds_read_b64 v[3:4], v0
	s_waitcnt lgkmcnt(0)
	buffer_load_dword v1, off, s[0:3], s33 offset:128 ; 4-byte Folded Reload
	buffer_load_dword v5, off, s[0:3], s33 offset:144 ; 4-byte Folded Reload
	;; [unrolled: 1-line block ×3, first 2 shown]
	s_waitcnt vmcnt(1)
	v_add_co_u32_e32 v5, vcc, v5, v1
	s_waitcnt vmcnt(0)
	v_addc_co_u32_e32 v6, vcc, 0, v6, vcc
	buffer_store_dword v5, off, s[0:3], s33 offset:144 ; 4-byte Folded Spill
	s_nop 0
	buffer_store_dword v6, off, s[0:3], s33 offset:148 ; 4-byte Folded Spill
	v_cmp_lt_u64_e32 vcc, v[3:4], v[5:6]
	s_and_saveexec_b64 s[92:93], vcc
	s_cbranch_execz .LBB8_1832
; %bb.1824:                             ;   in Loop: Header=BB8_891 Depth=3
	s_mov_b32 s44, 0
	s_mov_b64 s[94:95], 0
                                        ; implicit-def: $sgpr30_sgpr31
                                        ; implicit-def: $sgpr34_sgpr35
	s_branch .LBB8_1826
.LBB8_1825:                             ;   in Loop: Header=BB8_1826 Depth=4
	s_or_b64 exec, exec, s[38:39]
	s_and_b64 vcc, exec, vcc
	s_or_b64 s[94:95], vcc, s[94:95]
	s_andn2_b64 vcc, s[30:31], exec
	s_and_b64 s[30:31], s[34:35], exec
	s_or_b64 s[30:31], vcc, s[30:31]
	s_andn2_b64 exec, exec, s[94:95]
	s_cbranch_execz .LBB8_1830
.LBB8_1826:                             ;   Parent Loop BB8_47 Depth=1
                                        ;     Parent Loop BB8_888 Depth=2
                                        ;       Parent Loop BB8_891 Depth=3
                                        ; =>      This Inner Loop Header: Depth=4
	s_add_i32 s44, s44, 1
	s_cmpk_lg_i32 s44, 0x2710
	s_cselect_b64 s[36:37], -1, 0
	s_and_b64 vcc, exec, s[36:37]
	s_cbranch_vccz .LBB8_1828
; %bb.1827:                             ;   in Loop: Header=BB8_1826 Depth=4
	s_mov_b64 vcc, -1
	s_or_b64 s[34:35], s[34:35], exec
	s_and_saveexec_b64 s[38:39], s[36:37]
	s_cbranch_execz .LBB8_1825
	s_branch .LBB8_1829
.LBB8_1828:                             ;   in Loop: Header=BB8_1826 Depth=4
	s_trap 2
	ds_read_b64 v[3:4], v0
	s_andn2_b64 s[36:37], s[36:37], exec
	s_mov_b32 s44, 0
	s_waitcnt vmcnt(0) lgkmcnt(0)
	flat_load_dword v1, v[3:4] glc
	s_waitcnt vmcnt(0) lgkmcnt(0)
	buffer_wbinvl1_vol
	v_cmp_eq_u32_e32 vcc, 0, v1
	s_and_b64 vcc, vcc, exec
	s_or_b64 s[36:37], s[36:37], vcc
	s_mov_b64 vcc, -1
	s_or_b64 s[34:35], s[34:35], exec
	s_and_saveexec_b64 s[38:39], s[36:37]
	s_cbranch_execz .LBB8_1825
.LBB8_1829:                             ;   in Loop: Header=BB8_1826 Depth=4
	s_sleep 1
	s_trap 2
	ds_read_b64 v[3:4], v0
	s_waitcnt lgkmcnt(0)
	buffer_load_dword v5, off, s[0:3], s33 offset:144 ; 4-byte Folded Reload
	buffer_load_dword v6, off, s[0:3], s33 offset:148 ; 4-byte Folded Reload
	s_andn2_b64 s[34:35], s[34:35], exec
	s_waitcnt vmcnt(0)
	v_cmp_ge_u64_e32 vcc, v[3:4], v[5:6]
	s_orn2_b64 vcc, vcc, exec
	s_branch .LBB8_1825
.LBB8_1830:                             ;   in Loop: Header=BB8_891 Depth=3
	s_or_b64 exec, exec, s[94:95]
	s_and_saveexec_b64 s[44:45], s[30:31]
	s_xor_b64 s[44:45], exec, s[44:45]
	s_cbranch_execz .LBB8_1832
; %bb.1831:                             ;   in Loop: Header=BB8_891 Depth=3
	v_mov_b32_e32 v1, 1
	ds_write_b32 v0, v1
	s_trap 2
.LBB8_1832:                             ;   in Loop: Header=BB8_891 Depth=3
	s_or_b64 exec, exec, s[92:93]
	;;#ASMSTART
	s_wakeup
	;;#ASMEND
.LBB8_1833:                             ;   in Loop: Header=BB8_891 Depth=3
	s_or_b64 exec, exec, s[90:91]
.LBB8_1834:                             ;   in Loop: Header=BB8_891 Depth=3
	s_andn2_saveexec_b64 s[88:89], s[88:89]
	s_cbranch_execz .LBB8_1836
; %bb.1835:                             ;   in Loop: Header=BB8_891 Depth=3
	s_waitcnt vmcnt(0) lgkmcnt(0)
	buffer_wbinvl1_vol
	s_barrier
.LBB8_1836:                             ;   in Loop: Header=BB8_891 Depth=3
	s_or_b64 exec, exec, s[88:89]
	s_or_b64 exec, exec, s[40:41]
                                        ; implicit-def: $vgpr1
	s_and_saveexec_b64 s[40:41], s[24:25]
	s_xor_b64 s[40:41], exec, s[40:41]
	s_cbranch_execnz .LBB8_967
.LBB8_1837:                             ;   in Loop: Header=BB8_891 Depth=3
	s_andn2_saveexec_b64 s[28:29], s[40:41]
	s_cbranch_execz .LBB8_1856
.LBB8_1838:                             ;   in Loop: Header=BB8_891 Depth=3
	s_and_saveexec_b64 s[40:41], s[56:57]
	s_xor_b64 s[40:41], exec, s[40:41]
	s_cbranch_execz .LBB8_1853
; %bb.1839:                             ;   in Loop: Header=BB8_891 Depth=3
	s_and_saveexec_b64 s[88:89], s[16:17]
	s_cbranch_execz .LBB8_1852
; %bb.1840:                             ;   in Loop: Header=BB8_891 Depth=3
	s_mov_b64 s[92:93], exec
	v_mbcnt_lo_u32_b32 v1, s92, 0
	v_mbcnt_hi_u32_b32 v1, s93, v1
	v_cmp_eq_u32_e32 vcc, 0, v1
	;;#ASMSTART
	s_waitcnt lgkmcnt(0) vmcnt(0)
	;;#ASMEND
	s_and_saveexec_b64 s[90:91], vcc
	s_cbranch_execz .LBB8_1842
; %bb.1841:                             ;   in Loop: Header=BB8_891 Depth=3
	s_bcnt1_i32_b64 s44, s[92:93]
	s_waitcnt vmcnt(0)
	v_mov_b32_e32 v3, s44
	v_mov_b32_e32 v4, v2
	s_waitcnt lgkmcnt(0)
	ds_add_u64 v0, v[3:4]
	s_trap 2
.LBB8_1842:                             ;   in Loop: Header=BB8_891 Depth=3
	s_or_b64 exec, exec, s[90:91]
	s_trap 2
	s_waitcnt vmcnt(0)
	ds_read_b64 v[3:4], v0
	s_waitcnt lgkmcnt(0)
	buffer_load_dword v1, off, s[0:3], s33 offset:128 ; 4-byte Folded Reload
	buffer_load_dword v5, off, s[0:3], s33 offset:144 ; 4-byte Folded Reload
	;; [unrolled: 1-line block ×3, first 2 shown]
	s_waitcnt vmcnt(1)
	v_add_co_u32_e32 v5, vcc, v5, v1
	s_waitcnt vmcnt(0)
	v_addc_co_u32_e32 v6, vcc, 0, v6, vcc
	buffer_store_dword v5, off, s[0:3], s33 offset:144 ; 4-byte Folded Spill
	s_nop 0
	buffer_store_dword v6, off, s[0:3], s33 offset:148 ; 4-byte Folded Spill
	v_cmp_lt_u64_e32 vcc, v[3:4], v[5:6]
	s_and_saveexec_b64 s[90:91], vcc
	s_cbranch_execz .LBB8_1851
; %bb.1843:                             ;   in Loop: Header=BB8_891 Depth=3
	s_mov_b32 s44, 0
	s_mov_b64 s[92:93], 0
                                        ; implicit-def: $sgpr94_sgpr95
                                        ; implicit-def: $sgpr30_sgpr31
	s_branch .LBB8_1845
.LBB8_1844:                             ;   in Loop: Header=BB8_1845 Depth=4
	s_or_b64 exec, exec, s[36:37]
	s_and_b64 vcc, exec, vcc
	s_or_b64 s[92:93], vcc, s[92:93]
	s_andn2_b64 s[94:95], s[94:95], exec
	s_and_b64 vcc, s[30:31], exec
	s_or_b64 s[94:95], s[94:95], vcc
	s_andn2_b64 exec, exec, s[92:93]
	s_cbranch_execz .LBB8_1849
.LBB8_1845:                             ;   Parent Loop BB8_47 Depth=1
                                        ;     Parent Loop BB8_888 Depth=2
                                        ;       Parent Loop BB8_891 Depth=3
                                        ; =>      This Inner Loop Header: Depth=4
	s_add_i32 s44, s44, 1
	s_cmpk_lg_i32 s44, 0x2710
	s_cselect_b64 s[34:35], -1, 0
	s_and_b64 vcc, exec, s[34:35]
	s_cbranch_vccz .LBB8_1847
; %bb.1846:                             ;   in Loop: Header=BB8_1845 Depth=4
	s_mov_b64 vcc, -1
	s_or_b64 s[30:31], s[30:31], exec
	s_and_saveexec_b64 s[36:37], s[34:35]
	s_cbranch_execz .LBB8_1844
	s_branch .LBB8_1848
.LBB8_1847:                             ;   in Loop: Header=BB8_1845 Depth=4
	s_trap 2
	ds_read_b64 v[3:4], v0
	s_andn2_b64 s[34:35], s[34:35], exec
	s_mov_b32 s44, 0
	s_waitcnt vmcnt(0) lgkmcnt(0)
	flat_load_dword v1, v[3:4] glc
	s_waitcnt vmcnt(0) lgkmcnt(0)
	buffer_wbinvl1_vol
	v_cmp_eq_u32_e32 vcc, 0, v1
	s_and_b64 vcc, vcc, exec
	s_or_b64 s[34:35], s[34:35], vcc
	s_mov_b64 vcc, -1
	s_or_b64 s[30:31], s[30:31], exec
	s_and_saveexec_b64 s[36:37], s[34:35]
	s_cbranch_execz .LBB8_1844
.LBB8_1848:                             ;   in Loop: Header=BB8_1845 Depth=4
	s_sleep 1
	s_trap 2
	ds_read_b64 v[3:4], v0
	s_waitcnt lgkmcnt(0)
	buffer_load_dword v5, off, s[0:3], s33 offset:144 ; 4-byte Folded Reload
	buffer_load_dword v6, off, s[0:3], s33 offset:148 ; 4-byte Folded Reload
	s_andn2_b64 s[30:31], s[30:31], exec
	s_waitcnt vmcnt(0)
	v_cmp_ge_u64_e32 vcc, v[3:4], v[5:6]
	s_orn2_b64 vcc, vcc, exec
	s_branch .LBB8_1844
.LBB8_1849:                             ;   in Loop: Header=BB8_891 Depth=3
	s_or_b64 exec, exec, s[92:93]
	s_and_saveexec_b64 s[44:45], s[94:95]
	s_xor_b64 s[44:45], exec, s[44:45]
	s_cbranch_execz .LBB8_1851
; %bb.1850:                             ;   in Loop: Header=BB8_891 Depth=3
	v_mov_b32_e32 v1, 1
	ds_write_b32 v0, v1
	s_trap 2
.LBB8_1851:                             ;   in Loop: Header=BB8_891 Depth=3
	s_or_b64 exec, exec, s[90:91]
	;;#ASMSTART
	s_wakeup
	;;#ASMEND
.LBB8_1852:                             ;   in Loop: Header=BB8_891 Depth=3
	s_or_b64 exec, exec, s[88:89]
.LBB8_1853:                             ;   in Loop: Header=BB8_891 Depth=3
	s_andn2_saveexec_b64 s[40:41], s[40:41]
	s_cbranch_execz .LBB8_1855
; %bb.1854:                             ;   in Loop: Header=BB8_891 Depth=3
	;;#ASMSTART
	s_waitcnt lgkmcnt(0) vmcnt(0)
	;;#ASMEND
	s_waitcnt vmcnt(0) lgkmcnt(0)
	s_barrier
.LBB8_1855:                             ;   in Loop: Header=BB8_891 Depth=3
	s_or_b64 exec, exec, s[40:41]
	buffer_load_dword v1, off, s[0:3], s33 offset:132 ; 4-byte Folded Reload
	s_waitcnt vmcnt(0)
	v_and_b32_e32 v1, 16, v1
.LBB8_1856:                             ;   in Loop: Header=BB8_891 Depth=3
	s_or_b64 exec, exec, s[28:29]
	v_cmp_ne_u32_e32 vcc, 0, v1
	s_xor_b64 s[28:29], s[12:13], -1
	s_and_b64 s[40:41], vcc, s[28:29]
	s_and_saveexec_b64 s[28:29], s[40:41]
	s_cbranch_execz .LBB8_1858
; %bb.1857:                             ;   in Loop: Header=BB8_891 Depth=3
	buffer_load_dword v3, off, s[0:3], s33 offset:232 ; 4-byte Folded Reload
	buffer_load_dword v4, off, s[0:3], s33 offset:236 ; 4-byte Folded Reload
	v_mov_b32_e32 v1, 1
	s_waitcnt vmcnt(0)
	flat_store_dword v[3:4], v1
.LBB8_1858:                             ;   in Loop: Header=BB8_891 Depth=3
	s_or_b64 exec, exec, s[28:29]
	buffer_load_dword v1, off, s[0:3], s33 offset:132 ; 4-byte Folded Reload
	s_waitcnt vmcnt(0)
	v_and_b32_e32 v1, 48, v1
	v_cmp_ne_u32_e32 vcc, 0, v1
	s_and_saveexec_b64 s[28:29], vcc
	s_cbranch_execz .LBB8_890
; %bb.1859:                             ;   in Loop: Header=BB8_891 Depth=3
	buffer_load_dword v3, off, s[0:3], s33 offset:160 ; 4-byte Folded Reload
	buffer_load_dword v4, off, s[0:3], s33 offset:164 ; 4-byte Folded Reload
	s_waitcnt vmcnt(0)
	v_add_co_u32_e32 v3, vcc, 2, v3
	v_addc_co_u32_e32 v4, vcc, 0, v4, vcc
	buffer_store_dword v3, off, s[0:3], s33 offset:160 ; 4-byte Folded Spill
	s_nop 0
	buffer_store_dword v4, off, s[0:3], s33 offset:164 ; 4-byte Folded Spill
	flat_store_dwordx2 v[40:41], v[3:4]
	s_branch .LBB8_890
.LBB8_1860:                             ;   in Loop: Header=BB8_888 Depth=2
	s_or_b64 exec, exec, s[76:77]
.LBB8_1861:                             ;   in Loop: Header=BB8_888 Depth=2
	s_or_b64 exec, exec, s[42:43]
	v_cmp_gt_i32_e32 vcc, 2, v1
	s_and_saveexec_b64 s[40:41], vcc
	s_cbranch_execz .LBB8_887
; %bb.1862:                             ;   in Loop: Header=BB8_888 Depth=2
	v_cmp_eq_u32_e64 s[76:77], 0, v1
	s_mov_b64 s[42:43], 0
	s_branch .LBB8_1864
.LBB8_1863:                             ;   in Loop: Header=BB8_1864 Depth=3
	s_or_b64 exec, exec, s[28:29]
	v_add_u32_e32 v0, v58, v0
	s_mov_b64 s[76:77], 0
	s_andn2_b64 exec, exec, s[42:43]
	s_cbranch_execz .LBB8_886
.LBB8_1864:                             ;   Parent Loop BB8_47 Depth=1
                                        ;     Parent Loop BB8_888 Depth=2
                                        ; =>    This Loop Header: Depth=3
                                        ;         Child Loop BB8_1870 Depth 4
                                        ;         Child Loop BB8_1898 Depth 4
	;; [unrolled: 1-line block ×3, first 2 shown]
	v_sub_u32_e32 v1, v36, v0
	v_min_i32_e32 v58, v58, v1
	buffer_load_dword v1, off, s[0:3], s33 offset:132 ; 4-byte Folded Reload
	s_waitcnt vmcnt(0)
	v_and_b32_e32 v1, 12, v1
	v_cmp_ne_u32_e32 vcc, 0, v1
	s_and_saveexec_b64 s[78:79], vcc
	s_cbranch_execz .LBB8_1890
; %bb.1865:                             ;   in Loop: Header=BB8_1864 Depth=3
	buffer_load_dword v1, off, s[0:3], s33 offset:132 ; 4-byte Folded Reload
	buffer_load_dword v6, off, s[0:3], s33 offset:160 ; 4-byte Folded Reload
	buffer_load_dword v7, off, s[0:3], s33 offset:164 ; 4-byte Folded Reload
	s_waitcnt vmcnt(0)
	v_and_b32_e32 v1, 8, v1
	s_waitcnt lgkmcnt(0)
	v_add_co_u32_e32 v3, vcc, v46, v1
	v_addc_co_u32_e32 v4, vcc, 0, v47, vcc
	v_add_co_u32_e32 v6, vcc, 2, v6
	v_addc_co_u32_e32 v7, vcc, 0, v7, vcc
	v_cmp_lt_u64_e32 vcc, v[3:4], v[6:7]
	s_and_saveexec_b64 s[88:89], vcc
	s_cbranch_execz .LBB8_1877
; %bb.1866:                             ;   in Loop: Header=BB8_1864 Depth=3
	buffer_load_dword v3, off, s[0:3], s33 offset:132 ; 4-byte Folded Reload
	s_mov_b32 s44, 0
	s_mov_b64 s[90:91], 0
                                        ; implicit-def: $sgpr92_sgpr93
                                        ; implicit-def: $sgpr94_sgpr95
                                        ; implicit-def: $sgpr30_sgpr31
	s_waitcnt vmcnt(0)
	v_and_b32_e32 v3, 64, v3
	v_cmp_eq_u32_e32 vcc, 0, v3
	s_branch .LBB8_1870
.LBB8_1867:                             ;   in Loop: Header=BB8_1870 Depth=4
	s_waitcnt vmcnt(0) lgkmcnt(0)
	v_add_co_u32_e64 v4, s[28:29], v46, v1
	v_addc_co_u32_e64 v5, s[28:29], 0, v47, s[28:29]
	v_cmp_ge_u64_e64 s[28:29], v[4:5], v[6:7]
	s_or_b64 s[38:39], s[38:39], exec
	s_orn2_b64 s[36:37], s[28:29], exec
.LBB8_1868:                             ;   in Loop: Header=BB8_1870 Depth=4
	s_or_b64 exec, exec, s[50:51]
	s_andn2_b64 s[28:29], s[30:31], exec
	s_and_b64 s[30:31], s[38:39], exec
	s_or_b64 s[30:31], s[28:29], s[30:31]
	s_andn2_b64 s[28:29], s[94:95], exec
	s_and_b64 s[94:95], s[36:37], exec
	s_or_b64 s[94:95], s[28:29], s[94:95]
.LBB8_1869:                             ;   in Loop: Header=BB8_1870 Depth=4
	s_or_b64 exec, exec, s[34:35]
	s_and_b64 s[28:29], exec, s[94:95]
	s_or_b64 s[90:91], s[28:29], s[90:91]
	s_andn2_b64 s[28:29], s[92:93], exec
	s_and_b64 s[92:93], s[30:31], exec
	s_or_b64 s[92:93], s[28:29], s[92:93]
	s_andn2_b64 exec, exec, s[90:91]
	s_cbranch_execz .LBB8_1874
.LBB8_1870:                             ;   Parent Loop BB8_47 Depth=1
                                        ;     Parent Loop BB8_888 Depth=2
                                        ;       Parent Loop BB8_1864 Depth=3
                                        ; =>      This Inner Loop Header: Depth=4
	s_sleep 1
	s_waitcnt vmcnt(0) lgkmcnt(0)
	flat_load_dwordx2 v[46:47], v[40:41] glc
	s_or_b64 s[30:31], s[30:31], exec
	s_or_b64 s[94:95], s[94:95], exec
                                        ; implicit-def: $vgpr3
	s_and_saveexec_b64 s[34:35], vcc
	s_cbranch_execz .LBB8_1869
; %bb.1871:                             ;   in Loop: Header=BB8_1870 Depth=4
	s_cmpk_lt_i32 s44, 0x270f
	s_cselect_b64 s[48:49], -1, 0
	s_cmpk_gt_i32 s44, 0x270e
	s_mov_b64 s[36:37], -1
	s_cbranch_scc0 .LBB8_1873
; %bb.1872:                             ;   in Loop: Header=BB8_1870 Depth=4
	s_trap 2
	ds_read_b64 v[3:4], v0
	s_andn2_b64 s[48:49], s[48:49], exec
	s_mov_b32 s44, 0
	s_mov_b64 s[38:39], 0
	s_waitcnt vmcnt(0) lgkmcnt(0)
	flat_load_dword v3, v[3:4] glc
	s_waitcnt vmcnt(0) lgkmcnt(0)
	buffer_wbinvl1_vol
	v_cmp_eq_u32_e64 s[28:29], 0, v3
	s_and_b64 s[28:29], s[28:29], exec
	s_or_b64 s[48:49], s[48:49], s[28:29]
	s_and_saveexec_b64 s[50:51], s[48:49]
	s_cbranch_execz .LBB8_1868
	s_branch .LBB8_1867
.LBB8_1873:                             ;   in Loop: Header=BB8_1870 Depth=4
	s_add_i32 s44, s44, 1
	s_mov_b64 s[38:39], -1
                                        ; implicit-def: $vgpr3
	s_and_saveexec_b64 s[50:51], s[48:49]
	s_cbranch_execz .LBB8_1868
	s_branch .LBB8_1867
.LBB8_1874:                             ;   in Loop: Header=BB8_1864 Depth=3
	s_or_b64 exec, exec, s[90:91]
	s_xor_b64 s[28:29], s[92:93], -1
	s_and_saveexec_b64 s[44:45], s[28:29]
	s_xor_b64 s[28:29], exec, s[44:45]
	s_cbranch_execz .LBB8_1876
; %bb.1875:                             ;   in Loop: Header=BB8_1864 Depth=3
	s_waitcnt lgkmcnt(0)
	ds_write_b32 v0, v3
	s_trap 2
	buffer_load_dword v3, off, s[0:3], s33 offset:132 ; 4-byte Folded Reload
	s_waitcnt vmcnt(0)
	v_or_b32_e32 v3, 64, v3
	buffer_store_dword v3, off, s[0:3], s33 offset:132 ; 4-byte Folded Spill
.LBB8_1876:                             ;   in Loop: Header=BB8_1864 Depth=3
	s_or_b64 exec, exec, s[28:29]
.LBB8_1877:                             ;   in Loop: Header=BB8_1864 Depth=3
	s_or_b64 exec, exec, s[88:89]
	;;#ASMSTART
	s_wakeup
	;;#ASMEND
	buffer_load_dword v3, off, s[0:3], s33 offset:132 ; 4-byte Folded Reload
                                        ; implicit-def: $vgpr8_vgpr9
	s_waitcnt vmcnt(0)
	v_and_b32_e32 v3, 0x108, v3
	v_cmp_ne_u32_e32 vcc, s46, v3
	s_and_saveexec_b64 s[28:29], vcc
	s_xor_b64 s[28:29], exec, s[28:29]
	s_cbranch_execz .LBB8_1879
; %bb.1878:                             ;   in Loop: Header=BB8_1864 Depth=3
	buffer_load_dword v3, off, s[0:3], s33 offset:160 ; 4-byte Folded Reload
	buffer_load_dword v4, off, s[0:3], s33 offset:164 ; 4-byte Folded Reload
	v_mov_b32_e32 v9, v2
	s_waitcnt vmcnt(0)
	v_and_b32_e32 v8, 7, v3
                                        ; implicit-def: $vgpr3_vgpr4
                                        ; kill: killed $vgpr3_vgpr4
.LBB8_1879:                             ;   in Loop: Header=BB8_1864 Depth=3
	s_andn2_saveexec_b64 s[28:29], s[28:29]
	s_cbranch_execz .LBB8_1881
; %bb.1880:                             ;   in Loop: Header=BB8_1864 Depth=3
	buffer_load_dword v3, off, s[0:3], s33 offset:160 ; 4-byte Folded Reload
	buffer_load_dword v4, off, s[0:3], s33 offset:164 ; 4-byte Folded Reload
	;; [unrolled: 1-line block ×6, first 2 shown]
	v_ashrrev_i32_e32 v59, 31, v58
	s_waitcnt vmcnt(0)
	v_and_b32_e32 v8, 7, v3
	v_mad_u64_u32 v[3:4], s[44:45], v8, 24, v[9:10]
	v_lshlrev_b64 v[10:11], 1, v[58:59]
	v_mov_b32_e32 v9, v2
	flat_store_dwordx2 v[3:4], v[10:11] offset:8
.LBB8_1881:                             ;   in Loop: Header=BB8_1864 Depth=3
	s_or_b64 exec, exec, s[28:29]
	buffer_load_dword v3, off, s[0:3], s33 offset:132 ; 4-byte Folded Reload
	s_mov_b64 s[28:29], -1
	s_waitcnt vmcnt(0)
	v_and_b32_e32 v3, 0x100, v3
	v_cmp_ne_u32_e32 vcc, 0, v3
                                        ; implicit-def: $vgpr3_vgpr4
	s_and_saveexec_b64 s[88:89], vcc
	s_cbranch_execz .LBB8_1885
; %bb.1882:                             ;   in Loop: Header=BB8_1864 Depth=3
	buffer_load_dword v10, off, s[0:3], s33 offset:216 ; 4-byte Folded Reload
	buffer_load_dword v11, off, s[0:3], s33 offset:220 ; 4-byte Folded Reload
	;; [unrolled: 1-line block ×4, first 2 shown]
	s_waitcnt vmcnt(0)
	v_mad_u64_u32 v[10:11], s[28:29], v8, 24, v[10:11]
	v_mov_b32_e32 v3, v11
	v_mad_u64_u32 v[3:4], s[28:29], v9, 24, v[3:4]
	v_mov_b32_e32 v11, v3
	flat_load_dword v3, v[10:11]
	s_waitcnt vmcnt(0) lgkmcnt(0)
	v_cmp_ne_u32_e32 vcc, 1, v3
	v_cmp_eq_u32_e64 s[28:29], 1, v3
                                        ; implicit-def: $vgpr3_vgpr4
	s_and_saveexec_b64 s[90:91], s[28:29]
	s_cbranch_execz .LBB8_1884
; %bb.1883:                             ;   in Loop: Header=BB8_1864 Depth=3
	flat_load_dword v3, v[10:11] offset:4 glc
	s_waitcnt vmcnt(0) lgkmcnt(0)
	v_ashrrev_i32_e32 v4, 31, v3
	v_lshrrev_b64 v[3:4], 1, v[3:4]
.LBB8_1884:                             ;   in Loop: Header=BB8_1864 Depth=3
	s_or_b64 exec, exec, s[90:91]
	s_orn2_b64 s[28:29], vcc, exec
.LBB8_1885:                             ;   in Loop: Header=BB8_1864 Depth=3
	s_or_b64 exec, exec, s[88:89]
	s_and_saveexec_b64 s[88:89], s[28:29]
	s_cbranch_execz .LBB8_1887
; %bb.1886:                             ;   in Loop: Header=BB8_1864 Depth=3
	buffer_load_dword v3, off, s[0:3], s33 offset:256 ; 4-byte Folded Reload
	buffer_load_dword v4, off, s[0:3], s33 offset:268 ; 4-byte Folded Reload
	s_waitcnt vmcnt(0)
	v_mul_lo_u32 v5, v9, v3
	v_mul_lo_u32 v9, v8, v4
	v_mad_u64_u32 v[3:4], s[28:29], v8, v3, 0
	v_add3_u32 v4, v4, v9, v5
.LBB8_1887:                             ;   in Loop: Header=BB8_1864 Depth=3
	s_or_b64 exec, exec, s[88:89]
	buffer_load_dword v8, off, s[0:3], s33 offset:208 ; 4-byte Folded Reload
	buffer_load_dword v9, off, s[0:3], s33 offset:212 ; 4-byte Folded Reload
	v_lshlrev_b64 v[3:4], 1, v[3:4]
	v_cmp_eq_u32_e32 vcc, 0, v1
	v_mov_b32_e32 v1, 0xc8
	v_mov_b32_e32 v5, 0x90
	v_cndmask_b32_e32 v1, v1, v5, vcc
	v_add_u32_e32 v1, v0, v1
	s_waitcnt vmcnt(0)
	v_add_co_u32_e32 v3, vcc, v8, v3
	v_addc_co_u32_e32 v4, vcc, v9, v4, vcc
	ds_write_b64 v1, v[3:4] offset:584
	buffer_load_dword v1, off, s[0:3], s33 offset:132 ; 4-byte Folded Reload
	s_waitcnt vmcnt(0)
	v_and_b32_e32 v1, 0x2000, v1
	v_cmp_ne_u32_e32 vcc, 0, v1
	s_and_saveexec_b64 s[28:29], vcc
	s_cbranch_execz .LBB8_1889
; %bb.1888:                             ;   in Loop: Header=BB8_1864 Depth=3
	ds_read_b64 v[3:4], v0 offset:872
	s_waitcnt lgkmcnt(0)
	v_add_co_u32_e32 v3, vcc, 1, v3
	v_addc_co_u32_e32 v4, vcc, 0, v4, vcc
	ds_write_b64 v0, v[3:4] offset:872
.LBB8_1889:                             ;   in Loop: Header=BB8_1864 Depth=3
	s_or_b64 exec, exec, s[28:29]
	buffer_store_dword v6, off, s[0:3], s33 offset:160 ; 4-byte Folded Spill
	s_nop 0
	buffer_store_dword v7, off, s[0:3], s33 offset:164 ; 4-byte Folded Spill
.LBB8_1890:                             ;   in Loop: Header=BB8_1864 Depth=3
	s_or_b64 exec, exec, s[78:79]
	s_xor_b64 s[28:29], s[76:77], -1
	s_and_b64 s[28:29], exec, s[28:29]
	s_or_b64 s[42:43], s[28:29], s[42:43]
	s_and_saveexec_b64 s[28:29], s[10:11]
	s_cbranch_execz .LBB8_1909
; %bb.1891:                             ;   in Loop: Header=BB8_1864 Depth=3
	s_and_saveexec_b64 s[44:45], s[56:57]
	s_xor_b64 s[76:77], exec, s[44:45]
	s_cbranch_execz .LBB8_1906
; %bb.1892:                             ;   in Loop: Header=BB8_1864 Depth=3
	s_and_saveexec_b64 s[78:79], s[16:17]
	s_cbranch_execz .LBB8_1905
; %bb.1893:                             ;   in Loop: Header=BB8_1864 Depth=3
	s_mov_b64 s[90:91], exec
	v_mbcnt_lo_u32_b32 v1, s90, 0
	v_mbcnt_hi_u32_b32 v1, s91, v1
	v_cmp_eq_u32_e32 vcc, 0, v1
	s_waitcnt vmcnt(0) lgkmcnt(0)
	buffer_wbinvl1_vol
	s_and_saveexec_b64 s[88:89], vcc
	s_cbranch_execz .LBB8_1895
; %bb.1894:                             ;   in Loop: Header=BB8_1864 Depth=3
	s_bcnt1_i32_b64 s44, s[90:91]
	v_mov_b32_e32 v3, s44
	v_mov_b32_e32 v4, v2
	ds_add_u64 v0, v[3:4]
	s_trap 2
.LBB8_1895:                             ;   in Loop: Header=BB8_1864 Depth=3
	s_or_b64 exec, exec, s[88:89]
	s_trap 2
	ds_read_b64 v[3:4], v0
	s_waitcnt lgkmcnt(0)
	buffer_load_dword v1, off, s[0:3], s33 offset:128 ; 4-byte Folded Reload
	buffer_load_dword v5, off, s[0:3], s33 offset:144 ; 4-byte Folded Reload
	;; [unrolled: 1-line block ×3, first 2 shown]
	s_waitcnt vmcnt(1)
	v_add_co_u32_e32 v5, vcc, v5, v1
	s_waitcnt vmcnt(0)
	v_addc_co_u32_e32 v6, vcc, 0, v6, vcc
	buffer_store_dword v5, off, s[0:3], s33 offset:144 ; 4-byte Folded Spill
	s_nop 0
	buffer_store_dword v6, off, s[0:3], s33 offset:148 ; 4-byte Folded Spill
	v_cmp_lt_u64_e32 vcc, v[3:4], v[5:6]
	s_and_saveexec_b64 s[88:89], vcc
	s_cbranch_execz .LBB8_1904
; %bb.1896:                             ;   in Loop: Header=BB8_1864 Depth=3
	s_mov_b32 s44, 0
	s_mov_b64 s[90:91], 0
                                        ; implicit-def: $sgpr92_sgpr93
                                        ; implicit-def: $sgpr94_sgpr95
	s_branch .LBB8_1898
.LBB8_1897:                             ;   in Loop: Header=BB8_1898 Depth=4
	s_or_b64 exec, exec, s[34:35]
	s_and_b64 vcc, exec, vcc
	s_or_b64 s[90:91], vcc, s[90:91]
	s_andn2_b64 s[92:93], s[92:93], exec
	s_and_b64 vcc, s[94:95], exec
	s_or_b64 s[92:93], s[92:93], vcc
	s_andn2_b64 exec, exec, s[90:91]
	s_cbranch_execz .LBB8_1902
.LBB8_1898:                             ;   Parent Loop BB8_47 Depth=1
                                        ;     Parent Loop BB8_888 Depth=2
                                        ;       Parent Loop BB8_1864 Depth=3
                                        ; =>      This Inner Loop Header: Depth=4
	s_add_i32 s44, s44, 1
	s_cmpk_lg_i32 s44, 0x2710
	s_cselect_b64 s[30:31], -1, 0
	s_and_b64 vcc, exec, s[30:31]
	s_cbranch_vccz .LBB8_1900
; %bb.1899:                             ;   in Loop: Header=BB8_1898 Depth=4
	s_mov_b64 vcc, -1
	s_or_b64 s[94:95], s[94:95], exec
	s_and_saveexec_b64 s[34:35], s[30:31]
	s_cbranch_execz .LBB8_1897
	s_branch .LBB8_1901
.LBB8_1900:                             ;   in Loop: Header=BB8_1898 Depth=4
	s_trap 2
	ds_read_b64 v[3:4], v0
	s_andn2_b64 s[30:31], s[30:31], exec
	s_mov_b32 s44, 0
	s_waitcnt vmcnt(0) lgkmcnt(0)
	flat_load_dword v1, v[3:4] glc
	s_waitcnt vmcnt(0) lgkmcnt(0)
	buffer_wbinvl1_vol
	v_cmp_eq_u32_e32 vcc, 0, v1
	s_and_b64 vcc, vcc, exec
	s_or_b64 s[30:31], s[30:31], vcc
	s_mov_b64 vcc, -1
	s_or_b64 s[94:95], s[94:95], exec
	s_and_saveexec_b64 s[34:35], s[30:31]
	s_cbranch_execz .LBB8_1897
.LBB8_1901:                             ;   in Loop: Header=BB8_1898 Depth=4
	s_sleep 1
	s_trap 2
	ds_read_b64 v[3:4], v0
	s_waitcnt lgkmcnt(0)
	buffer_load_dword v5, off, s[0:3], s33 offset:144 ; 4-byte Folded Reload
	buffer_load_dword v6, off, s[0:3], s33 offset:148 ; 4-byte Folded Reload
	s_andn2_b64 s[94:95], s[94:95], exec
	s_waitcnt vmcnt(0)
	v_cmp_ge_u64_e32 vcc, v[3:4], v[5:6]
	s_orn2_b64 vcc, vcc, exec
	s_branch .LBB8_1897
.LBB8_1902:                             ;   in Loop: Header=BB8_1864 Depth=3
	s_or_b64 exec, exec, s[90:91]
	s_and_saveexec_b64 s[44:45], s[92:93]
	s_xor_b64 s[44:45], exec, s[44:45]
	s_cbranch_execz .LBB8_1904
; %bb.1903:                             ;   in Loop: Header=BB8_1864 Depth=3
	v_mov_b32_e32 v1, 1
	ds_write_b32 v0, v1
	s_trap 2
.LBB8_1904:                             ;   in Loop: Header=BB8_1864 Depth=3
	s_or_b64 exec, exec, s[88:89]
	;;#ASMSTART
	s_wakeup
	;;#ASMEND
.LBB8_1905:                             ;   in Loop: Header=BB8_1864 Depth=3
	s_or_b64 exec, exec, s[78:79]
.LBB8_1906:                             ;   in Loop: Header=BB8_1864 Depth=3
	s_andn2_saveexec_b64 s[76:77], s[76:77]
	s_cbranch_execz .LBB8_1908
; %bb.1907:                             ;   in Loop: Header=BB8_1864 Depth=3
	s_waitcnt vmcnt(0) lgkmcnt(0)
	buffer_wbinvl1_vol
	s_barrier
.LBB8_1908:                             ;   in Loop: Header=BB8_1864 Depth=3
	s_or_b64 exec, exec, s[76:77]
.LBB8_1909:                             ;   in Loop: Header=BB8_1864 Depth=3
	s_or_b64 exec, exec, s[28:29]
                                        ; implicit-def: $vgpr1
	s_and_saveexec_b64 s[28:29], s[62:63]
	s_xor_b64 s[28:29], exec, s[28:29]
	s_cbranch_execz .LBB8_1921
; %bb.1910:                             ;   in Loop: Header=BB8_1864 Depth=3
	s_and_saveexec_b64 s[44:45], s[56:57]
	s_xor_b64 s[76:77], exec, s[44:45]
	s_cbranch_execz .LBB8_1926
; %bb.1911:                             ;   in Loop: Header=BB8_1864 Depth=3
	s_and_saveexec_b64 s[78:79], s[16:17]
	s_cbranch_execz .LBB8_1925
; %bb.1912:                             ;   in Loop: Header=BB8_1864 Depth=3
	s_mov_b64 s[90:91], exec
	v_mbcnt_lo_u32_b32 v1, s90, 0
	v_mbcnt_hi_u32_b32 v1, s91, v1
	v_cmp_eq_u32_e32 vcc, 0, v1
	;;#ASMSTART
	s_waitcnt lgkmcnt(0) vmcnt(0)
	;;#ASMEND
	s_and_saveexec_b64 s[88:89], vcc
	s_cbranch_execz .LBB8_1914
; %bb.1913:                             ;   in Loop: Header=BB8_1864 Depth=3
	s_bcnt1_i32_b64 s44, s[90:91]
	v_mov_b32_e32 v3, s44
	v_mov_b32_e32 v4, v2
	s_waitcnt lgkmcnt(0)
	ds_add_u64 v0, v[3:4]
	s_trap 2
.LBB8_1914:                             ;   in Loop: Header=BB8_1864 Depth=3
	s_or_b64 exec, exec, s[88:89]
	s_trap 2
	ds_read_b64 v[3:4], v0
	s_waitcnt lgkmcnt(0)
	buffer_load_dword v1, off, s[0:3], s33 offset:128 ; 4-byte Folded Reload
	buffer_load_dword v5, off, s[0:3], s33 offset:144 ; 4-byte Folded Reload
	;; [unrolled: 1-line block ×3, first 2 shown]
	s_waitcnt vmcnt(1)
	v_add_co_u32_e32 v5, vcc, v5, v1
	s_waitcnt vmcnt(0)
	v_addc_co_u32_e32 v6, vcc, 0, v6, vcc
	buffer_store_dword v5, off, s[0:3], s33 offset:144 ; 4-byte Folded Spill
	s_nop 0
	buffer_store_dword v6, off, s[0:3], s33 offset:148 ; 4-byte Folded Spill
	v_cmp_lt_u64_e32 vcc, v[3:4], v[5:6]
	s_and_saveexec_b64 s[88:89], vcc
	s_cbranch_execz .LBB8_1924
; %bb.1915:                             ;   in Loop: Header=BB8_1864 Depth=3
	s_mov_b32 s44, 0
	s_mov_b64 s[90:91], 0
                                        ; implicit-def: $sgpr92_sgpr93
                                        ; implicit-def: $sgpr94_sgpr95
	s_branch .LBB8_1917
.LBB8_1916:                             ;   in Loop: Header=BB8_1917 Depth=4
	s_or_b64 exec, exec, s[34:35]
	s_and_b64 vcc, exec, vcc
	s_or_b64 s[90:91], vcc, s[90:91]
	s_andn2_b64 s[92:93], s[92:93], exec
	s_and_b64 vcc, s[94:95], exec
	s_or_b64 s[92:93], s[92:93], vcc
	s_andn2_b64 exec, exec, s[90:91]
	s_cbranch_execz .LBB8_1922
.LBB8_1917:                             ;   Parent Loop BB8_47 Depth=1
                                        ;     Parent Loop BB8_888 Depth=2
                                        ;       Parent Loop BB8_1864 Depth=3
                                        ; =>      This Inner Loop Header: Depth=4
	s_add_i32 s44, s44, 1
	s_cmpk_lg_i32 s44, 0x2710
	s_cselect_b64 s[30:31], -1, 0
	s_and_b64 vcc, exec, s[30:31]
	s_cbranch_vccz .LBB8_1919
; %bb.1918:                             ;   in Loop: Header=BB8_1917 Depth=4
	s_mov_b64 vcc, -1
	s_or_b64 s[94:95], s[94:95], exec
	s_and_saveexec_b64 s[34:35], s[30:31]
	s_cbranch_execz .LBB8_1916
	s_branch .LBB8_1920
.LBB8_1919:                             ;   in Loop: Header=BB8_1917 Depth=4
	s_trap 2
	ds_read_b64 v[3:4], v0
	s_andn2_b64 s[30:31], s[30:31], exec
	s_mov_b32 s44, 0
	s_waitcnt vmcnt(0) lgkmcnt(0)
	flat_load_dword v1, v[3:4] glc
	s_waitcnt vmcnt(0) lgkmcnt(0)
	buffer_wbinvl1_vol
	v_cmp_eq_u32_e32 vcc, 0, v1
	s_and_b64 vcc, vcc, exec
	s_or_b64 s[30:31], s[30:31], vcc
	s_mov_b64 vcc, -1
	s_or_b64 s[94:95], s[94:95], exec
	s_and_saveexec_b64 s[34:35], s[30:31]
	s_cbranch_execz .LBB8_1916
.LBB8_1920:                             ;   in Loop: Header=BB8_1917 Depth=4
	s_sleep 1
	s_trap 2
	ds_read_b64 v[3:4], v0
	s_waitcnt lgkmcnt(0)
	buffer_load_dword v5, off, s[0:3], s33 offset:144 ; 4-byte Folded Reload
	buffer_load_dword v6, off, s[0:3], s33 offset:148 ; 4-byte Folded Reload
	s_andn2_b64 s[94:95], s[94:95], exec
	s_waitcnt vmcnt(0)
	v_cmp_ge_u64_e32 vcc, v[3:4], v[5:6]
	s_orn2_b64 vcc, vcc, exec
	s_branch .LBB8_1916
.LBB8_1921:                             ;   in Loop: Header=BB8_1864 Depth=3
	s_andn2_saveexec_b64 s[28:29], s[28:29]
	s_cbranch_execnz .LBB8_1929
	s_branch .LBB8_1932
.LBB8_1922:                             ;   in Loop: Header=BB8_1864 Depth=3
	s_or_b64 exec, exec, s[90:91]
	s_and_saveexec_b64 s[44:45], s[92:93]
	s_xor_b64 s[44:45], exec, s[44:45]
	s_cbranch_execz .LBB8_1924
; %bb.1923:                             ;   in Loop: Header=BB8_1864 Depth=3
	v_mov_b32_e32 v1, 1
	ds_write_b32 v0, v1
	s_trap 2
.LBB8_1924:                             ;   in Loop: Header=BB8_1864 Depth=3
	s_or_b64 exec, exec, s[88:89]
	;;#ASMSTART
	s_wakeup
	;;#ASMEND
.LBB8_1925:                             ;   in Loop: Header=BB8_1864 Depth=3
	s_or_b64 exec, exec, s[78:79]
.LBB8_1926:                             ;   in Loop: Header=BB8_1864 Depth=3
	s_andn2_saveexec_b64 s[76:77], s[76:77]
	s_cbranch_execz .LBB8_1928
; %bb.1927:                             ;   in Loop: Header=BB8_1864 Depth=3
	;;#ASMSTART
	s_waitcnt lgkmcnt(0) vmcnt(0)
	;;#ASMEND
	s_waitcnt vmcnt(0) lgkmcnt(0)
	s_barrier
.LBB8_1928:                             ;   in Loop: Header=BB8_1864 Depth=3
	s_or_b64 exec, exec, s[76:77]
	buffer_load_dword v1, off, s[0:3], s33 offset:132 ; 4-byte Folded Reload
	s_waitcnt vmcnt(0)
	v_and_b32_e32 v1, 16, v1
	s_andn2_saveexec_b64 s[28:29], s[28:29]
	s_cbranch_execz .LBB8_1932
.LBB8_1929:                             ;   in Loop: Header=BB8_1864 Depth=3
	s_trap 2
	buffer_load_dword v3, off, s[0:3], s33 offset:132 ; 4-byte Folded Reload
	ds_read_b32 v1, v0
	v_cmp_lt_i32_e32 vcc, 0, v58
	s_waitcnt lgkmcnt(0)
	v_readfirstlane_b32 s44, v1
	s_cmp_eq_u32 s44, 0
	s_cselect_b64 s[44:45], -1, 0
	s_and_b64 s[44:45], vcc, s[44:45]
	s_waitcnt vmcnt(0)
	v_and_b32_e32 v1, 16, v3
	v_and_b32_e32 v3, 16, v3
	v_cmp_ne_u32_e32 vcc, 0, v3
	s_and_b64 s[44:45], vcc, s[44:45]
	s_and_saveexec_b64 s[76:77], s[44:45]
	s_cbranch_execz .LBB8_1931
; %bb.1930:                             ;   in Loop: Header=BB8_1864 Depth=3
	v_mov_b32_e32 v1, 1
	buffer_wbinvl1_vol
.LBB8_1931:                             ;   in Loop: Header=BB8_1864 Depth=3
	s_or_b64 exec, exec, s[76:77]
.LBB8_1932:                             ;   in Loop: Header=BB8_1864 Depth=3
	s_or_b64 exec, exec, s[28:29]
	v_cmp_ne_u32_e32 vcc, 0, v1
	s_xor_b64 s[28:29], s[12:13], -1
	s_and_b64 s[44:45], vcc, s[28:29]
	s_and_saveexec_b64 s[28:29], s[44:45]
	s_cbranch_execz .LBB8_1934
; %bb.1933:                             ;   in Loop: Header=BB8_1864 Depth=3
	buffer_load_dword v3, off, s[0:3], s33 offset:232 ; 4-byte Folded Reload
	buffer_load_dword v4, off, s[0:3], s33 offset:236 ; 4-byte Folded Reload
	v_mov_b32_e32 v1, 1
	s_waitcnt vmcnt(0)
	flat_store_dword v[3:4], v1
.LBB8_1934:                             ;   in Loop: Header=BB8_1864 Depth=3
	s_or_b64 exec, exec, s[28:29]
	buffer_load_dword v1, off, s[0:3], s33 offset:132 ; 4-byte Folded Reload
	s_waitcnt vmcnt(0)
	v_and_b32_e32 v1, 48, v1
	v_cmp_ne_u32_e32 vcc, 0, v1
	s_and_saveexec_b64 s[28:29], vcc
	s_cbranch_execz .LBB8_1863
; %bb.1935:                             ;   in Loop: Header=BB8_1864 Depth=3
	buffer_load_dword v3, off, s[0:3], s33 offset:160 ; 4-byte Folded Reload
	buffer_load_dword v4, off, s[0:3], s33 offset:164 ; 4-byte Folded Reload
	s_waitcnt vmcnt(0)
	v_add_co_u32_e32 v3, vcc, 2, v3
	v_addc_co_u32_e32 v4, vcc, 0, v4, vcc
	buffer_store_dword v3, off, s[0:3], s33 offset:160 ; 4-byte Folded Spill
	s_nop 0
	buffer_store_dword v4, off, s[0:3], s33 offset:164 ; 4-byte Folded Spill
	flat_store_dwordx2 v[40:41], v[3:4]
	s_branch .LBB8_1863
.LBB8_1936:                             ;   in Loop: Header=BB8_47 Depth=1
	buffer_load_dword v5, off, s[0:3], s33 offset:364 ; 4-byte Folded Reload
	buffer_load_dword v6, off, s[0:3], s33 offset:368 ; 4-byte Folded Reload
	v_mov_b32_e32 v31, 0
	s_waitcnt vmcnt(0)
	v_mul_lo_u32 v4, v5, s53
	v_mul_lo_u32 v3, v6, s52
	v_mad_u64_u32 v[0:1], s[28:29], v5, s52, 0
	v_add3_u32 v1, v1, v4, v3
	buffer_load_dword v3, off, s[0:3], s33 offset:356 ; 4-byte Folded Reload
	buffer_load_dword v4, off, s[0:3], s33 offset:360 ; 4-byte Folded Reload
	s_waitcnt vmcnt(0)
	v_sub_co_u32_e32 v3, vcc, v3, v0
	v_subb_co_u32_e32 v4, vcc, v4, v1, vcc
	v_cmp_lt_i64_e32 vcc, v[5:6], v[3:4]
	v_cndmask_b32_e32 v4, v3, v5, vcc
	v_max_i32_e32 v56, 0, v4
	v_add_u32_e32 v5, 31, v56
	v_lshrrev_b32_e32 v5, 1, v5
	v_and_b32_e32 v5, 0x3ffffff0, v5
	v_cmp_lt_i32_e32 vcc, 0, v4
	v_mov_b32_e32 v3, 0
	v_max_i32_e32 v29, s69, v5
	s_and_b64 s[28:29], s[72:73], vcc
	s_and_saveexec_b64 s[76:77], s[28:29]
	s_cbranch_execz .LBB8_3780
; %bb.1937:                             ;   in Loop: Header=BB8_47 Depth=1
	buffer_load_dword v3, off, s[0:3], s33 offset:292 ; 4-byte Folded Reload
	buffer_load_dword v4, off, s[0:3], s33 offset:296 ; 4-byte Folded Reload
	s_mov_b32 s47, 1
	s_mov_b64 s[88:89], -1
	v_mov_b32_e32 v31, 0
	s_mov_b64 s[78:79], 0
	s_waitcnt vmcnt(0)
	v_add_co_u32_e32 v0, vcc, v0, v3
	v_addc_co_u32_e32 v1, vcc, v1, v4, vcc
	v_lshlrev_b64 v[0:1], 1, v[0:1]
	buffer_store_dword v0, off, s[0:3], s33 offset:344 ; 4-byte Folded Spill
	s_nop 0
	buffer_store_dword v1, off, s[0:3], s33 offset:348 ; 4-byte Folded Spill
	s_branch .LBB8_1939
.LBB8_1938:                             ;   in Loop: Header=BB8_1939 Depth=2
	s_or_b64 exec, exec, s[28:29]
	v_add_u32_e32 v31, v29, v31
	v_cmp_ge_i32_e32 vcc, v31, v56
	s_xor_b64 s[28:29], s[88:89], -1
	s_or_b64 s[28:29], s[28:29], vcc
	s_and_b64 s[28:29], exec, s[28:29]
	s_or_b64 s[78:79], s[28:29], s[78:79]
	s_mov_b64 s[88:89], 0
	v_mov_b32_e32 v3, s47
	s_mov_b32 s47, 2
	s_andn2_b64 exec, exec, s[78:79]
	s_cbranch_execz .LBB8_3855
.LBB8_1939:                             ;   Parent Loop BB8_47 Depth=1
                                        ; =>  This Loop Header: Depth=2
                                        ;       Child Loop BB8_1947 Depth 3
                                        ;       Child Loop BB8_1975 Depth 3
	;; [unrolled: 1-line block ×5, first 2 shown]
                                        ;         Child Loop BB8_2418 Depth 4
                                        ;         Child Loop BB8_2485 Depth 4
                                        ;         Child Loop BB8_2489 Depth 4
                                        ;         Child Loop BB8_2555 Depth 4
                                        ;       Child Loop BB8_2625 Depth 3
                                        ;       Child Loop BB8_2633 Depth 3
	;; [unrolled: 1-line block ×3, first 2 shown]
                                        ;         Child Loop BB8_2839 Depth 4
                                        ;         Child Loop BB8_2850 Depth 4
	;; [unrolled: 1-line block ×4, first 2 shown]
                                        ;       Child Loop BB8_2877 Depth 3
                                        ;       Child Loop BB8_2889 Depth 3
	;; [unrolled: 1-line block ×3, first 2 shown]
                                        ;         Child Loop BB8_3287 Depth 4
                                        ;         Child Loop BB8_3356 Depth 4
                                        ;       Child Loop BB8_3497 Depth 3
                                        ;       Child Loop BB8_3700 Depth 3
                                        ;         Child Loop BB8_3701 Depth 4
                                        ;         Child Loop BB8_3714 Depth 4
                                        ;       Child Loop BB8_3742 Depth 3
                                        ;       Child Loop BB8_3765 Depth 3
	s_and_saveexec_b64 s[28:29], s[4:5]
	s_cbranch_execz .LBB8_1941
; %bb.1940:                             ;   in Loop: Header=BB8_1939 Depth=2
	s_trap 2
	ds_read2_b64 v[3:6], v0 offset1:1
	buffer_load_dword v7, off, s[0:3], s33 offset:344 ; 4-byte Folded Reload
	buffer_load_dword v8, off, s[0:3], s33 offset:348 ; 4-byte Folded Reload
	v_ashrrev_i32_e32 v32, 31, v31
	v_lshlrev_b64 v[0:1], 1, v[31:32]
	s_waitcnt vmcnt(0) lgkmcnt(0)
	v_add_co_u32_e32 v3, vcc, v3, v7
	v_addc_co_u32_e32 v4, vcc, v4, v8, vcc
	v_add_co_u32_e32 v3, vcc, v3, v0
	v_addc_co_u32_e32 v4, vcc, v4, v1, vcc
	ds_write_b64 v0, v[3:4]
	v_add_co_u32_e32 v3, vcc, v5, v7
	v_addc_co_u32_e32 v4, vcc, v6, v8, vcc
	v_add_co_u32_e32 v3, vcc, v3, v0
	v_addc_co_u32_e32 v4, vcc, v4, v1, vcc
	ds_write_b64 v0, v[3:4]
	ds_read_b64 v[3:4], v0
	s_waitcnt lgkmcnt(0)
	v_add_co_u32_e32 v5, vcc, v3, v7
	v_addc_co_u32_e32 v6, vcc, v4, v8, vcc
	v_add_co_u32_e32 v0, vcc, v5, v0
	v_addc_co_u32_e32 v1, vcc, v6, v1, vcc
	v_cmp_ne_u64_e32 vcc, 0, v[3:4]
	v_cndmask_b32_e32 v1, 0, v1, vcc
	v_cndmask_b32_e32 v0, 0, v0, vcc
	ds_write_b64 v0, v[0:1]
.LBB8_1941:                             ;   in Loop: Header=BB8_1939 Depth=2
	s_or_b64 exec, exec, s[28:29]
	v_sub_u32_e32 v0, v56, v31
	v_min_i32_e32 v29, v29, v0
	buffer_load_dword v0, off, s[0:3], s33 offset:132 ; 4-byte Folded Reload
	s_waitcnt vmcnt(0)
	v_and_b32_e32 v0, 12, v0
	v_cmp_ne_u32_e32 vcc, 0, v0
	s_and_saveexec_b64 s[40:41], vcc
	s_cbranch_execz .LBB8_1967
; %bb.1942:                             ;   in Loop: Header=BB8_1939 Depth=2
	buffer_load_dword v0, off, s[0:3], s33 offset:132 ; 4-byte Folded Reload
	s_waitcnt vmcnt(0)
	v_and_b32_e32 v3, 8, v0
	buffer_load_dword v0, off, s[0:3], s33 offset:160 ; 4-byte Folded Reload
	buffer_load_dword v1, off, s[0:3], s33 offset:164 ; 4-byte Folded Reload
	s_waitcnt lgkmcnt(0)
	v_add_co_u32_e32 v4, vcc, v46, v3
	v_addc_co_u32_e32 v5, vcc, 0, v47, vcc
	s_waitcnt vmcnt(1)
	v_add_co_u32_e32 v0, vcc, 2, v0
	s_waitcnt vmcnt(0)
	v_addc_co_u32_e32 v1, vcc, 0, v1, vcc
	v_cmp_lt_u64_e32 vcc, v[4:5], v[0:1]
	s_and_saveexec_b64 s[42:43], vcc
	s_cbranch_execz .LBB8_1954
; %bb.1943:                             ;   in Loop: Header=BB8_1939 Depth=2
	buffer_load_dword v4, off, s[0:3], s33 offset:132 ; 4-byte Folded Reload
	s_mov_b32 s75, 0
	s_mov_b64 s[90:91], 0
                                        ; implicit-def: $sgpr92_sgpr93
                                        ; implicit-def: $sgpr94_sgpr95
                                        ; implicit-def: $sgpr30_sgpr31
	s_waitcnt vmcnt(0)
	v_and_b32_e32 v4, 64, v4
	v_cmp_eq_u32_e32 vcc, 0, v4
	s_branch .LBB8_1947
.LBB8_1944:                             ;   in Loop: Header=BB8_1947 Depth=3
	s_waitcnt vmcnt(0) lgkmcnt(0)
	v_add_co_u32_e64 v5, s[28:29], v46, v3
	v_addc_co_u32_e64 v6, s[28:29], 0, v47, s[28:29]
	v_cmp_ge_u64_e64 s[28:29], v[5:6], v[0:1]
	s_or_b64 s[38:39], s[38:39], exec
	s_orn2_b64 s[36:37], s[28:29], exec
.LBB8_1945:                             ;   in Loop: Header=BB8_1947 Depth=3
	s_or_b64 exec, exec, s[50:51]
	s_andn2_b64 s[28:29], s[30:31], exec
	s_and_b64 s[44:45], s[38:39], exec
	s_or_b64 s[30:31], s[28:29], s[44:45]
	s_andn2_b64 s[28:29], s[94:95], exec
	s_and_b64 s[44:45], s[36:37], exec
	s_or_b64 s[94:95], s[28:29], s[44:45]
.LBB8_1946:                             ;   in Loop: Header=BB8_1947 Depth=3
	s_or_b64 exec, exec, s[34:35]
	s_and_b64 s[28:29], exec, s[94:95]
	s_or_b64 s[90:91], s[28:29], s[90:91]
	s_andn2_b64 s[28:29], s[92:93], exec
	s_and_b64 s[44:45], s[30:31], exec
	s_or_b64 s[92:93], s[28:29], s[44:45]
	s_andn2_b64 exec, exec, s[90:91]
	s_cbranch_execz .LBB8_1951
.LBB8_1947:                             ;   Parent Loop BB8_47 Depth=1
                                        ;     Parent Loop BB8_1939 Depth=2
                                        ; =>    This Inner Loop Header: Depth=3
	s_sleep 1
	s_waitcnt vmcnt(0) lgkmcnt(0)
	flat_load_dwordx2 v[46:47], v[40:41] glc
	s_or_b64 s[30:31], s[30:31], exec
	s_or_b64 s[94:95], s[94:95], exec
                                        ; implicit-def: $vgpr4
	s_and_saveexec_b64 s[34:35], vcc
	s_cbranch_execz .LBB8_1946
; %bb.1948:                             ;   in Loop: Header=BB8_1947 Depth=3
	s_cmpk_lt_i32 s75, 0x270f
	s_cselect_b64 s[48:49], -1, 0
	s_cmpk_gt_i32 s75, 0x270e
	s_mov_b64 s[36:37], -1
	s_cbranch_scc0 .LBB8_1950
; %bb.1949:                             ;   in Loop: Header=BB8_1947 Depth=3
	s_trap 2
	ds_read_b64 v[4:5], v0
	s_andn2_b64 s[44:45], s[48:49], exec
	s_mov_b32 s75, 0
	s_mov_b64 s[38:39], 0
	s_waitcnt vmcnt(0) lgkmcnt(0)
	flat_load_dword v4, v[4:5] glc
	s_waitcnt vmcnt(0) lgkmcnt(0)
	buffer_wbinvl1_vol
	v_cmp_eq_u32_e64 s[28:29], 0, v4
	s_and_b64 s[28:29], s[28:29], exec
	s_or_b64 s[48:49], s[44:45], s[28:29]
	s_and_saveexec_b64 s[50:51], s[48:49]
	s_cbranch_execz .LBB8_1945
	s_branch .LBB8_1944
.LBB8_1950:                             ;   in Loop: Header=BB8_1947 Depth=3
	s_add_i32 s75, s75, 1
	s_mov_b64 s[38:39], -1
                                        ; implicit-def: $vgpr4
	s_and_saveexec_b64 s[50:51], s[48:49]
	s_cbranch_execz .LBB8_1945
	s_branch .LBB8_1944
.LBB8_1951:                             ;   in Loop: Header=BB8_1939 Depth=2
	s_or_b64 exec, exec, s[90:91]
	s_xor_b64 s[28:29], s[92:93], -1
	s_and_saveexec_b64 s[44:45], s[28:29]
	s_xor_b64 s[28:29], exec, s[44:45]
	s_cbranch_execz .LBB8_1953
; %bb.1952:                             ;   in Loop: Header=BB8_1939 Depth=2
	s_waitcnt lgkmcnt(0)
	ds_write_b32 v0, v4
	s_trap 2
	buffer_load_dword v4, off, s[0:3], s33 offset:132 ; 4-byte Folded Reload
	s_waitcnt vmcnt(0)
	v_or_b32_e32 v4, 64, v4
	buffer_store_dword v4, off, s[0:3], s33 offset:132 ; 4-byte Folded Spill
.LBB8_1953:                             ;   in Loop: Header=BB8_1939 Depth=2
	s_or_b64 exec, exec, s[28:29]
.LBB8_1954:                             ;   in Loop: Header=BB8_1939 Depth=2
	s_or_b64 exec, exec, s[42:43]
	;;#ASMSTART
	s_wakeup
	;;#ASMEND
	buffer_load_dword v4, off, s[0:3], s33 offset:132 ; 4-byte Folded Reload
	s_waitcnt vmcnt(0)
	v_and_b32_e32 v4, 0x108, v4
	v_cmp_ne_u32_e32 vcc, s46, v4
	buffer_load_dword v4, off, s[0:3], s33 offset:160 ; 4-byte Folded Reload
	buffer_load_dword v5, off, s[0:3], s33 offset:164 ; 4-byte Folded Reload
	s_waitcnt vmcnt(0)
	v_and_b32_e32 v8, 7, v4
	s_and_saveexec_b64 s[28:29], vcc
	s_xor_b64 s[28:29], exec, s[28:29]
                                        ; implicit-def: $vgpr9
; %bb.1955:                             ;   in Loop: Header=BB8_1939 Depth=2
	v_mov_b32_e32 v9, v2
; %bb.1956:                             ;   in Loop: Header=BB8_1939 Depth=2
	s_andn2_saveexec_b64 s[28:29], s[28:29]
	s_cbranch_execz .LBB8_1958
; %bb.1957:                             ;   in Loop: Header=BB8_1939 Depth=2
	buffer_load_dword v4, off, s[0:3], s33 offset:216 ; 4-byte Folded Reload
	buffer_load_dword v5, off, s[0:3], s33 offset:220 ; 4-byte Folded Reload
	;; [unrolled: 1-line block ×4, first 2 shown]
	v_ashrrev_i32_e32 v30, 31, v29
	s_waitcnt vmcnt(0)
	v_lshlrev_b64 v[6:7], 1, v[29:30]
	v_mov_b32_e32 v9, v2
	v_mad_u64_u32 v[4:5], s[42:43], v8, 24, v[4:5]
	flat_store_dwordx2 v[4:5], v[6:7] offset:8
.LBB8_1958:                             ;   in Loop: Header=BB8_1939 Depth=2
	s_or_b64 exec, exec, s[28:29]
	buffer_load_dword v4, off, s[0:3], s33 offset:132 ; 4-byte Folded Reload
	s_mov_b64 s[28:29], -1
	s_waitcnt vmcnt(0)
	v_and_b32_e32 v4, 0x100, v4
	v_cmp_ne_u32_e32 vcc, 0, v4
                                        ; implicit-def: $vgpr4_vgpr5
	s_and_saveexec_b64 s[42:43], vcc
	s_cbranch_execz .LBB8_1962
; %bb.1959:                             ;   in Loop: Header=BB8_1939 Depth=2
	buffer_load_dword v4, off, s[0:3], s33 offset:216 ; 4-byte Folded Reload
	buffer_load_dword v5, off, s[0:3], s33 offset:220 ; 4-byte Folded Reload
	;; [unrolled: 1-line block ×4, first 2 shown]
	s_waitcnt vmcnt(0)
	v_mad_u64_u32 v[6:7], s[28:29], v8, 24, v[4:5]
	v_mov_b32_e32 v4, v7
	v_mad_u64_u32 v[4:5], s[28:29], v9, 24, v[4:5]
	v_mov_b32_e32 v7, v4
	flat_load_dword v4, v[6:7]
	s_waitcnt vmcnt(0) lgkmcnt(0)
	v_cmp_ne_u32_e32 vcc, 1, v4
	v_cmp_eq_u32_e64 s[28:29], 1, v4
                                        ; implicit-def: $vgpr4_vgpr5
	s_and_saveexec_b64 s[90:91], s[28:29]
	s_cbranch_execz .LBB8_1961
; %bb.1960:                             ;   in Loop: Header=BB8_1939 Depth=2
	flat_load_dword v4, v[6:7] offset:4 glc
	s_waitcnt vmcnt(0) lgkmcnt(0)
	v_ashrrev_i32_e32 v5, 31, v4
	v_lshrrev_b64 v[4:5], 1, v[4:5]
.LBB8_1961:                             ;   in Loop: Header=BB8_1939 Depth=2
	s_or_b64 exec, exec, s[90:91]
	s_orn2_b64 s[28:29], vcc, exec
.LBB8_1962:                             ;   in Loop: Header=BB8_1939 Depth=2
	s_or_b64 exec, exec, s[42:43]
	s_and_saveexec_b64 s[42:43], s[28:29]
	s_cbranch_execz .LBB8_1964
; %bb.1963:                             ;   in Loop: Header=BB8_1939 Depth=2
	buffer_load_dword v4, off, s[0:3], s33 offset:256 ; 4-byte Folded Reload
	buffer_load_dword v5, off, s[0:3], s33 offset:268 ; 4-byte Folded Reload
	s_waitcnt vmcnt(0)
	v_mul_lo_u32 v6, v9, v4
	v_mul_lo_u32 v7, v8, v5
	v_mad_u64_u32 v[4:5], s[28:29], v8, v4, 0
	v_add3_u32 v5, v5, v7, v6
.LBB8_1964:                             ;   in Loop: Header=BB8_1939 Depth=2
	s_or_b64 exec, exec, s[42:43]
	buffer_load_dword v7, off, s[0:3], s33 offset:208 ; 4-byte Folded Reload
	buffer_load_dword v8, off, s[0:3], s33 offset:212 ; 4-byte Folded Reload
	v_cmp_eq_u32_e32 vcc, 0, v3
	v_mov_b32_e32 v3, 0x90
	v_mov_b32_e32 v6, 0xd0
	v_cndmask_b32_e32 v6, v6, v3, vcc
	v_lshlrev_b64 v[3:4], 1, v[4:5]
	v_add_u32_e32 v5, v0, v6
	s_waitcnt vmcnt(0)
	v_add_co_u32_e32 v3, vcc, v7, v3
	v_addc_co_u32_e32 v4, vcc, v8, v4, vcc
	ds_write_b64 v5, v[3:4] offset:584
	buffer_load_dword v3, off, s[0:3], s33 offset:132 ; 4-byte Folded Reload
	s_waitcnt vmcnt(0)
	v_and_b32_e32 v3, 0x2000, v3
	v_cmp_ne_u32_e32 vcc, 0, v3
	s_and_saveexec_b64 s[28:29], vcc
	s_cbranch_execz .LBB8_1966
; %bb.1965:                             ;   in Loop: Header=BB8_1939 Depth=2
	ds_read_b64 v[3:4], v0 offset:872
	s_waitcnt lgkmcnt(0)
	v_add_co_u32_e32 v3, vcc, 1, v3
	v_addc_co_u32_e32 v4, vcc, 0, v4, vcc
	ds_write_b64 v0, v[3:4] offset:872
.LBB8_1966:                             ;   in Loop: Header=BB8_1939 Depth=2
	s_or_b64 exec, exec, s[28:29]
	buffer_store_dword v0, off, s[0:3], s33 offset:160 ; 4-byte Folded Spill
	s_nop 0
	buffer_store_dword v1, off, s[0:3], s33 offset:164 ; 4-byte Folded Spill
.LBB8_1967:                             ;   in Loop: Header=BB8_1939 Depth=2
	s_or_b64 exec, exec, s[40:41]
	s_and_saveexec_b64 s[28:29], s[10:11]
	s_cbranch_execz .LBB8_1986
; %bb.1968:                             ;   in Loop: Header=BB8_1939 Depth=2
	s_and_saveexec_b64 s[40:41], s[56:57]
	s_xor_b64 s[40:41], exec, s[40:41]
	s_cbranch_execz .LBB8_1983
; %bb.1969:                             ;   in Loop: Header=BB8_1939 Depth=2
	s_and_saveexec_b64 s[42:43], s[16:17]
	s_cbranch_execz .LBB8_1982
; %bb.1970:                             ;   in Loop: Header=BB8_1939 Depth=2
	s_mov_b64 s[92:93], exec
	v_mbcnt_lo_u32_b32 v0, s92, 0
	v_mbcnt_hi_u32_b32 v0, s93, v0
	v_cmp_eq_u32_e32 vcc, 0, v0
	s_waitcnt vmcnt(0) lgkmcnt(0)
	buffer_wbinvl1_vol
	s_and_saveexec_b64 s[90:91], vcc
	s_cbranch_execz .LBB8_1972
; %bb.1971:                             ;   in Loop: Header=BB8_1939 Depth=2
	s_bcnt1_i32_b64 s44, s[92:93]
	v_mov_b32_e32 v0, s44
	v_mov_b32_e32 v1, v2
	ds_add_u64 v0, v[0:1]
	s_trap 2
.LBB8_1972:                             ;   in Loop: Header=BB8_1939 Depth=2
	s_or_b64 exec, exec, s[90:91]
	s_trap 2
	ds_read_b64 v[0:1], v0
	s_waitcnt lgkmcnt(0)
	buffer_load_dword v3, off, s[0:3], s33 offset:128 ; 4-byte Folded Reload
	buffer_load_dword v4, off, s[0:3], s33 offset:144 ; 4-byte Folded Reload
	;; [unrolled: 1-line block ×3, first 2 shown]
	s_waitcnt vmcnt(1)
	v_add_co_u32_e32 v4, vcc, v4, v3
	s_waitcnt vmcnt(0)
	v_addc_co_u32_e32 v5, vcc, 0, v5, vcc
	buffer_store_dword v4, off, s[0:3], s33 offset:144 ; 4-byte Folded Spill
	s_nop 0
	buffer_store_dword v5, off, s[0:3], s33 offset:148 ; 4-byte Folded Spill
	v_cmp_lt_u64_e32 vcc, v[0:1], v[4:5]
	s_and_saveexec_b64 s[90:91], vcc
	s_cbranch_execz .LBB8_1981
; %bb.1973:                             ;   in Loop: Header=BB8_1939 Depth=2
	s_mov_b32 s44, 0
	s_mov_b64 s[92:93], 0
                                        ; implicit-def: $sgpr94_sgpr95
                                        ; implicit-def: $sgpr30_sgpr31
	s_branch .LBB8_1975
.LBB8_1974:                             ;   in Loop: Header=BB8_1975 Depth=3
	s_or_b64 exec, exec, s[36:37]
	s_and_b64 vcc, exec, vcc
	s_or_b64 s[92:93], vcc, s[92:93]
	s_andn2_b64 s[94:95], s[94:95], exec
	s_and_b64 vcc, s[30:31], exec
	s_or_b64 s[94:95], s[94:95], vcc
	s_andn2_b64 exec, exec, s[92:93]
	s_cbranch_execz .LBB8_1979
.LBB8_1975:                             ;   Parent Loop BB8_47 Depth=1
                                        ;     Parent Loop BB8_1939 Depth=2
                                        ; =>    This Inner Loop Header: Depth=3
	s_add_i32 s44, s44, 1
	s_cmpk_lg_i32 s44, 0x2710
	s_cselect_b64 s[34:35], -1, 0
	s_and_b64 vcc, exec, s[34:35]
	s_cbranch_vccz .LBB8_1977
; %bb.1976:                             ;   in Loop: Header=BB8_1975 Depth=3
	s_mov_b64 vcc, -1
	s_or_b64 s[30:31], s[30:31], exec
	s_and_saveexec_b64 s[36:37], s[34:35]
	s_cbranch_execz .LBB8_1974
	s_branch .LBB8_1978
.LBB8_1977:                             ;   in Loop: Header=BB8_1975 Depth=3
	s_trap 2
	ds_read_b64 v[0:1], v0
	s_andn2_b64 s[34:35], s[34:35], exec
	s_mov_b32 s44, 0
	s_waitcnt vmcnt(0) lgkmcnt(0)
	flat_load_dword v0, v[0:1] glc
	s_waitcnt vmcnt(0) lgkmcnt(0)
	buffer_wbinvl1_vol
	v_cmp_eq_u32_e32 vcc, 0, v0
	s_and_b64 vcc, vcc, exec
	s_or_b64 s[34:35], s[34:35], vcc
	s_mov_b64 vcc, -1
	s_or_b64 s[30:31], s[30:31], exec
	s_and_saveexec_b64 s[36:37], s[34:35]
	s_cbranch_execz .LBB8_1974
.LBB8_1978:                             ;   in Loop: Header=BB8_1975 Depth=3
	s_sleep 1
	s_trap 2
	ds_read_b64 v[0:1], v0
	s_waitcnt lgkmcnt(0)
	buffer_load_dword v3, off, s[0:3], s33 offset:144 ; 4-byte Folded Reload
	buffer_load_dword v4, off, s[0:3], s33 offset:148 ; 4-byte Folded Reload
	s_andn2_b64 s[30:31], s[30:31], exec
	s_waitcnt vmcnt(0)
	v_cmp_ge_u64_e32 vcc, v[0:1], v[3:4]
	s_orn2_b64 vcc, vcc, exec
	s_branch .LBB8_1974
.LBB8_1979:                             ;   in Loop: Header=BB8_1939 Depth=2
	s_or_b64 exec, exec, s[92:93]
	s_and_saveexec_b64 s[44:45], s[94:95]
	s_xor_b64 s[44:45], exec, s[44:45]
	s_cbranch_execz .LBB8_1981
; %bb.1980:                             ;   in Loop: Header=BB8_1939 Depth=2
	v_mov_b32_e32 v0, 1
	ds_write_b32 v0, v0
	s_trap 2
.LBB8_1981:                             ;   in Loop: Header=BB8_1939 Depth=2
	s_or_b64 exec, exec, s[90:91]
	;;#ASMSTART
	s_wakeup
	;;#ASMEND
.LBB8_1982:                             ;   in Loop: Header=BB8_1939 Depth=2
	s_or_b64 exec, exec, s[42:43]
.LBB8_1983:                             ;   in Loop: Header=BB8_1939 Depth=2
	s_andn2_saveexec_b64 s[40:41], s[40:41]
	s_cbranch_execz .LBB8_1985
; %bb.1984:                             ;   in Loop: Header=BB8_1939 Depth=2
	s_waitcnt vmcnt(0) lgkmcnt(0)
	buffer_wbinvl1_vol
	s_barrier
.LBB8_1985:                             ;   in Loop: Header=BB8_1939 Depth=2
	s_or_b64 exec, exec, s[40:41]
.LBB8_1986:                             ;   in Loop: Header=BB8_1939 Depth=2
	s_or_b64 exec, exec, s[28:29]
	s_trap 2
	buffer_load_dword v1, off, s[0:3], s33 offset:132 ; 4-byte Folded Reload
	ds_read_b32 v0, v0
	s_xor_b64 s[28:29], s[6:7], -1
	s_waitcnt vmcnt(0)
	v_and_b32_e32 v1, 0x4000, v1
	v_cmp_ne_u32_e32 vcc, 0, v1
	s_and_b64 s[40:41], s[28:29], vcc
	s_and_saveexec_b64 s[28:29], s[40:41]
	s_cbranch_execz .LBB8_2005
; %bb.1987:                             ;   in Loop: Header=BB8_1939 Depth=2
	s_and_saveexec_b64 s[40:41], s[56:57]
	s_xor_b64 s[40:41], exec, s[40:41]
	s_cbranch_execz .LBB8_2002
; %bb.1988:                             ;   in Loop: Header=BB8_1939 Depth=2
	s_and_saveexec_b64 s[42:43], s[16:17]
	s_cbranch_execz .LBB8_2001
; %bb.1989:                             ;   in Loop: Header=BB8_1939 Depth=2
	s_mov_b64 s[92:93], exec
	v_mbcnt_lo_u32_b32 v1, s92, 0
	v_mbcnt_hi_u32_b32 v1, s93, v1
	v_cmp_eq_u32_e32 vcc, 0, v1
	s_waitcnt lgkmcnt(0)
	buffer_wbinvl1_vol
	s_and_saveexec_b64 s[90:91], vcc
	s_cbranch_execz .LBB8_1991
; %bb.1990:                             ;   in Loop: Header=BB8_1939 Depth=2
	s_bcnt1_i32_b64 s44, s[92:93]
	v_mov_b32_e32 v3, s44
	v_mov_b32_e32 v4, v2
	ds_add_u64 v0, v[3:4]
	s_trap 2
.LBB8_1991:                             ;   in Loop: Header=BB8_1939 Depth=2
	s_or_b64 exec, exec, s[90:91]
	s_trap 2
	ds_read_b64 v[3:4], v0
	s_waitcnt lgkmcnt(0)
	buffer_load_dword v1, off, s[0:3], s33 offset:128 ; 4-byte Folded Reload
	buffer_load_dword v5, off, s[0:3], s33 offset:144 ; 4-byte Folded Reload
	;; [unrolled: 1-line block ×3, first 2 shown]
	s_waitcnt vmcnt(1)
	v_add_co_u32_e32 v5, vcc, v5, v1
	s_waitcnt vmcnt(0)
	v_addc_co_u32_e32 v6, vcc, 0, v6, vcc
	buffer_store_dword v5, off, s[0:3], s33 offset:144 ; 4-byte Folded Spill
	s_nop 0
	buffer_store_dword v6, off, s[0:3], s33 offset:148 ; 4-byte Folded Spill
	v_cmp_lt_u64_e32 vcc, v[3:4], v[5:6]
	s_and_saveexec_b64 s[90:91], vcc
	s_cbranch_execz .LBB8_2000
; %bb.1992:                             ;   in Loop: Header=BB8_1939 Depth=2
	s_mov_b32 s44, 0
	s_mov_b64 s[92:93], 0
                                        ; implicit-def: $sgpr94_sgpr95
                                        ; implicit-def: $sgpr30_sgpr31
	s_branch .LBB8_1994
.LBB8_1993:                             ;   in Loop: Header=BB8_1994 Depth=3
	s_or_b64 exec, exec, s[36:37]
	s_and_b64 vcc, exec, vcc
	s_or_b64 s[92:93], vcc, s[92:93]
	s_andn2_b64 s[94:95], s[94:95], exec
	s_and_b64 vcc, s[30:31], exec
	s_or_b64 s[94:95], s[94:95], vcc
	s_andn2_b64 exec, exec, s[92:93]
	s_cbranch_execz .LBB8_1998
.LBB8_1994:                             ;   Parent Loop BB8_47 Depth=1
                                        ;     Parent Loop BB8_1939 Depth=2
                                        ; =>    This Inner Loop Header: Depth=3
	s_add_i32 s44, s44, 1
	s_cmpk_lg_i32 s44, 0x2710
	s_cselect_b64 s[34:35], -1, 0
	s_and_b64 vcc, exec, s[34:35]
	s_cbranch_vccz .LBB8_1996
; %bb.1995:                             ;   in Loop: Header=BB8_1994 Depth=3
	s_mov_b64 vcc, -1
	s_or_b64 s[30:31], s[30:31], exec
	s_and_saveexec_b64 s[36:37], s[34:35]
	s_cbranch_execz .LBB8_1993
	s_branch .LBB8_1997
.LBB8_1996:                             ;   in Loop: Header=BB8_1994 Depth=3
	s_trap 2
	ds_read_b64 v[3:4], v0
	s_andn2_b64 s[34:35], s[34:35], exec
	s_mov_b32 s44, 0
	s_waitcnt vmcnt(0) lgkmcnt(0)
	flat_load_dword v1, v[3:4] glc
	s_waitcnt vmcnt(0) lgkmcnt(0)
	buffer_wbinvl1_vol
	v_cmp_eq_u32_e32 vcc, 0, v1
	s_and_b64 vcc, vcc, exec
	s_or_b64 s[34:35], s[34:35], vcc
	s_mov_b64 vcc, -1
	s_or_b64 s[30:31], s[30:31], exec
	s_and_saveexec_b64 s[36:37], s[34:35]
	s_cbranch_execz .LBB8_1993
.LBB8_1997:                             ;   in Loop: Header=BB8_1994 Depth=3
	s_sleep 1
	s_trap 2
	ds_read_b64 v[3:4], v0
	s_waitcnt lgkmcnt(0)
	buffer_load_dword v5, off, s[0:3], s33 offset:144 ; 4-byte Folded Reload
	buffer_load_dword v6, off, s[0:3], s33 offset:148 ; 4-byte Folded Reload
	s_andn2_b64 s[30:31], s[30:31], exec
	s_waitcnt vmcnt(0)
	v_cmp_ge_u64_e32 vcc, v[3:4], v[5:6]
	s_orn2_b64 vcc, vcc, exec
	s_branch .LBB8_1993
.LBB8_1998:                             ;   in Loop: Header=BB8_1939 Depth=2
	s_or_b64 exec, exec, s[92:93]
	s_and_saveexec_b64 s[44:45], s[94:95]
	s_xor_b64 s[44:45], exec, s[44:45]
	s_cbranch_execz .LBB8_2000
; %bb.1999:                             ;   in Loop: Header=BB8_1939 Depth=2
	v_mov_b32_e32 v1, 1
	ds_write_b32 v0, v1
	s_trap 2
.LBB8_2000:                             ;   in Loop: Header=BB8_1939 Depth=2
	s_or_b64 exec, exec, s[90:91]
	;;#ASMSTART
	s_wakeup
	;;#ASMEND
.LBB8_2001:                             ;   in Loop: Header=BB8_1939 Depth=2
	s_or_b64 exec, exec, s[42:43]
.LBB8_2002:                             ;   in Loop: Header=BB8_1939 Depth=2
	s_andn2_saveexec_b64 s[40:41], s[40:41]
	s_cbranch_execz .LBB8_2004
; %bb.2003:                             ;   in Loop: Header=BB8_1939 Depth=2
	s_waitcnt vmcnt(0) lgkmcnt(0)
	buffer_wbinvl1_vol
	s_barrier
.LBB8_2004:                             ;   in Loop: Header=BB8_1939 Depth=2
	s_or_b64 exec, exec, s[40:41]
.LBB8_2005:                             ;   in Loop: Header=BB8_1939 Depth=2
	s_or_b64 exec, exec, s[28:29]
	s_trap 2
	s_waitcnt lgkmcnt(0)
	ds_read_b64 v[3:4], v0
	s_waitcnt lgkmcnt(0)
	buffer_store_dword v3, off, s[0:3], s33 offset:320 ; 4-byte Folded Spill
	s_nop 0
	buffer_store_dword v4, off, s[0:3], s33 offset:324 ; 4-byte Folded Spill
	v_cmp_eq_u64_e32 vcc, 0, v[3:4]
	s_cbranch_vccnz .LBB8_2279
; %bb.2006:                             ;   in Loop: Header=BB8_1939 Depth=2
	s_trap 2
	ds_read_b64 v[3:4], v0
	s_waitcnt lgkmcnt(0)
	buffer_store_dword v3, off, s[0:3], s33 offset:328 ; 4-byte Folded Spill
	s_nop 0
	buffer_store_dword v4, off, s[0:3], s33 offset:332 ; 4-byte Folded Spill
	v_cmp_eq_u64_e32 vcc, 0, v[3:4]
	s_cbranch_vccnz .LBB8_2279
; %bb.2007:                             ;   in Loop: Header=BB8_1939 Depth=2
	v_cmp_eq_u32_e32 vcc, 0, v0
	v_cndmask_b32_e32 v0, 0, v29, vcc
	s_trap 2
	ds_read_b64 v[36:37], v0
	buffer_store_dword v0, off, s[0:3], s33 offset:336 ; 4-byte Folded Spill
	v_lshlrev_b32_e32 v0, 1, v0
	s_mov_b64 s[28:29], -1
	buffer_store_dword v0, off, s[0:3], s33 offset:312 ; 4-byte Folded Spill
	s_waitcnt lgkmcnt(0)
	v_cmp_ne_u64_e32 vcc, 0, v[36:37]
	s_cbranch_vccz .LBB8_2879
; %bb.2008:                             ;   in Loop: Header=BB8_1939 Depth=2
	s_and_saveexec_b64 s[40:41], s[22:23]
	s_cbranch_execz .LBB8_2010
; %bb.2009:                             ;   in Loop: Header=BB8_1939 Depth=2
	ds_read_b32 v0, v0 offset:720
	s_waitcnt lgkmcnt(0)
	v_and_b32_e32 v0, 15, v0
	v_cmp_eq_u32_e32 vcc, 0, v0
	s_orn2_b64 s[28:29], vcc, exec
.LBB8_2010:                             ;   in Loop: Header=BB8_1939 Depth=2
	s_or_b64 exec, exec, s[40:41]
	s_and_saveexec_b64 s[40:41], s[22:23]
	s_cbranch_execz .LBB8_2012
; %bb.2011:                             ;   in Loop: Header=BB8_1939 Depth=2
	ds_read_b32 v0, v0 offset:784
	s_waitcnt lgkmcnt(0)
	v_and_b32_e32 v0, 15, v0
	v_cmp_eq_u32_e32 vcc, 0, v0
	s_and_b64 s[42:43], s[28:29], vcc
	s_andn2_b64 s[28:29], s[28:29], exec
	s_and_b64 s[42:43], s[42:43], exec
	s_or_b64 s[28:29], s[28:29], s[42:43]
.LBB8_2012:                             ;   in Loop: Header=BB8_1939 Depth=2
	s_or_b64 exec, exec, s[40:41]
	s_xor_b64 s[28:29], s[28:29], -1
	v_cndmask_b32_e64 v0, 0, 1, s[28:29]
	s_mov_b64 s[40:41], -1
	v_cmp_ne_u32_e32 vcc, 0, v0
	s_cbranch_vccz .LBB8_2280
; %bb.2013:                             ;   in Loop: Header=BB8_1939 Depth=2
	s_mov_b64 s[90:91], -1
	v_mov_b32_e32 v14, 0
	s_cbranch_execnz .LBB8_2281
.LBB8_2014:                             ;   in Loop: Header=BB8_1939 Depth=2
	buffer_store_dword v31, off, s[0:3], s33 offset:380 ; 4-byte Folded Spill
	s_nop 0
	buffer_store_dword v32, off, s[0:3], s33 offset:384 ; 4-byte Folded Spill
	buffer_store_dword v29, off, s[0:3], s33 offset:372 ; 4-byte Folded Spill
	s_nop 0
	buffer_store_dword v30, off, s[0:3], s33 offset:376 ; 4-byte Folded Spill
	buffer_load_dword v1, off, s[0:3], s33 offset:312 ; 4-byte Folded Reload
	s_mov_b64 s[40:41], 0
                                        ; implicit-def: $vgpr32_vgpr33
                                        ; implicit-def: $vgpr16_vgpr17
	s_waitcnt vmcnt(0)
	v_ashrrev_i32_e32 v0, 31, v1
	v_lshrrev_b32_e32 v0, 21, v0
	v_add_u32_e32 v0, v1, v0
	v_ashrrev_i32_e32 v25, 11, v0
	buffer_load_dword v0, off, s[0:3], s33 offset:300 ; 4-byte Folded Reload
	buffer_load_dword v3, off, s[0:3], s33 offset:328 ; 4-byte Folded Reload
	;; [unrolled: 1-line block ×3, first 2 shown]
	s_waitcnt vmcnt(1)
	v_add_co_u32_e32 v28, vcc, v3, v0
	s_waitcnt vmcnt(0)
	v_addc_co_u32_e32 v29, vcc, 0, v4, vcc
	v_add_co_u32_e32 v44, vcc, v36, v0
	buffer_load_dword v0, off, s[0:3], s33 offset:308 ; 4-byte Folded Reload
	v_addc_co_u32_e32 v45, vcc, 0, v37, vcc
	s_waitcnt vmcnt(0)
	v_sub_u32_e32 v43, v25, v0
	v_cmp_lt_i32_e32 vcc, 0, v43
                                        ; implicit-def: $vgpr0_vgpr1
	buffer_store_dword v0, off, s[0:3], s33 offset:276 ; 4-byte Folded Spill
	s_nop 0
	buffer_store_dword v1, off, s[0:3], s33 offset:280 ; 4-byte Folded Spill
	buffer_store_dword v2, off, s[0:3], s33 offset:284 ; 4-byte Folded Spill
	;; [unrolled: 1-line block ×3, first 2 shown]
                                        ; implicit-def: $vgpr0_vgpr1
	buffer_store_dword v0, off, s[0:3], s33 offset:240 ; 4-byte Folded Spill
	s_nop 0
	buffer_store_dword v1, off, s[0:3], s33 offset:244 ; 4-byte Folded Spill
	buffer_store_dword v2, off, s[0:3], s33 offset:248 ; 4-byte Folded Spill
	;; [unrolled: 1-line block ×3, first 2 shown]
	s_and_saveexec_b64 s[28:29], vcc
	s_cbranch_execz .LBB8_2283
; %bb.2015:                             ;   in Loop: Header=BB8_1939 Depth=2
	buffer_store_dword v25, off, s[0:3], s33 offset:396 ; 4-byte Folded Spill
	buffer_store_dword v36, off, s[0:3], s33 offset:388 ; 4-byte Folded Spill
	s_nop 0
	buffer_store_dword v37, off, s[0:3], s33 offset:392 ; 4-byte Folded Spill
	s_trap 2
	ds_read_b64 v[0:1], v0
	buffer_load_dword v4, off, s[0:3], s33 offset:300 ; 4-byte Folded Reload
	buffer_load_dword v6, off, s[0:3], s33 offset:320 ; 4-byte Folded Reload
	;; [unrolled: 1-line block ×3, first 2 shown]
	s_mov_b64 s[92:93], 0
                                        ; implicit-def: $sgpr42_sgpr43
                                        ; implicit-def: $vgpr32_vgpr33
                                        ; implicit-def: $vgpr16_vgpr17
	s_waitcnt lgkmcnt(0)
	ds_read_b32 v3, v0
	s_waitcnt vmcnt(1)
	v_add_co_u32_e32 v6, vcc, v6, v4
	s_waitcnt vmcnt(0)
	v_addc_co_u32_e32 v7, vcc, 0, v7, vcc
	v_add_co_u32_e32 v59, vcc, v0, v4
	v_addc_co_u32_e32 v60, vcc, 0, v1, vcc
	s_waitcnt lgkmcnt(0)
	v_lshlrev_b32_e32 v4, 16, v3
                                        ; implicit-def: $vgpr0_vgpr1
	buffer_store_dword v0, off, s[0:3], s33 offset:276 ; 4-byte Folded Spill
	s_nop 0
	buffer_store_dword v1, off, s[0:3], s33 offset:280 ; 4-byte Folded Spill
	buffer_store_dword v2, off, s[0:3], s33 offset:284 ; 4-byte Folded Spill
	;; [unrolled: 1-line block ×3, first 2 shown]
                                        ; implicit-def: $vgpr0_vgpr1
	buffer_store_dword v0, off, s[0:3], s33 offset:240 ; 4-byte Folded Spill
	s_nop 0
	buffer_store_dword v1, off, s[0:3], s33 offset:244 ; 4-byte Folded Spill
	buffer_store_dword v2, off, s[0:3], s33 offset:248 ; 4-byte Folded Spill
	;; [unrolled: 1-line block ×3, first 2 shown]
	s_branch .LBB8_2017
.LBB8_2016:                             ;   in Loop: Header=BB8_2017 Depth=3
	s_or_b64 exec, exec, s[94:95]
	v_cmp_gt_i32_e32 vcc, 1, v43
	s_or_b64 s[40:41], vcc, s[40:41]
	s_andn2_b64 s[42:43], s[42:43], exec
	s_and_b64 s[44:45], s[92:93], exec
	s_or_b64 s[42:43], s[42:43], s[44:45]
	s_andn2_b64 exec, exec, s[40:41]
	s_cbranch_execz .LBB8_2282
.LBB8_2017:                             ;   Parent Loop BB8_47 Depth=1
                                        ;     Parent Loop BB8_1939 Depth=2
                                        ; =>    This Inner Loop Header: Depth=3
	global_load_dwordx4 v[48:51], v[6:7], off glc slc
	global_load_dwordx4 v[36:39], v[6:7], off offset:1024 glc slc
	global_load_dwordx4 v[24:27], v[59:60], off glc slc
	global_load_dwordx4 v[20:23], v[59:60], off offset:1024 glc slc
	s_and_saveexec_b64 s[94:95], s[92:93]
	s_cbranch_execz .LBB8_2147
; %bb.2018:                             ;   in Loop: Header=BB8_2017 Depth=3
	v_lshlrev_b32_e32 v0, 16, v32
	v_mul_f32_e32 v0, v4, v0
	v_and_b32_e32 v1, 0x7f800000, v0
	v_cmp_ne_u32_e32 vcc, s87, v1
                                        ; implicit-def: $vgpr5
	s_and_saveexec_b64 s[44:45], vcc
	s_xor_b64 s[92:93], exec, s[44:45]
; %bb.2019:                             ;   in Loop: Header=BB8_2017 Depth=3
	v_bfe_u32 v1, v0, 16, 1
	v_add3_u32 v5, v0, v1, s96
                                        ; implicit-def: $vgpr0
; %bb.2020:                             ;   in Loop: Header=BB8_2017 Depth=3
	s_andn2_saveexec_b64 s[92:93], s[92:93]
; %bb.2021:                             ;   in Loop: Header=BB8_2017 Depth=3
	v_or_b32_e32 v1, 0x10000, v0
	v_cmp_eq_u32_sdwa vcc, v0, v2 src0_sel:WORD_0 src1_sel:DWORD
	v_cndmask_b32_e32 v5, v1, v0, vcc
; %bb.2022:                             ;   in Loop: Header=BB8_2017 Depth=3
	s_or_b64 exec, exec, s[92:93]
	v_and_b32_e32 v0, 0xffff0000, v32
	v_mul_f32_e32 v0, v4, v0
	v_and_b32_e32 v1, 0x7f800000, v0
	v_cmp_ne_u32_e32 vcc, s87, v1
                                        ; implicit-def: $vgpr8
	s_and_saveexec_b64 s[44:45], vcc
	s_xor_b64 s[92:93], exec, s[44:45]
; %bb.2023:                             ;   in Loop: Header=BB8_2017 Depth=3
	v_bfe_u32 v1, v0, 16, 1
	v_add3_u32 v8, v0, v1, s96
                                        ; implicit-def: $vgpr0
; %bb.2024:                             ;   in Loop: Header=BB8_2017 Depth=3
	s_andn2_saveexec_b64 s[92:93], s[92:93]
; %bb.2025:                             ;   in Loop: Header=BB8_2017 Depth=3
	v_or_b32_e32 v1, 0x10000, v0
	v_cmp_eq_u32_sdwa vcc, v0, v2 src0_sel:WORD_0 src1_sel:DWORD
	v_cndmask_b32_e32 v8, v1, v0, vcc
; %bb.2026:                             ;   in Loop: Header=BB8_2017 Depth=3
	s_or_b64 exec, exec, s[92:93]
	v_lshlrev_b32_e32 v0, 16, v33
	v_mul_f32_e32 v0, v4, v0
	v_and_b32_e32 v1, 0x7f800000, v0
	v_cmp_ne_u32_e32 vcc, s87, v1
                                        ; implicit-def: $vgpr9
	s_and_saveexec_b64 s[44:45], vcc
	s_xor_b64 s[92:93], exec, s[44:45]
; %bb.2027:                             ;   in Loop: Header=BB8_2017 Depth=3
	v_bfe_u32 v1, v0, 16, 1
	v_add3_u32 v9, v0, v1, s96
                                        ; implicit-def: $vgpr0
; %bb.2028:                             ;   in Loop: Header=BB8_2017 Depth=3
	s_andn2_saveexec_b64 s[92:93], s[92:93]
; %bb.2029:                             ;   in Loop: Header=BB8_2017 Depth=3
	v_or_b32_e32 v1, 0x10000, v0
	v_cmp_eq_u32_sdwa vcc, v0, v2 src0_sel:WORD_0 src1_sel:DWORD
	v_cndmask_b32_e32 v9, v1, v0, vcc
; %bb.2030:                             ;   in Loop: Header=BB8_2017 Depth=3
	s_or_b64 exec, exec, s[92:93]
	v_and_b32_e32 v0, 0xffff0000, v33
	v_mul_f32_e32 v0, v4, v0
	v_and_b32_e32 v1, 0x7f800000, v0
	v_cmp_ne_u32_e32 vcc, s87, v1
                                        ; implicit-def: $vgpr3
	s_and_saveexec_b64 s[44:45], vcc
	s_xor_b64 s[92:93], exec, s[44:45]
; %bb.2031:                             ;   in Loop: Header=BB8_2017 Depth=3
	v_bfe_u32 v1, v0, 16, 1
	v_add3_u32 v3, v0, v1, s96
                                        ; implicit-def: $vgpr0
; %bb.2032:                             ;   in Loop: Header=BB8_2017 Depth=3
	s_andn2_saveexec_b64 s[92:93], s[92:93]
; %bb.2033:                             ;   in Loop: Header=BB8_2017 Depth=3
	v_or_b32_e32 v1, 0x10000, v0
	v_cmp_eq_u32_sdwa vcc, v0, v2 src0_sel:WORD_0 src1_sel:DWORD
	v_cndmask_b32_e32 v3, v1, v0, vcc
; %bb.2034:                             ;   in Loop: Header=BB8_2017 Depth=3
	s_or_b64 exec, exec, s[92:93]
	v_lshlrev_b32_e32 v0, 16, v34
	v_mul_f32_e32 v0, v4, v0
	v_and_b32_e32 v1, 0x7f800000, v0
	v_cmp_ne_u32_e32 vcc, s87, v1
                                        ; implicit-def: $vgpr58
	s_and_saveexec_b64 s[44:45], vcc
	s_xor_b64 s[92:93], exec, s[44:45]
; %bb.2035:                             ;   in Loop: Header=BB8_2017 Depth=3
	v_bfe_u32 v1, v0, 16, 1
	v_add3_u32 v58, v0, v1, s96
                                        ; implicit-def: $vgpr0
; %bb.2036:                             ;   in Loop: Header=BB8_2017 Depth=3
	s_andn2_saveexec_b64 s[92:93], s[92:93]
; %bb.2037:                             ;   in Loop: Header=BB8_2017 Depth=3
	v_or_b32_e32 v1, 0x10000, v0
	v_cmp_eq_u32_sdwa vcc, v0, v2 src0_sel:WORD_0 src1_sel:DWORD
	v_cndmask_b32_e32 v58, v1, v0, vcc
; %bb.2038:                             ;   in Loop: Header=BB8_2017 Depth=3
	s_or_b64 exec, exec, s[92:93]
	v_and_b32_e32 v0, 0xffff0000, v34
	v_mul_f32_e32 v1, v4, v0
	v_and_b32_e32 v0, 0x7f800000, v1
	v_cmp_ne_u32_e32 vcc, s87, v0
                                        ; implicit-def: $vgpr0
	s_and_saveexec_b64 s[44:45], vcc
	s_xor_b64 s[92:93], exec, s[44:45]
; %bb.2039:                             ;   in Loop: Header=BB8_2017 Depth=3
	v_bfe_u32 v0, v1, 16, 1
	v_add3_u32 v0, v1, v0, s96
                                        ; implicit-def: $vgpr1
; %bb.2040:                             ;   in Loop: Header=BB8_2017 Depth=3
	s_andn2_saveexec_b64 s[92:93], s[92:93]
; %bb.2041:                             ;   in Loop: Header=BB8_2017 Depth=3
	v_or_b32_e32 v0, 0x10000, v1
	v_cmp_eq_u32_sdwa vcc, v1, v2 src0_sel:WORD_0 src1_sel:DWORD
	v_cndmask_b32_e32 v0, v0, v1, vcc
; %bb.2042:                             ;   in Loop: Header=BB8_2017 Depth=3
	s_or_b64 exec, exec, s[92:93]
	v_lshlrev_b32_e32 v1, 16, v35
	v_mul_f32_e32 v10, v4, v1
	v_and_b32_e32 v1, 0x7f800000, v10
	v_cmp_ne_u32_e32 vcc, s87, v1
                                        ; implicit-def: $vgpr1
	s_and_saveexec_b64 s[44:45], vcc
	s_xor_b64 s[92:93], exec, s[44:45]
; %bb.2043:                             ;   in Loop: Header=BB8_2017 Depth=3
	v_bfe_u32 v1, v10, 16, 1
	v_add3_u32 v1, v10, v1, s96
                                        ; implicit-def: $vgpr10
; %bb.2044:                             ;   in Loop: Header=BB8_2017 Depth=3
	s_andn2_saveexec_b64 s[92:93], s[92:93]
; %bb.2045:                             ;   in Loop: Header=BB8_2017 Depth=3
	v_or_b32_e32 v1, 0x10000, v10
	v_cmp_eq_u32_sdwa vcc, v10, v2 src0_sel:WORD_0 src1_sel:DWORD
	v_cndmask_b32_e32 v1, v1, v10, vcc
; %bb.2046:                             ;   in Loop: Header=BB8_2017 Depth=3
	s_or_b64 exec, exec, s[92:93]
	v_and_b32_e32 v10, 0xffff0000, v35
	v_mul_f32_e32 v10, v4, v10
	v_and_b32_e32 v11, 0x7f800000, v10
	v_cmp_ne_u32_e32 vcc, s87, v11
                                        ; implicit-def: $vgpr61
	s_and_saveexec_b64 s[44:45], vcc
	s_xor_b64 s[92:93], exec, s[44:45]
; %bb.2047:                             ;   in Loop: Header=BB8_2017 Depth=3
	v_bfe_u32 v11, v10, 16, 1
	v_add3_u32 v61, v10, v11, s96
                                        ; implicit-def: $vgpr10
; %bb.2048:                             ;   in Loop: Header=BB8_2017 Depth=3
	s_andn2_saveexec_b64 s[92:93], s[92:93]
; %bb.2049:                             ;   in Loop: Header=BB8_2017 Depth=3
	v_or_b32_e32 v11, 0x10000, v10
	v_cmp_eq_u32_sdwa vcc, v10, v2 src0_sel:WORD_0 src1_sel:DWORD
	v_cndmask_b32_e32 v61, v11, v10, vcc
; %bb.2050:                             ;   in Loop: Header=BB8_2017 Depth=3
	s_or_b64 exec, exec, s[92:93]
	v_lshlrev_b32_e32 v10, 16, v16
	v_mul_f32_e32 v10, v4, v10
	v_and_b32_e32 v11, 0x7f800000, v10
	v_cmp_ne_u32_e32 vcc, s87, v11
                                        ; implicit-def: $vgpr42
	s_and_saveexec_b64 s[44:45], vcc
	s_xor_b64 s[92:93], exec, s[44:45]
; %bb.2051:                             ;   in Loop: Header=BB8_2017 Depth=3
	v_bfe_u32 v11, v10, 16, 1
	v_add3_u32 v42, v10, v11, s96
                                        ; implicit-def: $vgpr10
; %bb.2052:                             ;   in Loop: Header=BB8_2017 Depth=3
	s_andn2_saveexec_b64 s[92:93], s[92:93]
; %bb.2053:                             ;   in Loop: Header=BB8_2017 Depth=3
	v_or_b32_e32 v11, 0x10000, v10
	v_cmp_eq_u32_sdwa vcc, v10, v2 src0_sel:WORD_0 src1_sel:DWORD
	v_cndmask_b32_e32 v42, v11, v10, vcc
; %bb.2054:                             ;   in Loop: Header=BB8_2017 Depth=3
	s_or_b64 exec, exec, s[92:93]
	v_and_b32_e32 v10, 0xffff0000, v16
	v_mul_f32_e32 v10, v4, v10
	v_and_b32_e32 v11, 0x7f800000, v10
	v_cmp_ne_u32_e32 vcc, s87, v11
                                        ; implicit-def: $vgpr34
	s_and_saveexec_b64 s[44:45], vcc
	s_xor_b64 s[92:93], exec, s[44:45]
; %bb.2055:                             ;   in Loop: Header=BB8_2017 Depth=3
	v_bfe_u32 v11, v10, 16, 1
	v_add3_u32 v34, v10, v11, s96
                                        ; implicit-def: $vgpr10
; %bb.2056:                             ;   in Loop: Header=BB8_2017 Depth=3
	s_andn2_saveexec_b64 s[92:93], s[92:93]
; %bb.2057:                             ;   in Loop: Header=BB8_2017 Depth=3
	v_or_b32_e32 v11, 0x10000, v10
	v_cmp_eq_u32_sdwa vcc, v10, v2 src0_sel:WORD_0 src1_sel:DWORD
	v_cndmask_b32_e32 v34, v11, v10, vcc
; %bb.2058:                             ;   in Loop: Header=BB8_2017 Depth=3
	s_or_b64 exec, exec, s[92:93]
	v_lshlrev_b32_e32 v10, 16, v17
	v_mul_f32_e32 v10, v4, v10
	v_and_b32_e32 v11, 0x7f800000, v10
	v_cmp_ne_u32_e32 vcc, s87, v11
                                        ; implicit-def: $vgpr35
	s_and_saveexec_b64 s[44:45], vcc
	s_xor_b64 s[92:93], exec, s[44:45]
; %bb.2059:                             ;   in Loop: Header=BB8_2017 Depth=3
	v_bfe_u32 v11, v10, 16, 1
	v_add3_u32 v35, v10, v11, s96
                                        ; implicit-def: $vgpr10
; %bb.2060:                             ;   in Loop: Header=BB8_2017 Depth=3
	s_andn2_saveexec_b64 s[92:93], s[92:93]
; %bb.2061:                             ;   in Loop: Header=BB8_2017 Depth=3
	v_or_b32_e32 v11, 0x10000, v10
	v_cmp_eq_u32_sdwa vcc, v10, v2 src0_sel:WORD_0 src1_sel:DWORD
	v_cndmask_b32_e32 v35, v11, v10, vcc
; %bb.2062:                             ;   in Loop: Header=BB8_2017 Depth=3
	s_or_b64 exec, exec, s[92:93]
	v_and_b32_e32 v10, 0xffff0000, v17
	v_mul_f32_e32 v10, v4, v10
	v_and_b32_e32 v11, 0x7f800000, v10
	v_cmp_ne_u32_e32 vcc, s87, v11
                                        ; implicit-def: $vgpr32
	s_and_saveexec_b64 s[44:45], vcc
	s_xor_b64 s[92:93], exec, s[44:45]
; %bb.2063:                             ;   in Loop: Header=BB8_2017 Depth=3
	v_bfe_u32 v11, v10, 16, 1
	v_add3_u32 v32, v10, v11, s96
                                        ; implicit-def: $vgpr10
; %bb.2064:                             ;   in Loop: Header=BB8_2017 Depth=3
	s_andn2_saveexec_b64 s[92:93], s[92:93]
; %bb.2065:                             ;   in Loop: Header=BB8_2017 Depth=3
	v_or_b32_e32 v11, 0x10000, v10
	v_cmp_eq_u32_sdwa vcc, v10, v2 src0_sel:WORD_0 src1_sel:DWORD
	v_cndmask_b32_e32 v32, v11, v10, vcc
; %bb.2066:                             ;   in Loop: Header=BB8_2017 Depth=3
	s_or_b64 exec, exec, s[92:93]
	v_lshlrev_b32_e32 v10, 16, v18
	v_mul_f32_e32 v10, v4, v10
	v_and_b32_e32 v11, 0x7f800000, v10
	v_cmp_ne_u32_e32 vcc, s87, v11
                                        ; implicit-def: $vgpr33
	s_and_saveexec_b64 s[44:45], vcc
	s_xor_b64 s[92:93], exec, s[44:45]
; %bb.2067:                             ;   in Loop: Header=BB8_2017 Depth=3
	v_bfe_u32 v11, v10, 16, 1
	v_add3_u32 v33, v10, v11, s96
                                        ; implicit-def: $vgpr10
; %bb.2068:                             ;   in Loop: Header=BB8_2017 Depth=3
	s_andn2_saveexec_b64 s[92:93], s[92:93]
; %bb.2069:                             ;   in Loop: Header=BB8_2017 Depth=3
	v_or_b32_e32 v11, 0x10000, v10
	v_cmp_eq_u32_sdwa vcc, v10, v2 src0_sel:WORD_0 src1_sel:DWORD
	v_cndmask_b32_e32 v33, v11, v10, vcc
; %bb.2070:                             ;   in Loop: Header=BB8_2017 Depth=3
	s_or_b64 exec, exec, s[92:93]
	v_and_b32_e32 v10, 0xffff0000, v18
	v_mul_f32_e32 v10, v4, v10
	v_and_b32_e32 v11, 0x7f800000, v10
	v_cmp_ne_u32_e32 vcc, s87, v11
                                        ; implicit-def: $vgpr17
	s_and_saveexec_b64 s[44:45], vcc
	s_xor_b64 s[92:93], exec, s[44:45]
; %bb.2071:                             ;   in Loop: Header=BB8_2017 Depth=3
	v_bfe_u32 v11, v10, 16, 1
	v_add3_u32 v17, v10, v11, s96
                                        ; implicit-def: $vgpr10
; %bb.2072:                             ;   in Loop: Header=BB8_2017 Depth=3
	s_andn2_saveexec_b64 s[92:93], s[92:93]
; %bb.2073:                             ;   in Loop: Header=BB8_2017 Depth=3
	v_or_b32_e32 v11, 0x10000, v10
	v_cmp_eq_u32_sdwa vcc, v10, v2 src0_sel:WORD_0 src1_sel:DWORD
	v_cndmask_b32_e32 v17, v11, v10, vcc
; %bb.2074:                             ;   in Loop: Header=BB8_2017 Depth=3
	s_or_b64 exec, exec, s[92:93]
	v_lshlrev_b32_e32 v10, 16, v19
	v_mul_f32_e32 v10, v4, v10
	v_and_b32_e32 v11, 0x7f800000, v10
	v_cmp_ne_u32_e32 vcc, s87, v11
                                        ; implicit-def: $vgpr18
	s_and_saveexec_b64 s[44:45], vcc
	s_xor_b64 s[92:93], exec, s[44:45]
; %bb.2075:                             ;   in Loop: Header=BB8_2017 Depth=3
	v_bfe_u32 v11, v10, 16, 1
	v_add3_u32 v18, v10, v11, s96
                                        ; implicit-def: $vgpr10
; %bb.2076:                             ;   in Loop: Header=BB8_2017 Depth=3
	s_andn2_saveexec_b64 s[92:93], s[92:93]
; %bb.2077:                             ;   in Loop: Header=BB8_2017 Depth=3
	v_or_b32_e32 v11, 0x10000, v10
	v_cmp_eq_u32_sdwa vcc, v10, v2 src0_sel:WORD_0 src1_sel:DWORD
	v_cndmask_b32_e32 v18, v11, v10, vcc
; %bb.2078:                             ;   in Loop: Header=BB8_2017 Depth=3
	s_or_b64 exec, exec, s[92:93]
	v_and_b32_e32 v10, 0xffff0000, v19
	v_mul_f32_e32 v10, v4, v10
	v_and_b32_e32 v11, 0x7f800000, v10
	v_cmp_ne_u32_e32 vcc, s87, v11
                                        ; implicit-def: $vgpr16
	s_and_saveexec_b64 s[44:45], vcc
	s_xor_b64 s[92:93], exec, s[44:45]
; %bb.2079:                             ;   in Loop: Header=BB8_2017 Depth=3
	v_bfe_u32 v11, v10, 16, 1
	v_add3_u32 v16, v10, v11, s96
                                        ; implicit-def: $vgpr10
; %bb.2080:                             ;   in Loop: Header=BB8_2017 Depth=3
	s_andn2_saveexec_b64 s[92:93], s[92:93]
; %bb.2081:                             ;   in Loop: Header=BB8_2017 Depth=3
	v_or_b32_e32 v11, 0x10000, v10
	v_cmp_eq_u32_sdwa vcc, v10, v2 src0_sel:WORD_0 src1_sel:DWORD
	v_cndmask_b32_e32 v16, v11, v10, vcc
; %bb.2082:                             ;   in Loop: Header=BB8_2017 Depth=3
	s_or_b64 exec, exec, s[92:93]
	buffer_load_dword v10, off, s[0:3], s33 offset:276 ; 4-byte Folded Reload
	buffer_load_dword v11, off, s[0:3], s33 offset:280 ; 4-byte Folded Reload
	;; [unrolled: 1-line block ×4, first 2 shown]
	v_and_b32_e32 v5, 0xffff0000, v5
	s_waitcnt vmcnt(3)
	v_lshlrev_b32_e32 v10, 16, v10
	v_add_f32_e32 v10, v10, v5
	v_and_b32_e32 v5, 0x7f800000, v10
	v_cmp_ne_u32_e32 vcc, s87, v5
                                        ; implicit-def: $vgpr5
	s_and_saveexec_b64 s[44:45], vcc
	s_xor_b64 s[92:93], exec, s[44:45]
; %bb.2083:                             ;   in Loop: Header=BB8_2017 Depth=3
	v_bfe_u32 v5, v10, 16, 1
	v_add3_u32 v5, v10, v5, s96
                                        ; implicit-def: $vgpr10
; %bb.2084:                             ;   in Loop: Header=BB8_2017 Depth=3
	s_andn2_saveexec_b64 s[92:93], s[92:93]
; %bb.2085:                             ;   in Loop: Header=BB8_2017 Depth=3
	v_or_b32_e32 v5, 0x10000, v10
	v_cmp_eq_u32_sdwa vcc, v10, v2 src0_sel:WORD_0 src1_sel:DWORD
	v_cndmask_b32_e32 v5, v5, v10, vcc
; %bb.2086:                             ;   in Loop: Header=BB8_2017 Depth=3
	s_or_b64 exec, exec, s[92:93]
	buffer_load_dword v10, off, s[0:3], s33 offset:276 ; 4-byte Folded Reload
	buffer_load_dword v11, off, s[0:3], s33 offset:280 ; 4-byte Folded Reload
	;; [unrolled: 1-line block ×4, first 2 shown]
	v_and_b32_e32 v8, 0xffff0000, v8
	s_waitcnt vmcnt(3)
	v_and_b32_e32 v10, 0xffff0000, v10
	v_add_f32_e32 v10, v10, v8
	v_and_b32_e32 v8, 0x7f800000, v10
	v_cmp_ne_u32_e32 vcc, s87, v8
                                        ; implicit-def: $vgpr8
	s_and_saveexec_b64 s[44:45], vcc
	s_xor_b64 s[92:93], exec, s[44:45]
; %bb.2087:                             ;   in Loop: Header=BB8_2017 Depth=3
	v_bfe_u32 v8, v10, 16, 1
	v_add3_u32 v8, v10, v8, s96
                                        ; implicit-def: $vgpr10
; %bb.2088:                             ;   in Loop: Header=BB8_2017 Depth=3
	s_andn2_saveexec_b64 s[92:93], s[92:93]
; %bb.2089:                             ;   in Loop: Header=BB8_2017 Depth=3
	v_or_b32_e32 v8, 0x10000, v10
	v_cmp_eq_u32_sdwa vcc, v10, v2 src0_sel:WORD_0 src1_sel:DWORD
	v_cndmask_b32_e32 v8, v8, v10, vcc
; %bb.2090:                             ;   in Loop: Header=BB8_2017 Depth=3
	s_or_b64 exec, exec, s[92:93]
	buffer_load_dword v10, off, s[0:3], s33 offset:276 ; 4-byte Folded Reload
	buffer_load_dword v11, off, s[0:3], s33 offset:280 ; 4-byte Folded Reload
	;; [unrolled: 1-line block ×4, first 2 shown]
	v_and_b32_e32 v9, 0xffff0000, v9
	s_waitcnt vmcnt(2)
	v_lshlrev_b32_e32 v10, 16, v11
	v_add_f32_e32 v10, v10, v9
	v_and_b32_e32 v9, 0x7f800000, v10
	v_cmp_ne_u32_e32 vcc, s87, v9
                                        ; implicit-def: $vgpr9
	s_and_saveexec_b64 s[44:45], vcc
	s_xor_b64 s[92:93], exec, s[44:45]
; %bb.2091:                             ;   in Loop: Header=BB8_2017 Depth=3
	v_bfe_u32 v9, v10, 16, 1
	v_add3_u32 v9, v10, v9, s96
                                        ; implicit-def: $vgpr10
; %bb.2092:                             ;   in Loop: Header=BB8_2017 Depth=3
	s_andn2_saveexec_b64 s[92:93], s[92:93]
; %bb.2093:                             ;   in Loop: Header=BB8_2017 Depth=3
	v_or_b32_e32 v9, 0x10000, v10
	v_cmp_eq_u32_sdwa vcc, v10, v2 src0_sel:WORD_0 src1_sel:DWORD
	v_cndmask_b32_e32 v9, v9, v10, vcc
; %bb.2094:                             ;   in Loop: Header=BB8_2017 Depth=3
	s_or_b64 exec, exec, s[92:93]
	buffer_load_dword v10, off, s[0:3], s33 offset:276 ; 4-byte Folded Reload
	buffer_load_dword v11, off, s[0:3], s33 offset:280 ; 4-byte Folded Reload
	;; [unrolled: 1-line block ×4, first 2 shown]
	v_and_b32_e32 v3, 0xffff0000, v3
	s_waitcnt vmcnt(2)
	v_and_b32_e32 v10, 0xffff0000, v11
	v_add_f32_e32 v10, v10, v3
	v_and_b32_e32 v3, 0x7f800000, v10
	v_cmp_ne_u32_e32 vcc, s87, v3
                                        ; implicit-def: $vgpr3
	s_and_saveexec_b64 s[44:45], vcc
	s_xor_b64 s[92:93], exec, s[44:45]
; %bb.2095:                             ;   in Loop: Header=BB8_2017 Depth=3
	v_bfe_u32 v3, v10, 16, 1
	v_add3_u32 v3, v10, v3, s96
                                        ; implicit-def: $vgpr10
; %bb.2096:                             ;   in Loop: Header=BB8_2017 Depth=3
	s_andn2_saveexec_b64 s[92:93], s[92:93]
; %bb.2097:                             ;   in Loop: Header=BB8_2017 Depth=3
	v_or_b32_e32 v3, 0x10000, v10
	v_cmp_eq_u32_sdwa vcc, v10, v2 src0_sel:WORD_0 src1_sel:DWORD
	v_cndmask_b32_e32 v3, v3, v10, vcc
; %bb.2098:                             ;   in Loop: Header=BB8_2017 Depth=3
	s_or_b64 exec, exec, s[92:93]
	buffer_load_dword v11, off, s[0:3], s33 offset:276 ; 4-byte Folded Reload
	buffer_load_dword v12, off, s[0:3], s33 offset:280 ; 4-byte Folded Reload
	;; [unrolled: 1-line block ×4, first 2 shown]
	v_and_b32_e32 v10, 0xffff0000, v58
	s_waitcnt vmcnt(1)
	v_lshlrev_b32_e32 v11, 16, v13
	v_add_f32_e32 v11, v11, v10
	v_and_b32_e32 v10, 0x7f800000, v11
	v_cmp_ne_u32_e32 vcc, s87, v10
                                        ; implicit-def: $vgpr10
	s_and_saveexec_b64 s[44:45], vcc
	s_xor_b64 s[92:93], exec, s[44:45]
; %bb.2099:                             ;   in Loop: Header=BB8_2017 Depth=3
	v_bfe_u32 v10, v11, 16, 1
	v_add3_u32 v10, v11, v10, s96
                                        ; implicit-def: $vgpr11
; %bb.2100:                             ;   in Loop: Header=BB8_2017 Depth=3
	s_andn2_saveexec_b64 s[92:93], s[92:93]
; %bb.2101:                             ;   in Loop: Header=BB8_2017 Depth=3
	v_or_b32_e32 v10, 0x10000, v11
	v_cmp_eq_u32_sdwa vcc, v11, v2 src0_sel:WORD_0 src1_sel:DWORD
	v_cndmask_b32_e32 v10, v10, v11, vcc
; %bb.2102:                             ;   in Loop: Header=BB8_2017 Depth=3
	s_or_b64 exec, exec, s[92:93]
	buffer_load_dword v11, off, s[0:3], s33 offset:276 ; 4-byte Folded Reload
	buffer_load_dword v12, off, s[0:3], s33 offset:280 ; 4-byte Folded Reload
	;; [unrolled: 1-line block ×4, first 2 shown]
	v_and_b32_e32 v0, 0xffff0000, v0
	s_waitcnt vmcnt(1)
	v_and_b32_e32 v11, 0xffff0000, v13
	v_add_f32_e32 v11, v11, v0
	v_and_b32_e32 v0, 0x7f800000, v11
	v_cmp_ne_u32_e32 vcc, s87, v0
                                        ; implicit-def: $vgpr0
	s_and_saveexec_b64 s[44:45], vcc
	s_xor_b64 s[92:93], exec, s[44:45]
; %bb.2103:                             ;   in Loop: Header=BB8_2017 Depth=3
	v_bfe_u32 v0, v11, 16, 1
	v_add3_u32 v0, v11, v0, s96
                                        ; implicit-def: $vgpr11
; %bb.2104:                             ;   in Loop: Header=BB8_2017 Depth=3
	s_andn2_saveexec_b64 s[92:93], s[92:93]
; %bb.2105:                             ;   in Loop: Header=BB8_2017 Depth=3
	v_or_b32_e32 v0, 0x10000, v11
	v_cmp_eq_u32_sdwa vcc, v11, v2 src0_sel:WORD_0 src1_sel:DWORD
	v_cndmask_b32_e32 v0, v0, v11, vcc
; %bb.2106:                             ;   in Loop: Header=BB8_2017 Depth=3
	s_or_b64 exec, exec, s[92:93]
	buffer_load_dword v11, off, s[0:3], s33 offset:276 ; 4-byte Folded Reload
	buffer_load_dword v12, off, s[0:3], s33 offset:280 ; 4-byte Folded Reload
	;; [unrolled: 1-line block ×4, first 2 shown]
	v_and_b32_e32 v1, 0xffff0000, v1
	s_waitcnt vmcnt(0)
	v_lshlrev_b32_e32 v11, 16, v14
	v_add_f32_e32 v11, v11, v1
	v_and_b32_e32 v1, 0x7f800000, v11
	v_cmp_ne_u32_e32 vcc, s87, v1
                                        ; implicit-def: $vgpr1
	s_and_saveexec_b64 s[44:45], vcc
	s_xor_b64 s[92:93], exec, s[44:45]
; %bb.2107:                             ;   in Loop: Header=BB8_2017 Depth=3
	v_bfe_u32 v1, v11, 16, 1
	v_add3_u32 v1, v11, v1, s96
                                        ; implicit-def: $vgpr11
; %bb.2108:                             ;   in Loop: Header=BB8_2017 Depth=3
	s_andn2_saveexec_b64 s[92:93], s[92:93]
; %bb.2109:                             ;   in Loop: Header=BB8_2017 Depth=3
	v_or_b32_e32 v1, 0x10000, v11
	v_cmp_eq_u32_sdwa vcc, v11, v2 src0_sel:WORD_0 src1_sel:DWORD
	v_cndmask_b32_e32 v1, v1, v11, vcc
; %bb.2110:                             ;   in Loop: Header=BB8_2017 Depth=3
	s_or_b64 exec, exec, s[92:93]
	buffer_load_dword v11, off, s[0:3], s33 offset:276 ; 4-byte Folded Reload
	buffer_load_dword v12, off, s[0:3], s33 offset:280 ; 4-byte Folded Reload
	;; [unrolled: 1-line block ×4, first 2 shown]
	v_and_b32_e32 v19, 0xffff0000, v61
	s_waitcnt vmcnt(0)
	v_and_b32_e32 v11, 0xffff0000, v14
	v_add_f32_e32 v19, v11, v19
	v_and_b32_e32 v11, 0x7f800000, v19
	v_cmp_ne_u32_e32 vcc, s87, v11
                                        ; implicit-def: $vgpr11
	s_and_saveexec_b64 s[44:45], vcc
	s_xor_b64 s[92:93], exec, s[44:45]
; %bb.2111:                             ;   in Loop: Header=BB8_2017 Depth=3
	v_bfe_u32 v11, v19, 16, 1
	v_add3_u32 v11, v19, v11, s96
                                        ; implicit-def: $vgpr19
; %bb.2112:                             ;   in Loop: Header=BB8_2017 Depth=3
	s_andn2_saveexec_b64 s[92:93], s[92:93]
; %bb.2113:                             ;   in Loop: Header=BB8_2017 Depth=3
	v_or_b32_e32 v11, 0x10000, v19
	v_cmp_eq_u32_sdwa vcc, v19, v2 src0_sel:WORD_0 src1_sel:DWORD
	v_cndmask_b32_e32 v11, v11, v19, vcc
; %bb.2114:                             ;   in Loop: Header=BB8_2017 Depth=3
	s_or_b64 exec, exec, s[92:93]
	buffer_load_dword v12, off, s[0:3], s33 offset:240 ; 4-byte Folded Reload
	buffer_load_dword v13, off, s[0:3], s33 offset:244 ; 4-byte Folded Reload
	;; [unrolled: 1-line block ×4, first 2 shown]
	v_and_b32_e32 v19, 0xffff0000, v42
	s_waitcnt vmcnt(3)
	v_lshlrev_b32_e32 v30, 16, v12
	v_add_f32_e32 v30, v30, v19
	v_and_b32_e32 v19, 0x7f800000, v30
	v_cmp_ne_u32_e32 vcc, s87, v19
                                        ; implicit-def: $vgpr19
	s_and_saveexec_b64 s[44:45], vcc
	s_xor_b64 s[92:93], exec, s[44:45]
; %bb.2115:                             ;   in Loop: Header=BB8_2017 Depth=3
	v_bfe_u32 v19, v30, 16, 1
	v_add3_u32 v19, v30, v19, s96
                                        ; implicit-def: $vgpr30
; %bb.2116:                             ;   in Loop: Header=BB8_2017 Depth=3
	s_andn2_saveexec_b64 s[92:93], s[92:93]
; %bb.2117:                             ;   in Loop: Header=BB8_2017 Depth=3
	v_or_b32_e32 v19, 0x10000, v30
	v_cmp_eq_u32_sdwa vcc, v30, v2 src0_sel:WORD_0 src1_sel:DWORD
	v_cndmask_b32_e32 v19, v19, v30, vcc
; %bb.2118:                             ;   in Loop: Header=BB8_2017 Depth=3
	s_or_b64 exec, exec, s[92:93]
	buffer_load_dword v12, off, s[0:3], s33 offset:240 ; 4-byte Folded Reload
	buffer_load_dword v13, off, s[0:3], s33 offset:244 ; 4-byte Folded Reload
	;; [unrolled: 1-line block ×4, first 2 shown]
	v_and_b32_e32 v31, 0xffff0000, v34
	s_waitcnt vmcnt(3)
	v_and_b32_e32 v30, 0xffff0000, v12
	v_add_f32_e32 v31, v30, v31
	v_and_b32_e32 v30, 0x7f800000, v31
	v_cmp_ne_u32_e32 vcc, s87, v30
                                        ; implicit-def: $vgpr30
	s_and_saveexec_b64 s[44:45], vcc
	s_xor_b64 s[92:93], exec, s[44:45]
; %bb.2119:                             ;   in Loop: Header=BB8_2017 Depth=3
	v_bfe_u32 v30, v31, 16, 1
	v_add3_u32 v30, v31, v30, s96
                                        ; implicit-def: $vgpr31
; %bb.2120:                             ;   in Loop: Header=BB8_2017 Depth=3
	s_andn2_saveexec_b64 s[92:93], s[92:93]
; %bb.2121:                             ;   in Loop: Header=BB8_2017 Depth=3
	v_or_b32_e32 v30, 0x10000, v31
	v_cmp_eq_u32_sdwa vcc, v31, v2 src0_sel:WORD_0 src1_sel:DWORD
	v_cndmask_b32_e32 v30, v30, v31, vcc
; %bb.2122:                             ;   in Loop: Header=BB8_2017 Depth=3
	s_or_b64 exec, exec, s[92:93]
	buffer_load_dword v12, off, s[0:3], s33 offset:240 ; 4-byte Folded Reload
	buffer_load_dword v13, off, s[0:3], s33 offset:244 ; 4-byte Folded Reload
	;; [unrolled: 1-line block ×4, first 2 shown]
	v_and_b32_e32 v31, 0xffff0000, v35
	s_waitcnt vmcnt(2)
	v_lshlrev_b32_e32 v34, 16, v13
	v_add_f32_e32 v34, v34, v31
	v_and_b32_e32 v31, 0x7f800000, v34
	v_cmp_ne_u32_e32 vcc, s87, v31
                                        ; implicit-def: $vgpr31
	s_and_saveexec_b64 s[44:45], vcc
	s_xor_b64 s[92:93], exec, s[44:45]
; %bb.2123:                             ;   in Loop: Header=BB8_2017 Depth=3
	v_bfe_u32 v31, v34, 16, 1
	v_add3_u32 v31, v34, v31, s96
                                        ; implicit-def: $vgpr34
; %bb.2124:                             ;   in Loop: Header=BB8_2017 Depth=3
	s_andn2_saveexec_b64 s[92:93], s[92:93]
; %bb.2125:                             ;   in Loop: Header=BB8_2017 Depth=3
	v_or_b32_e32 v31, 0x10000, v34
	v_cmp_eq_u32_sdwa vcc, v34, v2 src0_sel:WORD_0 src1_sel:DWORD
	v_cndmask_b32_e32 v31, v31, v34, vcc
; %bb.2126:                             ;   in Loop: Header=BB8_2017 Depth=3
	s_or_b64 exec, exec, s[92:93]
	buffer_load_dword v12, off, s[0:3], s33 offset:240 ; 4-byte Folded Reload
	buffer_load_dword v13, off, s[0:3], s33 offset:244 ; 4-byte Folded Reload
	;; [unrolled: 1-line block ×4, first 2 shown]
	v_and_b32_e32 v32, 0xffff0000, v32
                                        ; implicit-def: $vgpr42
	s_waitcnt vmcnt(2)
	v_and_b32_e32 v34, 0xffff0000, v13
	v_add_f32_e32 v32, v34, v32
	v_and_b32_e32 v34, 0x7f800000, v32
	v_cmp_ne_u32_e32 vcc, s87, v34
	s_and_saveexec_b64 s[44:45], vcc
	s_xor_b64 s[92:93], exec, s[44:45]
; %bb.2127:                             ;   in Loop: Header=BB8_2017 Depth=3
	v_bfe_u32 v34, v32, 16, 1
	v_add3_u32 v42, v32, v34, s96
                                        ; implicit-def: $vgpr32
; %bb.2128:                             ;   in Loop: Header=BB8_2017 Depth=3
	s_andn2_saveexec_b64 s[92:93], s[92:93]
; %bb.2129:                             ;   in Loop: Header=BB8_2017 Depth=3
	v_or_b32_e32 v34, 0x10000, v32
	v_cmp_eq_u32_sdwa vcc, v32, v2 src0_sel:WORD_0 src1_sel:DWORD
	v_cndmask_b32_e32 v42, v34, v32, vcc
; %bb.2130:                             ;   in Loop: Header=BB8_2017 Depth=3
	s_or_b64 exec, exec, s[92:93]
	buffer_load_dword v12, off, s[0:3], s33 offset:240 ; 4-byte Folded Reload
	buffer_load_dword v13, off, s[0:3], s33 offset:244 ; 4-byte Folded Reload
	;; [unrolled: 1-line block ×4, first 2 shown]
	v_and_b32_e32 v32, 0xffff0000, v33
                                        ; implicit-def: $vgpr57
	s_waitcnt vmcnt(1)
	v_lshlrev_b32_e32 v33, 16, v14
	v_add_f32_e32 v32, v33, v32
	v_and_b32_e32 v33, 0x7f800000, v32
	v_cmp_ne_u32_e32 vcc, s87, v33
	s_and_saveexec_b64 s[44:45], vcc
	s_xor_b64 s[92:93], exec, s[44:45]
; %bb.2131:                             ;   in Loop: Header=BB8_2017 Depth=3
	v_bfe_u32 v33, v32, 16, 1
	v_add3_u32 v57, v32, v33, s96
                                        ; implicit-def: $vgpr32
; %bb.2132:                             ;   in Loop: Header=BB8_2017 Depth=3
	s_andn2_saveexec_b64 s[92:93], s[92:93]
; %bb.2133:                             ;   in Loop: Header=BB8_2017 Depth=3
	v_or_b32_e32 v33, 0x10000, v32
	v_cmp_eq_u32_sdwa vcc, v32, v2 src0_sel:WORD_0 src1_sel:DWORD
	v_cndmask_b32_e32 v57, v33, v32, vcc
; %bb.2134:                             ;   in Loop: Header=BB8_2017 Depth=3
	s_or_b64 exec, exec, s[92:93]
	buffer_load_dword v32, off, s[0:3], s33 offset:240 ; 4-byte Folded Reload
	buffer_load_dword v33, off, s[0:3], s33 offset:244 ; 4-byte Folded Reload
	;; [unrolled: 1-line block ×4, first 2 shown]
	v_and_b32_e32 v17, 0xffff0000, v17
                                        ; implicit-def: $vgpr52
	s_waitcnt vmcnt(1)
	v_and_b32_e32 v32, 0xffff0000, v34
	v_add_f32_e32 v17, v32, v17
	v_and_b32_e32 v32, 0x7f800000, v17
	v_cmp_ne_u32_e32 vcc, s87, v32
	s_and_saveexec_b64 s[44:45], vcc
	s_xor_b64 s[92:93], exec, s[44:45]
; %bb.2135:                             ;   in Loop: Header=BB8_2017 Depth=3
	v_bfe_u32 v32, v17, 16, 1
	v_add3_u32 v52, v17, v32, s96
                                        ; implicit-def: $vgpr17
; %bb.2136:                             ;   in Loop: Header=BB8_2017 Depth=3
	s_andn2_saveexec_b64 s[92:93], s[92:93]
; %bb.2137:                             ;   in Loop: Header=BB8_2017 Depth=3
	v_or_b32_e32 v32, 0x10000, v17
	v_cmp_eq_u32_sdwa vcc, v17, v2 src0_sel:WORD_0 src1_sel:DWORD
	v_cndmask_b32_e32 v52, v32, v17, vcc
; %bb.2138:                             ;   in Loop: Header=BB8_2017 Depth=3
	s_or_b64 exec, exec, s[92:93]
	buffer_load_dword v12, off, s[0:3], s33 offset:240 ; 4-byte Folded Reload
	buffer_load_dword v13, off, s[0:3], s33 offset:244 ; 4-byte Folded Reload
	;; [unrolled: 1-line block ×4, first 2 shown]
	v_and_b32_e32 v17, 0xffff0000, v18
                                        ; implicit-def: $vgpr53
	s_waitcnt vmcnt(0)
	v_lshlrev_b32_e32 v18, 16, v15
	v_add_f32_e32 v17, v18, v17
	v_and_b32_e32 v18, 0x7f800000, v17
	v_cmp_ne_u32_e32 vcc, s87, v18
	s_and_saveexec_b64 s[44:45], vcc
	s_xor_b64 s[92:93], exec, s[44:45]
; %bb.2139:                             ;   in Loop: Header=BB8_2017 Depth=3
	v_bfe_u32 v18, v17, 16, 1
	v_add3_u32 v53, v17, v18, s96
                                        ; implicit-def: $vgpr17
; %bb.2140:                             ;   in Loop: Header=BB8_2017 Depth=3
	s_andn2_saveexec_b64 s[92:93], s[92:93]
; %bb.2141:                             ;   in Loop: Header=BB8_2017 Depth=3
	v_or_b32_e32 v18, 0x10000, v17
	v_cmp_eq_u32_sdwa vcc, v17, v2 src0_sel:WORD_0 src1_sel:DWORD
	v_cndmask_b32_e32 v53, v18, v17, vcc
; %bb.2142:                             ;   in Loop: Header=BB8_2017 Depth=3
	s_or_b64 exec, exec, s[92:93]
	buffer_load_dword v32, off, s[0:3], s33 offset:240 ; 4-byte Folded Reload
	buffer_load_dword v33, off, s[0:3], s33 offset:244 ; 4-byte Folded Reload
	;; [unrolled: 1-line block ×4, first 2 shown]
	v_and_b32_e32 v16, 0xffff0000, v16
                                        ; implicit-def: $vgpr58
	s_waitcnt vmcnt(0)
	v_and_b32_e32 v17, 0xffff0000, v35
	v_add_f32_e32 v16, v17, v16
	v_and_b32_e32 v17, 0x7f800000, v16
	v_cmp_ne_u32_e32 vcc, s87, v17
	s_and_saveexec_b64 s[44:45], vcc
	s_xor_b64 s[92:93], exec, s[44:45]
; %bb.2143:                             ;   in Loop: Header=BB8_2017 Depth=3
	v_bfe_u32 v17, v16, 16, 1
	v_add3_u32 v58, v16, v17, s96
                                        ; implicit-def: $vgpr16
; %bb.2144:                             ;   in Loop: Header=BB8_2017 Depth=3
	s_andn2_saveexec_b64 s[92:93], s[92:93]
; %bb.2145:                             ;   in Loop: Header=BB8_2017 Depth=3
	v_or_b32_e32 v17, 0x10000, v16
	v_cmp_eq_u32_sdwa vcc, v16, v2 src0_sel:WORD_0 src1_sel:DWORD
	v_cndmask_b32_e32 v58, v17, v16, vcc
; %bb.2146:                             ;   in Loop: Header=BB8_2017 Depth=3
	s_or_b64 exec, exec, s[92:93]
	v_lshrrev_b32_e32 v9, 16, v9
	v_and_or_b32 v33, v3, s97, v9
	v_lshrrev_b32_e32 v3, 16, v5
	v_and_or_b32 v32, v8, s97, v3
	;; [unrolled: 2-line block ×8, first 2 shown]
	global_store_dwordx4 v[28:29], v[32:35], off glc slc
	global_store_dwordx4 v[28:29], v[16:19], off offset:1024 glc slc
	global_store_dwordx4 v[44:45], v[32:35], off glc slc
	global_store_dwordx4 v[44:45], v[16:19], off offset:1024 glc slc
	buffer_load_dword v0, off, s[0:3], s33 offset:152 ; 4-byte Folded Reload
	buffer_load_dword v1, off, s[0:3], s33 offset:156 ; 4-byte Folded Reload
	s_waitcnt vmcnt(1)
	v_add_co_u32_e32 v28, vcc, v28, v0
	s_waitcnt vmcnt(0)
	v_addc_co_u32_e32 v29, vcc, v29, v1, vcc
	v_add_co_u32_e32 v44, vcc, v44, v0
	v_addc_co_u32_e32 v45, vcc, v45, v1, vcc
.LBB8_2147:                             ;   in Loop: Header=BB8_2017 Depth=3
	s_or_b64 exec, exec, s[94:95]
	buffer_load_dword v0, off, s[0:3], s33 offset:152 ; 4-byte Folded Reload
	buffer_load_dword v1, off, s[0:3], s33 offset:156 ; 4-byte Folded Reload
	s_waitcnt vmcnt(1)
	v_add_co_u32_e32 v6, vcc, v6, v0
	s_waitcnt vmcnt(0)
	v_addc_co_u32_e32 v7, vcc, v7, v1, vcc
	v_add_co_u32_e32 v59, vcc, v59, v0
	buffer_load_dword v0, off, s[0:3], s33 offset:128 ; 4-byte Folded Reload
	v_addc_co_u32_e32 v60, vcc, v60, v1, vcc
	s_waitcnt vmcnt(0)
	v_sub_u32_e32 v43, v43, v0
	v_cmp_lt_i32_e64 s[92:93], 0, v43
	s_and_saveexec_b64 s[94:95], s[92:93]
	s_cbranch_execz .LBB8_2149
; %bb.2148:                             ;   in Loop: Header=BB8_2017 Depth=3
	global_load_dwordx4 v[32:35], v[6:7], off glc slc
	global_load_dwordx4 v[16:19], v[6:7], off offset:1024 glc slc
	global_load_dwordx4 v[8:11], v[59:60], off glc slc
	v_add_co_u32_e32 v6, vcc, 0x800, v6
	v_addc_co_u32_e32 v7, vcc, 0, v7, vcc
	s_waitcnt vmcnt(0)
	buffer_store_dword v8, off, s[0:3], s33 offset:276 ; 4-byte Folded Spill
	s_nop 0
	buffer_store_dword v9, off, s[0:3], s33 offset:280 ; 4-byte Folded Spill
	buffer_store_dword v10, off, s[0:3], s33 offset:284 ; 4-byte Folded Spill
	;; [unrolled: 1-line block ×3, first 2 shown]
	global_load_dwordx4 v[8:11], v[59:60], off offset:1024 glc slc
	v_add_co_u32_e32 v59, vcc, 0x800, v59
	v_addc_co_u32_e32 v60, vcc, 0, v60, vcc
	s_waitcnt vmcnt(0)
	buffer_store_dword v8, off, s[0:3], s33 offset:240 ; 4-byte Folded Spill
	s_nop 0
	buffer_store_dword v9, off, s[0:3], s33 offset:244 ; 4-byte Folded Spill
	buffer_store_dword v10, off, s[0:3], s33 offset:248 ; 4-byte Folded Spill
	;; [unrolled: 1-line block ×3, first 2 shown]
.LBB8_2149:                             ;   in Loop: Header=BB8_2017 Depth=3
	s_or_b64 exec, exec, s[94:95]
	v_lshlrev_b32_e32 v0, 16, v48
	v_mul_f32_e32 v0, v4, v0
	v_and_b32_e32 v1, 0x7f800000, v0
	v_cmp_ne_u32_e32 vcc, s87, v1
                                        ; implicit-def: $vgpr5
	s_and_saveexec_b64 s[44:45], vcc
	s_xor_b64 s[94:95], exec, s[44:45]
; %bb.2150:                             ;   in Loop: Header=BB8_2017 Depth=3
	v_bfe_u32 v1, v0, 16, 1
	v_add3_u32 v5, v0, v1, s96
                                        ; implicit-def: $vgpr0
; %bb.2151:                             ;   in Loop: Header=BB8_2017 Depth=3
	s_andn2_saveexec_b64 s[94:95], s[94:95]
; %bb.2152:                             ;   in Loop: Header=BB8_2017 Depth=3
	v_or_b32_e32 v1, 0x10000, v0
	v_cmp_eq_u32_sdwa vcc, v0, v2 src0_sel:WORD_0 src1_sel:DWORD
	v_cndmask_b32_e32 v5, v1, v0, vcc
; %bb.2153:                             ;   in Loop: Header=BB8_2017 Depth=3
	s_or_b64 exec, exec, s[94:95]
	v_and_b32_e32 v0, 0xffff0000, v48
	v_mul_f32_e32 v0, v4, v0
	v_and_b32_e32 v1, 0x7f800000, v0
	v_cmp_ne_u32_e32 vcc, s87, v1
                                        ; implicit-def: $vgpr8
	s_and_saveexec_b64 s[44:45], vcc
	s_xor_b64 s[94:95], exec, s[44:45]
; %bb.2154:                             ;   in Loop: Header=BB8_2017 Depth=3
	v_bfe_u32 v1, v0, 16, 1
	v_add3_u32 v8, v0, v1, s96
                                        ; implicit-def: $vgpr0
; %bb.2155:                             ;   in Loop: Header=BB8_2017 Depth=3
	s_andn2_saveexec_b64 s[94:95], s[94:95]
; %bb.2156:                             ;   in Loop: Header=BB8_2017 Depth=3
	v_or_b32_e32 v1, 0x10000, v0
	v_cmp_eq_u32_sdwa vcc, v0, v2 src0_sel:WORD_0 src1_sel:DWORD
	v_cndmask_b32_e32 v8, v1, v0, vcc
; %bb.2157:                             ;   in Loop: Header=BB8_2017 Depth=3
	s_or_b64 exec, exec, s[94:95]
	v_lshlrev_b32_e32 v0, 16, v49
	v_mul_f32_e32 v0, v4, v0
	v_and_b32_e32 v1, 0x7f800000, v0
	v_cmp_ne_u32_e32 vcc, s87, v1
                                        ; implicit-def: $vgpr9
	s_and_saveexec_b64 s[44:45], vcc
	s_xor_b64 s[94:95], exec, s[44:45]
; %bb.2158:                             ;   in Loop: Header=BB8_2017 Depth=3
	v_bfe_u32 v1, v0, 16, 1
	v_add3_u32 v9, v0, v1, s96
                                        ; implicit-def: $vgpr0
; %bb.2159:                             ;   in Loop: Header=BB8_2017 Depth=3
	s_andn2_saveexec_b64 s[94:95], s[94:95]
; %bb.2160:                             ;   in Loop: Header=BB8_2017 Depth=3
	v_or_b32_e32 v1, 0x10000, v0
	v_cmp_eq_u32_sdwa vcc, v0, v2 src0_sel:WORD_0 src1_sel:DWORD
	v_cndmask_b32_e32 v9, v1, v0, vcc
; %bb.2161:                             ;   in Loop: Header=BB8_2017 Depth=3
	s_or_b64 exec, exec, s[94:95]
	v_and_b32_e32 v0, 0xffff0000, v49
	v_mul_f32_e32 v0, v4, v0
	v_and_b32_e32 v1, 0x7f800000, v0
	v_cmp_ne_u32_e32 vcc, s87, v1
                                        ; implicit-def: $vgpr3
	s_and_saveexec_b64 s[44:45], vcc
	s_xor_b64 s[94:95], exec, s[44:45]
; %bb.2162:                             ;   in Loop: Header=BB8_2017 Depth=3
	v_bfe_u32 v1, v0, 16, 1
	v_add3_u32 v3, v0, v1, s96
                                        ; implicit-def: $vgpr0
; %bb.2163:                             ;   in Loop: Header=BB8_2017 Depth=3
	s_andn2_saveexec_b64 s[94:95], s[94:95]
; %bb.2164:                             ;   in Loop: Header=BB8_2017 Depth=3
	v_or_b32_e32 v1, 0x10000, v0
	v_cmp_eq_u32_sdwa vcc, v0, v2 src0_sel:WORD_0 src1_sel:DWORD
	v_cndmask_b32_e32 v3, v1, v0, vcc
; %bb.2165:                             ;   in Loop: Header=BB8_2017 Depth=3
	s_or_b64 exec, exec, s[94:95]
	v_lshlrev_b32_e32 v0, 16, v50
	v_mul_f32_e32 v0, v4, v0
	v_and_b32_e32 v1, 0x7f800000, v0
	v_cmp_ne_u32_e32 vcc, s87, v1
                                        ; implicit-def: $vgpr58
	s_and_saveexec_b64 s[44:45], vcc
	s_xor_b64 s[94:95], exec, s[44:45]
; %bb.2166:                             ;   in Loop: Header=BB8_2017 Depth=3
	v_bfe_u32 v1, v0, 16, 1
	v_add3_u32 v58, v0, v1, s96
                                        ; implicit-def: $vgpr0
; %bb.2167:                             ;   in Loop: Header=BB8_2017 Depth=3
	s_andn2_saveexec_b64 s[94:95], s[94:95]
; %bb.2168:                             ;   in Loop: Header=BB8_2017 Depth=3
	v_or_b32_e32 v1, 0x10000, v0
	v_cmp_eq_u32_sdwa vcc, v0, v2 src0_sel:WORD_0 src1_sel:DWORD
	v_cndmask_b32_e32 v58, v1, v0, vcc
; %bb.2169:                             ;   in Loop: Header=BB8_2017 Depth=3
	s_or_b64 exec, exec, s[94:95]
	v_and_b32_e32 v0, 0xffff0000, v50
	v_mul_f32_e32 v1, v4, v0
	v_and_b32_e32 v0, 0x7f800000, v1
	v_cmp_ne_u32_e32 vcc, s87, v0
                                        ; implicit-def: $vgpr0
	s_and_saveexec_b64 s[44:45], vcc
	s_xor_b64 s[94:95], exec, s[44:45]
; %bb.2170:                             ;   in Loop: Header=BB8_2017 Depth=3
	v_bfe_u32 v0, v1, 16, 1
	v_add3_u32 v0, v1, v0, s96
                                        ; implicit-def: $vgpr1
; %bb.2171:                             ;   in Loop: Header=BB8_2017 Depth=3
	s_andn2_saveexec_b64 s[94:95], s[94:95]
; %bb.2172:                             ;   in Loop: Header=BB8_2017 Depth=3
	v_or_b32_e32 v0, 0x10000, v1
	v_cmp_eq_u32_sdwa vcc, v1, v2 src0_sel:WORD_0 src1_sel:DWORD
	v_cndmask_b32_e32 v0, v0, v1, vcc
; %bb.2173:                             ;   in Loop: Header=BB8_2017 Depth=3
	s_or_b64 exec, exec, s[94:95]
	v_lshlrev_b32_e32 v1, 16, v51
	v_mul_f32_e32 v10, v4, v1
	v_and_b32_e32 v1, 0x7f800000, v10
	v_cmp_ne_u32_e32 vcc, s87, v1
                                        ; implicit-def: $vgpr1
	s_and_saveexec_b64 s[44:45], vcc
	s_xor_b64 s[94:95], exec, s[44:45]
; %bb.2174:                             ;   in Loop: Header=BB8_2017 Depth=3
	v_bfe_u32 v1, v10, 16, 1
	v_add3_u32 v1, v10, v1, s96
                                        ; implicit-def: $vgpr10
; %bb.2175:                             ;   in Loop: Header=BB8_2017 Depth=3
	s_andn2_saveexec_b64 s[94:95], s[94:95]
; %bb.2176:                             ;   in Loop: Header=BB8_2017 Depth=3
	v_or_b32_e32 v1, 0x10000, v10
	v_cmp_eq_u32_sdwa vcc, v10, v2 src0_sel:WORD_0 src1_sel:DWORD
	v_cndmask_b32_e32 v1, v1, v10, vcc
; %bb.2177:                             ;   in Loop: Header=BB8_2017 Depth=3
	s_or_b64 exec, exec, s[94:95]
	v_and_b32_e32 v10, 0xffff0000, v51
	v_mul_f32_e32 v10, v4, v10
	v_and_b32_e32 v11, 0x7f800000, v10
	v_cmp_ne_u32_e32 vcc, s87, v11
                                        ; implicit-def: $vgpr42
	s_and_saveexec_b64 s[44:45], vcc
	s_xor_b64 s[94:95], exec, s[44:45]
; %bb.2178:                             ;   in Loop: Header=BB8_2017 Depth=3
	v_bfe_u32 v11, v10, 16, 1
	v_add3_u32 v42, v10, v11, s96
                                        ; implicit-def: $vgpr10
; %bb.2179:                             ;   in Loop: Header=BB8_2017 Depth=3
	s_andn2_saveexec_b64 s[94:95], s[94:95]
; %bb.2180:                             ;   in Loop: Header=BB8_2017 Depth=3
	v_or_b32_e32 v11, 0x10000, v10
	v_cmp_eq_u32_sdwa vcc, v10, v2 src0_sel:WORD_0 src1_sel:DWORD
	v_cndmask_b32_e32 v42, v11, v10, vcc
; %bb.2181:                             ;   in Loop: Header=BB8_2017 Depth=3
	s_or_b64 exec, exec, s[94:95]
	v_lshlrev_b32_e32 v10, 16, v36
	v_mul_f32_e32 v10, v4, v10
	v_and_b32_e32 v11, 0x7f800000, v10
	v_cmp_ne_u32_e32 vcc, s87, v11
                                        ; implicit-def: $vgpr61
	s_and_saveexec_b64 s[44:45], vcc
	s_xor_b64 s[94:95], exec, s[44:45]
; %bb.2182:                             ;   in Loop: Header=BB8_2017 Depth=3
	v_bfe_u32 v11, v10, 16, 1
	v_add3_u32 v61, v10, v11, s96
                                        ; implicit-def: $vgpr10
; %bb.2183:                             ;   in Loop: Header=BB8_2017 Depth=3
	s_andn2_saveexec_b64 s[94:95], s[94:95]
; %bb.2184:                             ;   in Loop: Header=BB8_2017 Depth=3
	v_or_b32_e32 v11, 0x10000, v10
	v_cmp_eq_u32_sdwa vcc, v10, v2 src0_sel:WORD_0 src1_sel:DWORD
	v_cndmask_b32_e32 v61, v11, v10, vcc
; %bb.2185:                             ;   in Loop: Header=BB8_2017 Depth=3
	s_or_b64 exec, exec, s[94:95]
	v_and_b32_e32 v10, 0xffff0000, v36
	v_mul_f32_e32 v10, v4, v10
	v_and_b32_e32 v11, 0x7f800000, v10
	v_cmp_ne_u32_e32 vcc, s87, v11
                                        ; implicit-def: $vgpr50
	s_and_saveexec_b64 s[44:45], vcc
	s_xor_b64 s[94:95], exec, s[44:45]
; %bb.2186:                             ;   in Loop: Header=BB8_2017 Depth=3
	v_bfe_u32 v11, v10, 16, 1
	v_add3_u32 v50, v10, v11, s96
                                        ; implicit-def: $vgpr10
; %bb.2187:                             ;   in Loop: Header=BB8_2017 Depth=3
	s_andn2_saveexec_b64 s[94:95], s[94:95]
; %bb.2188:                             ;   in Loop: Header=BB8_2017 Depth=3
	v_or_b32_e32 v11, 0x10000, v10
	v_cmp_eq_u32_sdwa vcc, v10, v2 src0_sel:WORD_0 src1_sel:DWORD
	v_cndmask_b32_e32 v50, v11, v10, vcc
; %bb.2189:                             ;   in Loop: Header=BB8_2017 Depth=3
	s_or_b64 exec, exec, s[94:95]
	v_lshlrev_b32_e32 v10, 16, v37
	v_mul_f32_e32 v10, v4, v10
	v_and_b32_e32 v11, 0x7f800000, v10
	v_cmp_ne_u32_e32 vcc, s87, v11
                                        ; implicit-def: $vgpr51
	s_and_saveexec_b64 s[44:45], vcc
	s_xor_b64 s[94:95], exec, s[44:45]
; %bb.2190:                             ;   in Loop: Header=BB8_2017 Depth=3
	v_bfe_u32 v11, v10, 16, 1
	v_add3_u32 v51, v10, v11, s96
                                        ; implicit-def: $vgpr10
; %bb.2191:                             ;   in Loop: Header=BB8_2017 Depth=3
	s_andn2_saveexec_b64 s[94:95], s[94:95]
; %bb.2192:                             ;   in Loop: Header=BB8_2017 Depth=3
	v_or_b32_e32 v11, 0x10000, v10
	v_cmp_eq_u32_sdwa vcc, v10, v2 src0_sel:WORD_0 src1_sel:DWORD
	v_cndmask_b32_e32 v51, v11, v10, vcc
; %bb.2193:                             ;   in Loop: Header=BB8_2017 Depth=3
	s_or_b64 exec, exec, s[94:95]
	v_and_b32_e32 v10, 0xffff0000, v37
	v_mul_f32_e32 v10, v4, v10
	v_and_b32_e32 v11, 0x7f800000, v10
	v_cmp_ne_u32_e32 vcc, s87, v11
                                        ; implicit-def: $vgpr48
	s_and_saveexec_b64 s[44:45], vcc
	s_xor_b64 s[94:95], exec, s[44:45]
; %bb.2194:                             ;   in Loop: Header=BB8_2017 Depth=3
	v_bfe_u32 v11, v10, 16, 1
	v_add3_u32 v48, v10, v11, s96
                                        ; implicit-def: $vgpr10
; %bb.2195:                             ;   in Loop: Header=BB8_2017 Depth=3
	s_andn2_saveexec_b64 s[94:95], s[94:95]
; %bb.2196:                             ;   in Loop: Header=BB8_2017 Depth=3
	v_or_b32_e32 v11, 0x10000, v10
	v_cmp_eq_u32_sdwa vcc, v10, v2 src0_sel:WORD_0 src1_sel:DWORD
	v_cndmask_b32_e32 v48, v11, v10, vcc
; %bb.2197:                             ;   in Loop: Header=BB8_2017 Depth=3
	s_or_b64 exec, exec, s[94:95]
	v_lshlrev_b32_e32 v10, 16, v38
	v_mul_f32_e32 v10, v4, v10
	v_and_b32_e32 v11, 0x7f800000, v10
	v_cmp_ne_u32_e32 vcc, s87, v11
                                        ; implicit-def: $vgpr49
	s_and_saveexec_b64 s[44:45], vcc
	s_xor_b64 s[94:95], exec, s[44:45]
; %bb.2198:                             ;   in Loop: Header=BB8_2017 Depth=3
	v_bfe_u32 v11, v10, 16, 1
	v_add3_u32 v49, v10, v11, s96
                                        ; implicit-def: $vgpr10
; %bb.2199:                             ;   in Loop: Header=BB8_2017 Depth=3
	s_andn2_saveexec_b64 s[94:95], s[94:95]
; %bb.2200:                             ;   in Loop: Header=BB8_2017 Depth=3
	v_or_b32_e32 v11, 0x10000, v10
	v_cmp_eq_u32_sdwa vcc, v10, v2 src0_sel:WORD_0 src1_sel:DWORD
	v_cndmask_b32_e32 v49, v11, v10, vcc
; %bb.2201:                             ;   in Loop: Header=BB8_2017 Depth=3
	s_or_b64 exec, exec, s[94:95]
	v_and_b32_e32 v10, 0xffff0000, v38
	v_mul_f32_e32 v10, v4, v10
	v_and_b32_e32 v11, 0x7f800000, v10
	v_cmp_ne_u32_e32 vcc, s87, v11
                                        ; implicit-def: $vgpr37
	s_and_saveexec_b64 s[44:45], vcc
	s_xor_b64 s[94:95], exec, s[44:45]
; %bb.2202:                             ;   in Loop: Header=BB8_2017 Depth=3
	v_bfe_u32 v11, v10, 16, 1
	v_add3_u32 v37, v10, v11, s96
                                        ; implicit-def: $vgpr10
; %bb.2203:                             ;   in Loop: Header=BB8_2017 Depth=3
	s_andn2_saveexec_b64 s[94:95], s[94:95]
; %bb.2204:                             ;   in Loop: Header=BB8_2017 Depth=3
	v_or_b32_e32 v11, 0x10000, v10
	v_cmp_eq_u32_sdwa vcc, v10, v2 src0_sel:WORD_0 src1_sel:DWORD
	v_cndmask_b32_e32 v37, v11, v10, vcc
; %bb.2205:                             ;   in Loop: Header=BB8_2017 Depth=3
	s_or_b64 exec, exec, s[94:95]
	v_lshlrev_b32_e32 v10, 16, v39
	v_mul_f32_e32 v10, v4, v10
	v_and_b32_e32 v11, 0x7f800000, v10
	v_cmp_ne_u32_e32 vcc, s87, v11
                                        ; implicit-def: $vgpr38
	s_and_saveexec_b64 s[44:45], vcc
	s_xor_b64 s[94:95], exec, s[44:45]
; %bb.2206:                             ;   in Loop: Header=BB8_2017 Depth=3
	v_bfe_u32 v11, v10, 16, 1
	v_add3_u32 v38, v10, v11, s96
                                        ; implicit-def: $vgpr10
; %bb.2207:                             ;   in Loop: Header=BB8_2017 Depth=3
	s_andn2_saveexec_b64 s[94:95], s[94:95]
; %bb.2208:                             ;   in Loop: Header=BB8_2017 Depth=3
	v_or_b32_e32 v11, 0x10000, v10
	v_cmp_eq_u32_sdwa vcc, v10, v2 src0_sel:WORD_0 src1_sel:DWORD
	v_cndmask_b32_e32 v38, v11, v10, vcc
; %bb.2209:                             ;   in Loop: Header=BB8_2017 Depth=3
	s_or_b64 exec, exec, s[94:95]
	v_and_b32_e32 v10, 0xffff0000, v39
	v_mul_f32_e32 v10, v4, v10
	v_and_b32_e32 v11, 0x7f800000, v10
	v_cmp_ne_u32_e32 vcc, s87, v11
                                        ; implicit-def: $vgpr36
	s_and_saveexec_b64 s[44:45], vcc
	s_xor_b64 s[94:95], exec, s[44:45]
; %bb.2210:                             ;   in Loop: Header=BB8_2017 Depth=3
	v_bfe_u32 v11, v10, 16, 1
	v_add3_u32 v36, v10, v11, s96
                                        ; implicit-def: $vgpr10
; %bb.2211:                             ;   in Loop: Header=BB8_2017 Depth=3
	s_andn2_saveexec_b64 s[94:95], s[94:95]
; %bb.2212:                             ;   in Loop: Header=BB8_2017 Depth=3
	v_or_b32_e32 v11, 0x10000, v10
	v_cmp_eq_u32_sdwa vcc, v10, v2 src0_sel:WORD_0 src1_sel:DWORD
	v_cndmask_b32_e32 v36, v11, v10, vcc
; %bb.2213:                             ;   in Loop: Header=BB8_2017 Depth=3
	s_or_b64 exec, exec, s[94:95]
	v_and_b32_e32 v5, 0xffff0000, v5
	v_lshlrev_b32_e32 v10, 16, v24
	v_add_f32_e32 v10, v10, v5
	v_and_b32_e32 v5, 0x7f800000, v10
	v_cmp_ne_u32_e32 vcc, s87, v5
                                        ; implicit-def: $vgpr5
	s_and_saveexec_b64 s[44:45], vcc
	s_xor_b64 s[94:95], exec, s[44:45]
; %bb.2214:                             ;   in Loop: Header=BB8_2017 Depth=3
	v_bfe_u32 v5, v10, 16, 1
	v_add3_u32 v5, v10, v5, s96
                                        ; implicit-def: $vgpr10
; %bb.2215:                             ;   in Loop: Header=BB8_2017 Depth=3
	s_andn2_saveexec_b64 s[94:95], s[94:95]
; %bb.2216:                             ;   in Loop: Header=BB8_2017 Depth=3
	v_or_b32_e32 v5, 0x10000, v10
	v_cmp_eq_u32_sdwa vcc, v10, v2 src0_sel:WORD_0 src1_sel:DWORD
	v_cndmask_b32_e32 v5, v5, v10, vcc
; %bb.2217:                             ;   in Loop: Header=BB8_2017 Depth=3
	s_or_b64 exec, exec, s[94:95]
	v_and_b32_e32 v10, 0xffff0000, v24
	v_and_b32_e32 v8, 0xffff0000, v8
	v_add_f32_e32 v10, v10, v8
	v_and_b32_e32 v8, 0x7f800000, v10
	v_cmp_ne_u32_e32 vcc, s87, v8
                                        ; implicit-def: $vgpr8
	s_and_saveexec_b64 s[44:45], vcc
	s_xor_b64 s[94:95], exec, s[44:45]
; %bb.2218:                             ;   in Loop: Header=BB8_2017 Depth=3
	v_bfe_u32 v8, v10, 16, 1
	v_add3_u32 v8, v10, v8, s96
                                        ; implicit-def: $vgpr10
; %bb.2219:                             ;   in Loop: Header=BB8_2017 Depth=3
	s_andn2_saveexec_b64 s[94:95], s[94:95]
; %bb.2220:                             ;   in Loop: Header=BB8_2017 Depth=3
	v_or_b32_e32 v8, 0x10000, v10
	v_cmp_eq_u32_sdwa vcc, v10, v2 src0_sel:WORD_0 src1_sel:DWORD
	v_cndmask_b32_e32 v8, v8, v10, vcc
; %bb.2221:                             ;   in Loop: Header=BB8_2017 Depth=3
	s_or_b64 exec, exec, s[94:95]
	v_and_b32_e32 v9, 0xffff0000, v9
	v_lshlrev_b32_e32 v10, 16, v25
	v_add_f32_e32 v10, v10, v9
	v_and_b32_e32 v9, 0x7f800000, v10
	v_cmp_ne_u32_e32 vcc, s87, v9
                                        ; implicit-def: $vgpr9
	s_and_saveexec_b64 s[44:45], vcc
	s_xor_b64 s[94:95], exec, s[44:45]
; %bb.2222:                             ;   in Loop: Header=BB8_2017 Depth=3
	v_bfe_u32 v9, v10, 16, 1
	v_add3_u32 v9, v10, v9, s96
                                        ; implicit-def: $vgpr10
; %bb.2223:                             ;   in Loop: Header=BB8_2017 Depth=3
	s_andn2_saveexec_b64 s[94:95], s[94:95]
; %bb.2224:                             ;   in Loop: Header=BB8_2017 Depth=3
	v_or_b32_e32 v9, 0x10000, v10
	v_cmp_eq_u32_sdwa vcc, v10, v2 src0_sel:WORD_0 src1_sel:DWORD
	v_cndmask_b32_e32 v9, v9, v10, vcc
; %bb.2225:                             ;   in Loop: Header=BB8_2017 Depth=3
	s_or_b64 exec, exec, s[94:95]
	v_and_b32_e32 v10, 0xffff0000, v25
	v_and_b32_e32 v3, 0xffff0000, v3
	v_add_f32_e32 v10, v10, v3
	v_and_b32_e32 v3, 0x7f800000, v10
	v_cmp_ne_u32_e32 vcc, s87, v3
                                        ; implicit-def: $vgpr3
	s_and_saveexec_b64 s[44:45], vcc
	s_xor_b64 s[94:95], exec, s[44:45]
; %bb.2226:                             ;   in Loop: Header=BB8_2017 Depth=3
	v_bfe_u32 v3, v10, 16, 1
	v_add3_u32 v3, v10, v3, s96
                                        ; implicit-def: $vgpr10
; %bb.2227:                             ;   in Loop: Header=BB8_2017 Depth=3
	s_andn2_saveexec_b64 s[94:95], s[94:95]
; %bb.2228:                             ;   in Loop: Header=BB8_2017 Depth=3
	v_or_b32_e32 v3, 0x10000, v10
	v_cmp_eq_u32_sdwa vcc, v10, v2 src0_sel:WORD_0 src1_sel:DWORD
	v_cndmask_b32_e32 v3, v3, v10, vcc
; %bb.2229:                             ;   in Loop: Header=BB8_2017 Depth=3
	s_or_b64 exec, exec, s[94:95]
	v_and_b32_e32 v10, 0xffff0000, v58
	v_lshlrev_b32_e32 v11, 16, v26
	v_add_f32_e32 v11, v11, v10
	v_and_b32_e32 v10, 0x7f800000, v11
	v_cmp_ne_u32_e32 vcc, s87, v10
                                        ; implicit-def: $vgpr10
	s_and_saveexec_b64 s[44:45], vcc
	s_xor_b64 s[94:95], exec, s[44:45]
; %bb.2230:                             ;   in Loop: Header=BB8_2017 Depth=3
	v_bfe_u32 v10, v11, 16, 1
	v_add3_u32 v10, v11, v10, s96
                                        ; implicit-def: $vgpr11
; %bb.2231:                             ;   in Loop: Header=BB8_2017 Depth=3
	s_andn2_saveexec_b64 s[94:95], s[94:95]
; %bb.2232:                             ;   in Loop: Header=BB8_2017 Depth=3
	v_or_b32_e32 v10, 0x10000, v11
	v_cmp_eq_u32_sdwa vcc, v11, v2 src0_sel:WORD_0 src1_sel:DWORD
	v_cndmask_b32_e32 v10, v10, v11, vcc
; %bb.2233:                             ;   in Loop: Header=BB8_2017 Depth=3
	s_or_b64 exec, exec, s[94:95]
	v_and_b32_e32 v11, 0xffff0000, v26
	v_and_b32_e32 v0, 0xffff0000, v0
	v_add_f32_e32 v11, v11, v0
	v_and_b32_e32 v0, 0x7f800000, v11
	v_cmp_ne_u32_e32 vcc, s87, v0
                                        ; implicit-def: $vgpr0
	s_and_saveexec_b64 s[44:45], vcc
	s_xor_b64 s[94:95], exec, s[44:45]
; %bb.2234:                             ;   in Loop: Header=BB8_2017 Depth=3
	v_bfe_u32 v0, v11, 16, 1
	v_add3_u32 v0, v11, v0, s96
                                        ; implicit-def: $vgpr11
; %bb.2235:                             ;   in Loop: Header=BB8_2017 Depth=3
	s_andn2_saveexec_b64 s[94:95], s[94:95]
; %bb.2236:                             ;   in Loop: Header=BB8_2017 Depth=3
	v_or_b32_e32 v0, 0x10000, v11
	v_cmp_eq_u32_sdwa vcc, v11, v2 src0_sel:WORD_0 src1_sel:DWORD
	v_cndmask_b32_e32 v0, v0, v11, vcc
; %bb.2237:                             ;   in Loop: Header=BB8_2017 Depth=3
	s_or_b64 exec, exec, s[94:95]
	v_and_b32_e32 v1, 0xffff0000, v1
	v_lshlrev_b32_e32 v11, 16, v27
	v_add_f32_e32 v11, v11, v1
	v_and_b32_e32 v1, 0x7f800000, v11
	v_cmp_ne_u32_e32 vcc, s87, v1
                                        ; implicit-def: $vgpr1
	s_and_saveexec_b64 s[44:45], vcc
	s_xor_b64 s[94:95], exec, s[44:45]
; %bb.2238:                             ;   in Loop: Header=BB8_2017 Depth=3
	v_bfe_u32 v1, v11, 16, 1
	v_add3_u32 v1, v11, v1, s96
                                        ; implicit-def: $vgpr11
; %bb.2239:                             ;   in Loop: Header=BB8_2017 Depth=3
	s_andn2_saveexec_b64 s[94:95], s[94:95]
; %bb.2240:                             ;   in Loop: Header=BB8_2017 Depth=3
	v_or_b32_e32 v1, 0x10000, v11
	v_cmp_eq_u32_sdwa vcc, v11, v2 src0_sel:WORD_0 src1_sel:DWORD
	v_cndmask_b32_e32 v1, v1, v11, vcc
; %bb.2241:                             ;   in Loop: Header=BB8_2017 Depth=3
	s_or_b64 exec, exec, s[94:95]
	v_and_b32_e32 v11, 0xffff0000, v27
	v_and_b32_e32 v24, 0xffff0000, v42
	v_add_f32_e32 v24, v11, v24
	v_and_b32_e32 v11, 0x7f800000, v24
	v_cmp_ne_u32_e32 vcc, s87, v11
                                        ; implicit-def: $vgpr11
	s_and_saveexec_b64 s[44:45], vcc
	s_xor_b64 s[94:95], exec, s[44:45]
; %bb.2242:                             ;   in Loop: Header=BB8_2017 Depth=3
	v_bfe_u32 v11, v24, 16, 1
	v_add3_u32 v11, v24, v11, s96
                                        ; implicit-def: $vgpr24
; %bb.2243:                             ;   in Loop: Header=BB8_2017 Depth=3
	s_andn2_saveexec_b64 s[94:95], s[94:95]
; %bb.2244:                             ;   in Loop: Header=BB8_2017 Depth=3
	v_or_b32_e32 v11, 0x10000, v24
	v_cmp_eq_u32_sdwa vcc, v24, v2 src0_sel:WORD_0 src1_sel:DWORD
	v_cndmask_b32_e32 v11, v11, v24, vcc
; %bb.2245:                             ;   in Loop: Header=BB8_2017 Depth=3
	s_or_b64 exec, exec, s[94:95]
	v_and_b32_e32 v24, 0xffff0000, v61
	v_lshlrev_b32_e32 v25, 16, v20
	v_add_f32_e32 v25, v25, v24
	v_and_b32_e32 v24, 0x7f800000, v25
	v_cmp_ne_u32_e32 vcc, s87, v24
                                        ; implicit-def: $vgpr24
	s_and_saveexec_b64 s[44:45], vcc
	s_xor_b64 s[94:95], exec, s[44:45]
; %bb.2246:                             ;   in Loop: Header=BB8_2017 Depth=3
	v_bfe_u32 v24, v25, 16, 1
	v_add3_u32 v24, v25, v24, s96
                                        ; implicit-def: $vgpr25
; %bb.2247:                             ;   in Loop: Header=BB8_2017 Depth=3
	s_andn2_saveexec_b64 s[94:95], s[94:95]
; %bb.2248:                             ;   in Loop: Header=BB8_2017 Depth=3
	v_or_b32_e32 v24, 0x10000, v25
	v_cmp_eq_u32_sdwa vcc, v25, v2 src0_sel:WORD_0 src1_sel:DWORD
	v_cndmask_b32_e32 v24, v24, v25, vcc
; %bb.2249:                             ;   in Loop: Header=BB8_2017 Depth=3
	s_or_b64 exec, exec, s[94:95]
	v_and_b32_e32 v20, 0xffff0000, v20
	v_and_b32_e32 v25, 0xffff0000, v50
	v_add_f32_e32 v25, v20, v25
	v_and_b32_e32 v20, 0x7f800000, v25
	v_cmp_ne_u32_e32 vcc, s87, v20
                                        ; implicit-def: $vgpr20
	s_and_saveexec_b64 s[44:45], vcc
	s_xor_b64 s[94:95], exec, s[44:45]
; %bb.2250:                             ;   in Loop: Header=BB8_2017 Depth=3
	v_bfe_u32 v20, v25, 16, 1
	v_add3_u32 v20, v25, v20, s96
                                        ; implicit-def: $vgpr25
; %bb.2251:                             ;   in Loop: Header=BB8_2017 Depth=3
	s_andn2_saveexec_b64 s[94:95], s[94:95]
; %bb.2252:                             ;   in Loop: Header=BB8_2017 Depth=3
	v_or_b32_e32 v20, 0x10000, v25
	v_cmp_eq_u32_sdwa vcc, v25, v2 src0_sel:WORD_0 src1_sel:DWORD
	v_cndmask_b32_e32 v20, v20, v25, vcc
; %bb.2253:                             ;   in Loop: Header=BB8_2017 Depth=3
	s_or_b64 exec, exec, s[94:95]
	v_and_b32_e32 v25, 0xffff0000, v51
	v_lshlrev_b32_e32 v26, 16, v21
	v_add_f32_e32 v26, v26, v25
	v_and_b32_e32 v25, 0x7f800000, v26
	v_cmp_ne_u32_e32 vcc, s87, v25
                                        ; implicit-def: $vgpr25
	s_and_saveexec_b64 s[44:45], vcc
	s_xor_b64 s[94:95], exec, s[44:45]
; %bb.2254:                             ;   in Loop: Header=BB8_2017 Depth=3
	v_bfe_u32 v25, v26, 16, 1
	v_add3_u32 v25, v26, v25, s96
                                        ; implicit-def: $vgpr26
; %bb.2255:                             ;   in Loop: Header=BB8_2017 Depth=3
	s_andn2_saveexec_b64 s[94:95], s[94:95]
; %bb.2256:                             ;   in Loop: Header=BB8_2017 Depth=3
	v_or_b32_e32 v25, 0x10000, v26
	v_cmp_eq_u32_sdwa vcc, v26, v2 src0_sel:WORD_0 src1_sel:DWORD
	v_cndmask_b32_e32 v25, v25, v26, vcc
; %bb.2257:                             ;   in Loop: Header=BB8_2017 Depth=3
	s_or_b64 exec, exec, s[94:95]
	v_and_b32_e32 v21, 0xffff0000, v21
	v_and_b32_e32 v26, 0xffff0000, v48
	v_add_f32_e32 v26, v21, v26
	v_and_b32_e32 v21, 0x7f800000, v26
	v_cmp_ne_u32_e32 vcc, s87, v21
                                        ; implicit-def: $vgpr21
	s_and_saveexec_b64 s[44:45], vcc
	s_xor_b64 s[94:95], exec, s[44:45]
; %bb.2258:                             ;   in Loop: Header=BB8_2017 Depth=3
	v_bfe_u32 v21, v26, 16, 1
	v_add3_u32 v21, v26, v21, s96
                                        ; implicit-def: $vgpr26
; %bb.2259:                             ;   in Loop: Header=BB8_2017 Depth=3
	s_andn2_saveexec_b64 s[94:95], s[94:95]
; %bb.2260:                             ;   in Loop: Header=BB8_2017 Depth=3
	v_or_b32_e32 v21, 0x10000, v26
	v_cmp_eq_u32_sdwa vcc, v26, v2 src0_sel:WORD_0 src1_sel:DWORD
	v_cndmask_b32_e32 v21, v21, v26, vcc
; %bb.2261:                             ;   in Loop: Header=BB8_2017 Depth=3
	s_or_b64 exec, exec, s[94:95]
	v_and_b32_e32 v26, 0xffff0000, v49
	v_lshlrev_b32_e32 v27, 16, v22
	v_add_f32_e32 v27, v27, v26
	v_and_b32_e32 v26, 0x7f800000, v27
	v_cmp_ne_u32_e32 vcc, s87, v26
                                        ; implicit-def: $vgpr26
	s_and_saveexec_b64 s[44:45], vcc
	s_xor_b64 s[94:95], exec, s[44:45]
; %bb.2262:                             ;   in Loop: Header=BB8_2017 Depth=3
	v_bfe_u32 v26, v27, 16, 1
	v_add3_u32 v26, v27, v26, s96
                                        ; implicit-def: $vgpr27
; %bb.2263:                             ;   in Loop: Header=BB8_2017 Depth=3
	s_andn2_saveexec_b64 s[94:95], s[94:95]
; %bb.2264:                             ;   in Loop: Header=BB8_2017 Depth=3
	v_or_b32_e32 v26, 0x10000, v27
	v_cmp_eq_u32_sdwa vcc, v27, v2 src0_sel:WORD_0 src1_sel:DWORD
	v_cndmask_b32_e32 v26, v26, v27, vcc
; %bb.2265:                             ;   in Loop: Header=BB8_2017 Depth=3
	s_or_b64 exec, exec, s[94:95]
	v_and_b32_e32 v22, 0xffff0000, v22
	v_and_b32_e32 v27, 0xffff0000, v37
	v_add_f32_e32 v27, v22, v27
	v_and_b32_e32 v22, 0x7f800000, v27
	v_cmp_ne_u32_e32 vcc, s87, v22
                                        ; implicit-def: $vgpr22
	s_and_saveexec_b64 s[44:45], vcc
	s_xor_b64 s[94:95], exec, s[44:45]
; %bb.2266:                             ;   in Loop: Header=BB8_2017 Depth=3
	v_bfe_u32 v22, v27, 16, 1
	v_add3_u32 v22, v27, v22, s96
                                        ; implicit-def: $vgpr27
; %bb.2267:                             ;   in Loop: Header=BB8_2017 Depth=3
	s_andn2_saveexec_b64 s[94:95], s[94:95]
; %bb.2268:                             ;   in Loop: Header=BB8_2017 Depth=3
	v_or_b32_e32 v22, 0x10000, v27
	v_cmp_eq_u32_sdwa vcc, v27, v2 src0_sel:WORD_0 src1_sel:DWORD
	v_cndmask_b32_e32 v22, v22, v27, vcc
; %bb.2269:                             ;   in Loop: Header=BB8_2017 Depth=3
	s_or_b64 exec, exec, s[94:95]
	v_and_b32_e32 v27, 0xffff0000, v38
	v_lshlrev_b32_e32 v30, 16, v23
	v_add_f32_e32 v30, v30, v27
	v_and_b32_e32 v27, 0x7f800000, v30
	v_cmp_ne_u32_e32 vcc, s87, v27
                                        ; implicit-def: $vgpr27
	s_and_saveexec_b64 s[44:45], vcc
	s_xor_b64 s[94:95], exec, s[44:45]
; %bb.2270:                             ;   in Loop: Header=BB8_2017 Depth=3
	v_bfe_u32 v27, v30, 16, 1
	v_add3_u32 v27, v30, v27, s96
                                        ; implicit-def: $vgpr30
; %bb.2271:                             ;   in Loop: Header=BB8_2017 Depth=3
	s_andn2_saveexec_b64 s[94:95], s[94:95]
; %bb.2272:                             ;   in Loop: Header=BB8_2017 Depth=3
	v_or_b32_e32 v27, 0x10000, v30
	v_cmp_eq_u32_sdwa vcc, v30, v2 src0_sel:WORD_0 src1_sel:DWORD
	v_cndmask_b32_e32 v27, v27, v30, vcc
; %bb.2273:                             ;   in Loop: Header=BB8_2017 Depth=3
	s_or_b64 exec, exec, s[94:95]
	v_and_b32_e32 v23, 0xffff0000, v23
	v_and_b32_e32 v30, 0xffff0000, v36
	v_add_f32_e32 v30, v23, v30
	v_and_b32_e32 v23, 0x7f800000, v30
	v_cmp_ne_u32_e32 vcc, s87, v23
                                        ; implicit-def: $vgpr23
	s_and_saveexec_b64 s[44:45], vcc
	s_xor_b64 s[94:95], exec, s[44:45]
; %bb.2274:                             ;   in Loop: Header=BB8_2017 Depth=3
	v_bfe_u32 v23, v30, 16, 1
	v_add3_u32 v23, v30, v23, s96
                                        ; implicit-def: $vgpr30
; %bb.2275:                             ;   in Loop: Header=BB8_2017 Depth=3
	s_andn2_saveexec_b64 s[94:95], s[94:95]
; %bb.2276:                             ;   in Loop: Header=BB8_2017 Depth=3
	v_or_b32_e32 v23, 0x10000, v30
	v_cmp_eq_u32_sdwa vcc, v30, v2 src0_sel:WORD_0 src1_sel:DWORD
	v_cndmask_b32_e32 v23, v23, v30, vcc
; %bb.2277:                             ;   in Loop: Header=BB8_2017 Depth=3
	s_or_b64 exec, exec, s[94:95]
	v_lshrrev_b32_e32 v9, 16, v9
	v_and_or_b32 v9, v3, s97, v9
	v_lshrrev_b32_e32 v3, 16, v5
	v_and_or_b32 v8, v8, s97, v3
	;; [unrolled: 2-line block ×8, first 2 shown]
	global_store_dwordx4 v[28:29], v[8:11], off glc slc
	global_store_dwordx4 v[28:29], v[20:23], off offset:1024 glc slc
	v_add_co_u32_e32 v28, vcc, 0x800, v28
	v_addc_co_u32_e32 v29, vcc, 0, v29, vcc
	global_store_dwordx4 v[44:45], v[8:11], off glc slc
	global_store_dwordx4 v[44:45], v[20:23], off offset:1024 glc slc
	v_add_co_u32_e32 v44, vcc, 0x800, v44
	v_addc_co_u32_e32 v45, vcc, 0, v45, vcc
	s_and_saveexec_b64 s[94:95], s[92:93]
	s_cbranch_execz .LBB8_2016
; %bb.2278:                             ;   in Loop: Header=BB8_2017 Depth=3
	buffer_load_dword v0, off, s[0:3], s33 offset:172 ; 4-byte Folded Reload
	buffer_load_dword v1, off, s[0:3], s33 offset:176 ; 4-byte Folded Reload
	s_waitcnt vmcnt(1)
	v_add_co_u32_e32 v28, vcc, v28, v0
	s_waitcnt vmcnt(0)
	v_addc_co_u32_e32 v29, vcc, v29, v1, vcc
	v_add_co_u32_e32 v44, vcc, v44, v0
	v_addc_co_u32_e32 v45, vcc, v45, v1, vcc
	v_add_co_u32_e32 v6, vcc, v6, v0
	;; [unrolled: 2-line block ×3, first 2 shown]
	buffer_load_dword v0, off, s[0:3], s33 offset:128 ; 4-byte Folded Reload
	v_addc_co_u32_e32 v60, vcc, v60, v1, vcc
	s_waitcnt vmcnt(0)
	v_sub_u32_e32 v43, v43, v0
	s_branch .LBB8_2016
.LBB8_2279:                             ;   in Loop: Header=BB8_1939 Depth=2
	s_mov_b64 s[28:29], 0
	s_and_saveexec_b64 s[40:41], s[10:11]
	s_cbranch_execnz .LBB8_3735
	s_branch .LBB8_3753
.LBB8_2280:                             ;   in Loop: Header=BB8_1939 Depth=2
	s_mov_b64 s[90:91], 0
	s_andn2_b64 vcc, exec, s[40:41]
	v_mov_b32_e32 v14, 0
	s_cbranch_vccz .LBB8_2014
.LBB8_2281:                             ;   in Loop: Header=BB8_1939 Depth=2
	buffer_load_dword v15, off, s[0:3], s33 offset:312 ; 4-byte Folded Reload
	buffer_load_dword v0, off, s[0:3], s33 offset:304 ; 4-byte Folded Reload
	;; [unrolled: 1-line block ×3, first 2 shown]
	s_and_saveexec_b64 s[42:43], s[90:91]
	s_cbranch_execnz .LBB8_2630
	s_branch .LBB8_2878
.LBB8_2282:                             ;   in Loop: Header=BB8_1939 Depth=2
	s_or_b64 exec, exec, s[40:41]
	buffer_load_dword v36, off, s[0:3], s33 offset:388 ; 4-byte Folded Reload
	buffer_load_dword v37, off, s[0:3], s33 offset:392 ; 4-byte Folded Reload
	;; [unrolled: 1-line block ×3, first 2 shown]
	s_and_b64 s[40:41], s[42:43], exec
.LBB8_2283:                             ;   in Loop: Header=BB8_1939 Depth=2
	s_or_b64 exec, exec, s[28:29]
	s_and_saveexec_b64 s[28:29], s[40:41]
	s_cbranch_execz .LBB8_2413
; %bb.2284:                             ;   in Loop: Header=BB8_1939 Depth=2
	s_trap 2
	ds_read_b32 v0, v0
                                        ; implicit-def: $vgpr4
	s_waitcnt lgkmcnt(0)
	v_lshlrev_b32_e32 v5, 16, v0
	v_lshlrev_b32_e32 v0, 16, v32
	v_mul_f32_e32 v0, v0, v5
	v_and_b32_e32 v1, 0x7f800000, v0
	v_cmp_ne_u32_e32 vcc, s87, v1
	s_and_saveexec_b64 s[40:41], vcc
	s_xor_b64 s[40:41], exec, s[40:41]
; %bb.2285:                             ;   in Loop: Header=BB8_1939 Depth=2
	v_bfe_u32 v1, v0, 16, 1
	v_add3_u32 v4, v0, v1, s96
                                        ; implicit-def: $vgpr0
; %bb.2286:                             ;   in Loop: Header=BB8_1939 Depth=2
	s_andn2_saveexec_b64 s[40:41], s[40:41]
; %bb.2287:                             ;   in Loop: Header=BB8_1939 Depth=2
	v_or_b32_e32 v1, 0x10000, v0
	v_cmp_eq_u32_sdwa vcc, v0, v2 src0_sel:WORD_0 src1_sel:DWORD
	v_cndmask_b32_e32 v4, v1, v0, vcc
; %bb.2288:                             ;   in Loop: Header=BB8_1939 Depth=2
	s_or_b64 exec, exec, s[40:41]
	v_and_b32_e32 v0, 0xffff0000, v32
	v_mul_f32_e32 v0, v0, v5
	v_and_b32_e32 v1, 0x7f800000, v0
	v_cmp_ne_u32_e32 vcc, s87, v1
                                        ; implicit-def: $vgpr8
	s_and_saveexec_b64 s[40:41], vcc
	s_xor_b64 s[40:41], exec, s[40:41]
; %bb.2289:                             ;   in Loop: Header=BB8_1939 Depth=2
	v_bfe_u32 v1, v0, 16, 1
	v_add3_u32 v8, v0, v1, s96
                                        ; implicit-def: $vgpr0
; %bb.2290:                             ;   in Loop: Header=BB8_1939 Depth=2
	s_andn2_saveexec_b64 s[40:41], s[40:41]
; %bb.2291:                             ;   in Loop: Header=BB8_1939 Depth=2
	v_or_b32_e32 v1, 0x10000, v0
	v_cmp_eq_u32_sdwa vcc, v0, v2 src0_sel:WORD_0 src1_sel:DWORD
	v_cndmask_b32_e32 v8, v1, v0, vcc
; %bb.2292:                             ;   in Loop: Header=BB8_1939 Depth=2
	s_or_b64 exec, exec, s[40:41]
	v_lshlrev_b32_e32 v0, 16, v33
	v_mul_f32_e32 v0, v0, v5
	v_and_b32_e32 v1, 0x7f800000, v0
	v_cmp_ne_u32_e32 vcc, s87, v1
                                        ; implicit-def: $vgpr9
	s_and_saveexec_b64 s[40:41], vcc
	s_xor_b64 s[40:41], exec, s[40:41]
; %bb.2293:                             ;   in Loop: Header=BB8_1939 Depth=2
	v_bfe_u32 v1, v0, 16, 1
	v_add3_u32 v9, v0, v1, s96
                                        ; implicit-def: $vgpr0
; %bb.2294:                             ;   in Loop: Header=BB8_1939 Depth=2
	s_andn2_saveexec_b64 s[40:41], s[40:41]
; %bb.2295:                             ;   in Loop: Header=BB8_1939 Depth=2
	v_or_b32_e32 v1, 0x10000, v0
	v_cmp_eq_u32_sdwa vcc, v0, v2 src0_sel:WORD_0 src1_sel:DWORD
	v_cndmask_b32_e32 v9, v1, v0, vcc
; %bb.2296:                             ;   in Loop: Header=BB8_1939 Depth=2
	s_or_b64 exec, exec, s[40:41]
	v_and_b32_e32 v0, 0xffff0000, v33
	v_mul_f32_e32 v0, v0, v5
	v_and_b32_e32 v1, 0x7f800000, v0
	v_cmp_ne_u32_e32 vcc, s87, v1
                                        ; implicit-def: $vgpr3
	s_and_saveexec_b64 s[40:41], vcc
	s_xor_b64 s[40:41], exec, s[40:41]
; %bb.2297:                             ;   in Loop: Header=BB8_1939 Depth=2
	v_bfe_u32 v1, v0, 16, 1
	v_add3_u32 v3, v0, v1, s96
                                        ; implicit-def: $vgpr0
; %bb.2298:                             ;   in Loop: Header=BB8_1939 Depth=2
	s_andn2_saveexec_b64 s[40:41], s[40:41]
; %bb.2299:                             ;   in Loop: Header=BB8_1939 Depth=2
	v_or_b32_e32 v1, 0x10000, v0
	v_cmp_eq_u32_sdwa vcc, v0, v2 src0_sel:WORD_0 src1_sel:DWORD
	v_cndmask_b32_e32 v3, v1, v0, vcc
; %bb.2300:                             ;   in Loop: Header=BB8_1939 Depth=2
	s_or_b64 exec, exec, s[40:41]
	v_lshlrev_b32_e32 v0, 16, v34
	v_mul_f32_e32 v0, v0, v5
	v_and_b32_e32 v1, 0x7f800000, v0
	v_cmp_ne_u32_e32 vcc, s87, v1
                                        ; implicit-def: $vgpr24
	s_and_saveexec_b64 s[40:41], vcc
	s_xor_b64 s[40:41], exec, s[40:41]
; %bb.2301:                             ;   in Loop: Header=BB8_1939 Depth=2
	v_bfe_u32 v1, v0, 16, 1
	v_add3_u32 v24, v0, v1, s96
                                        ; implicit-def: $vgpr0
; %bb.2302:                             ;   in Loop: Header=BB8_1939 Depth=2
	s_andn2_saveexec_b64 s[40:41], s[40:41]
; %bb.2303:                             ;   in Loop: Header=BB8_1939 Depth=2
	v_or_b32_e32 v1, 0x10000, v0
	v_cmp_eq_u32_sdwa vcc, v0, v2 src0_sel:WORD_0 src1_sel:DWORD
	v_cndmask_b32_e32 v24, v1, v0, vcc
; %bb.2304:                             ;   in Loop: Header=BB8_1939 Depth=2
	s_or_b64 exec, exec, s[40:41]
	v_and_b32_e32 v0, 0xffff0000, v34
	v_mul_f32_e32 v1, v0, v5
	v_and_b32_e32 v0, 0x7f800000, v1
	v_cmp_ne_u32_e32 vcc, s87, v0
                                        ; implicit-def: $vgpr0
	s_and_saveexec_b64 s[40:41], vcc
	s_xor_b64 s[40:41], exec, s[40:41]
; %bb.2305:                             ;   in Loop: Header=BB8_1939 Depth=2
	v_bfe_u32 v0, v1, 16, 1
	v_add3_u32 v0, v1, v0, s96
                                        ; implicit-def: $vgpr1
; %bb.2306:                             ;   in Loop: Header=BB8_1939 Depth=2
	s_andn2_saveexec_b64 s[40:41], s[40:41]
; %bb.2307:                             ;   in Loop: Header=BB8_1939 Depth=2
	v_or_b32_e32 v0, 0x10000, v1
	v_cmp_eq_u32_sdwa vcc, v1, v2 src0_sel:WORD_0 src1_sel:DWORD
	v_cndmask_b32_e32 v0, v0, v1, vcc
; %bb.2308:                             ;   in Loop: Header=BB8_1939 Depth=2
	s_or_b64 exec, exec, s[40:41]
	v_lshlrev_b32_e32 v1, 16, v35
	v_mul_f32_e32 v6, v1, v5
	v_and_b32_e32 v1, 0x7f800000, v6
	v_cmp_ne_u32_e32 vcc, s87, v1
                                        ; implicit-def: $vgpr1
	s_and_saveexec_b64 s[40:41], vcc
	s_xor_b64 s[40:41], exec, s[40:41]
; %bb.2309:                             ;   in Loop: Header=BB8_1939 Depth=2
	v_bfe_u32 v1, v6, 16, 1
	v_add3_u32 v1, v6, v1, s96
                                        ; implicit-def: $vgpr6
; %bb.2310:                             ;   in Loop: Header=BB8_1939 Depth=2
	s_andn2_saveexec_b64 s[40:41], s[40:41]
; %bb.2311:                             ;   in Loop: Header=BB8_1939 Depth=2
	v_or_b32_e32 v1, 0x10000, v6
	v_cmp_eq_u32_sdwa vcc, v6, v2 src0_sel:WORD_0 src1_sel:DWORD
	v_cndmask_b32_e32 v1, v1, v6, vcc
; %bb.2312:                             ;   in Loop: Header=BB8_1939 Depth=2
	s_or_b64 exec, exec, s[40:41]
	v_and_b32_e32 v6, 0xffff0000, v35
	v_mul_f32_e32 v6, v6, v5
	v_and_b32_e32 v7, 0x7f800000, v6
	v_cmp_ne_u32_e32 vcc, s87, v7
                                        ; implicit-def: $vgpr22
	s_and_saveexec_b64 s[40:41], vcc
	s_xor_b64 s[40:41], exec, s[40:41]
; %bb.2313:                             ;   in Loop: Header=BB8_1939 Depth=2
	v_bfe_u32 v7, v6, 16, 1
	v_add3_u32 v22, v6, v7, s96
                                        ; implicit-def: $vgpr6
; %bb.2314:                             ;   in Loop: Header=BB8_1939 Depth=2
	s_andn2_saveexec_b64 s[40:41], s[40:41]
; %bb.2315:                             ;   in Loop: Header=BB8_1939 Depth=2
	v_or_b32_e32 v7, 0x10000, v6
	v_cmp_eq_u32_sdwa vcc, v6, v2 src0_sel:WORD_0 src1_sel:DWORD
	v_cndmask_b32_e32 v22, v7, v6, vcc
; %bb.2316:                             ;   in Loop: Header=BB8_1939 Depth=2
	s_or_b64 exec, exec, s[40:41]
	v_lshlrev_b32_e32 v6, 16, v16
	v_mul_f32_e32 v6, v6, v5
	v_and_b32_e32 v7, 0x7f800000, v6
	v_cmp_ne_u32_e32 vcc, s87, v7
                                        ; implicit-def: $vgpr23
	s_and_saveexec_b64 s[40:41], vcc
	s_xor_b64 s[40:41], exec, s[40:41]
; %bb.2317:                             ;   in Loop: Header=BB8_1939 Depth=2
	v_bfe_u32 v7, v6, 16, 1
	v_add3_u32 v23, v6, v7, s96
                                        ; implicit-def: $vgpr6
; %bb.2318:                             ;   in Loop: Header=BB8_1939 Depth=2
	s_andn2_saveexec_b64 s[40:41], s[40:41]
; %bb.2319:                             ;   in Loop: Header=BB8_1939 Depth=2
	v_or_b32_e32 v7, 0x10000, v6
	v_cmp_eq_u32_sdwa vcc, v6, v2 src0_sel:WORD_0 src1_sel:DWORD
	v_cndmask_b32_e32 v23, v7, v6, vcc
; %bb.2320:                             ;   in Loop: Header=BB8_1939 Depth=2
	s_or_b64 exec, exec, s[40:41]
	v_and_b32_e32 v6, 0xffff0000, v16
	v_mul_f32_e32 v6, v6, v5
	v_and_b32_e32 v7, 0x7f800000, v6
	v_cmp_ne_u32_e32 vcc, s87, v7
                                        ; implicit-def: $vgpr20
	s_and_saveexec_b64 s[40:41], vcc
	s_xor_b64 s[40:41], exec, s[40:41]
; %bb.2321:                             ;   in Loop: Header=BB8_1939 Depth=2
	v_bfe_u32 v7, v6, 16, 1
	v_add3_u32 v20, v6, v7, s96
                                        ; implicit-def: $vgpr6
; %bb.2322:                             ;   in Loop: Header=BB8_1939 Depth=2
	s_andn2_saveexec_b64 s[40:41], s[40:41]
; %bb.2323:                             ;   in Loop: Header=BB8_1939 Depth=2
	v_or_b32_e32 v7, 0x10000, v6
	v_cmp_eq_u32_sdwa vcc, v6, v2 src0_sel:WORD_0 src1_sel:DWORD
	v_cndmask_b32_e32 v20, v7, v6, vcc
; %bb.2324:                             ;   in Loop: Header=BB8_1939 Depth=2
	s_or_b64 exec, exec, s[40:41]
	v_lshlrev_b32_e32 v6, 16, v17
	v_mul_f32_e32 v6, v6, v5
	v_and_b32_e32 v7, 0x7f800000, v6
	v_cmp_ne_u32_e32 vcc, s87, v7
                                        ; implicit-def: $vgpr21
	s_and_saveexec_b64 s[40:41], vcc
	s_xor_b64 s[40:41], exec, s[40:41]
; %bb.2325:                             ;   in Loop: Header=BB8_1939 Depth=2
	v_bfe_u32 v7, v6, 16, 1
	v_add3_u32 v21, v6, v7, s96
                                        ; implicit-def: $vgpr6
; %bb.2326:                             ;   in Loop: Header=BB8_1939 Depth=2
	s_andn2_saveexec_b64 s[40:41], s[40:41]
; %bb.2327:                             ;   in Loop: Header=BB8_1939 Depth=2
	v_or_b32_e32 v7, 0x10000, v6
	v_cmp_eq_u32_sdwa vcc, v6, v2 src0_sel:WORD_0 src1_sel:DWORD
	v_cndmask_b32_e32 v21, v7, v6, vcc
; %bb.2328:                             ;   in Loop: Header=BB8_1939 Depth=2
	s_or_b64 exec, exec, s[40:41]
	v_and_b32_e32 v6, 0xffff0000, v17
	v_mul_f32_e32 v6, v6, v5
	v_and_b32_e32 v7, 0x7f800000, v6
	v_cmp_ne_u32_e32 vcc, s87, v7
                                        ; implicit-def: $vgpr16
	s_and_saveexec_b64 s[40:41], vcc
	s_xor_b64 s[40:41], exec, s[40:41]
; %bb.2329:                             ;   in Loop: Header=BB8_1939 Depth=2
	v_bfe_u32 v7, v6, 16, 1
	v_add3_u32 v16, v6, v7, s96
                                        ; implicit-def: $vgpr6
; %bb.2330:                             ;   in Loop: Header=BB8_1939 Depth=2
	s_andn2_saveexec_b64 s[40:41], s[40:41]
; %bb.2331:                             ;   in Loop: Header=BB8_1939 Depth=2
	v_or_b32_e32 v7, 0x10000, v6
	v_cmp_eq_u32_sdwa vcc, v6, v2 src0_sel:WORD_0 src1_sel:DWORD
	v_cndmask_b32_e32 v16, v7, v6, vcc
; %bb.2332:                             ;   in Loop: Header=BB8_1939 Depth=2
	s_or_b64 exec, exec, s[40:41]
	v_lshlrev_b32_e32 v6, 16, v18
	v_mul_f32_e32 v6, v6, v5
	v_and_b32_e32 v7, 0x7f800000, v6
	v_cmp_ne_u32_e32 vcc, s87, v7
                                        ; implicit-def: $vgpr17
	s_and_saveexec_b64 s[40:41], vcc
	s_xor_b64 s[40:41], exec, s[40:41]
; %bb.2333:                             ;   in Loop: Header=BB8_1939 Depth=2
	v_bfe_u32 v7, v6, 16, 1
	v_add3_u32 v17, v6, v7, s96
                                        ; implicit-def: $vgpr6
; %bb.2334:                             ;   in Loop: Header=BB8_1939 Depth=2
	s_andn2_saveexec_b64 s[40:41], s[40:41]
; %bb.2335:                             ;   in Loop: Header=BB8_1939 Depth=2
	v_or_b32_e32 v7, 0x10000, v6
	v_cmp_eq_u32_sdwa vcc, v6, v2 src0_sel:WORD_0 src1_sel:DWORD
	v_cndmask_b32_e32 v17, v7, v6, vcc
; %bb.2336:                             ;   in Loop: Header=BB8_1939 Depth=2
	s_or_b64 exec, exec, s[40:41]
	v_and_b32_e32 v6, 0xffff0000, v18
	v_mul_f32_e32 v7, v6, v5
	v_and_b32_e32 v6, 0x7f800000, v7
	v_cmp_ne_u32_e32 vcc, s87, v6
                                        ; implicit-def: $vgpr6
	s_and_saveexec_b64 s[40:41], vcc
	s_xor_b64 s[40:41], exec, s[40:41]
; %bb.2337:                             ;   in Loop: Header=BB8_1939 Depth=2
	v_bfe_u32 v6, v7, 16, 1
	v_add3_u32 v6, v7, v6, s96
                                        ; implicit-def: $vgpr7
; %bb.2338:                             ;   in Loop: Header=BB8_1939 Depth=2
	s_andn2_saveexec_b64 s[40:41], s[40:41]
; %bb.2339:                             ;   in Loop: Header=BB8_1939 Depth=2
	v_or_b32_e32 v6, 0x10000, v7
	v_cmp_eq_u32_sdwa vcc, v7, v2 src0_sel:WORD_0 src1_sel:DWORD
	v_cndmask_b32_e32 v6, v6, v7, vcc
; %bb.2340:                             ;   in Loop: Header=BB8_1939 Depth=2
	s_or_b64 exec, exec, s[40:41]
	v_lshlrev_b32_e32 v7, 16, v19
	v_mul_f32_e32 v10, v7, v5
	v_and_b32_e32 v7, 0x7f800000, v10
	v_cmp_ne_u32_e32 vcc, s87, v7
                                        ; implicit-def: $vgpr7
	s_and_saveexec_b64 s[40:41], vcc
	s_xor_b64 s[40:41], exec, s[40:41]
; %bb.2341:                             ;   in Loop: Header=BB8_1939 Depth=2
	v_bfe_u32 v7, v10, 16, 1
	v_add3_u32 v7, v10, v7, s96
                                        ; implicit-def: $vgpr10
; %bb.2342:                             ;   in Loop: Header=BB8_1939 Depth=2
	s_andn2_saveexec_b64 s[40:41], s[40:41]
; %bb.2343:                             ;   in Loop: Header=BB8_1939 Depth=2
	v_or_b32_e32 v7, 0x10000, v10
	v_cmp_eq_u32_sdwa vcc, v10, v2 src0_sel:WORD_0 src1_sel:DWORD
	v_cndmask_b32_e32 v7, v7, v10, vcc
; %bb.2344:                             ;   in Loop: Header=BB8_1939 Depth=2
	s_or_b64 exec, exec, s[40:41]
	v_and_b32_e32 v10, 0xffff0000, v19
	v_mul_f32_e32 v10, v10, v5
	v_and_b32_e32 v5, 0x7f800000, v10
	v_cmp_ne_u32_e32 vcc, s87, v5
                                        ; implicit-def: $vgpr5
	s_and_saveexec_b64 s[40:41], vcc
	s_xor_b64 s[40:41], exec, s[40:41]
; %bb.2345:                             ;   in Loop: Header=BB8_1939 Depth=2
	v_bfe_u32 v5, v10, 16, 1
	v_add3_u32 v5, v10, v5, s96
                                        ; implicit-def: $vgpr10
; %bb.2346:                             ;   in Loop: Header=BB8_1939 Depth=2
	s_andn2_saveexec_b64 s[40:41], s[40:41]
; %bb.2347:                             ;   in Loop: Header=BB8_1939 Depth=2
	v_or_b32_e32 v5, 0x10000, v10
	v_cmp_eq_u32_sdwa vcc, v10, v2 src0_sel:WORD_0 src1_sel:DWORD
	v_cndmask_b32_e32 v5, v5, v10, vcc
; %bb.2348:                             ;   in Loop: Header=BB8_1939 Depth=2
	s_or_b64 exec, exec, s[40:41]
	buffer_load_dword v10, off, s[0:3], s33 offset:276 ; 4-byte Folded Reload
	buffer_load_dword v11, off, s[0:3], s33 offset:280 ; 4-byte Folded Reload
	;; [unrolled: 1-line block ×4, first 2 shown]
	v_and_b32_e32 v4, 0xffff0000, v4
	s_waitcnt vmcnt(3)
	v_lshlrev_b32_e32 v10, 16, v10
	v_add_f32_e32 v10, v10, v4
	v_and_b32_e32 v4, 0x7f800000, v10
	v_cmp_ne_u32_e32 vcc, s87, v4
                                        ; implicit-def: $vgpr4
	s_and_saveexec_b64 s[40:41], vcc
	s_xor_b64 s[40:41], exec, s[40:41]
; %bb.2349:                             ;   in Loop: Header=BB8_1939 Depth=2
	v_bfe_u32 v4, v10, 16, 1
	v_add3_u32 v4, v10, v4, s96
                                        ; implicit-def: $vgpr10
; %bb.2350:                             ;   in Loop: Header=BB8_1939 Depth=2
	s_andn2_saveexec_b64 s[40:41], s[40:41]
; %bb.2351:                             ;   in Loop: Header=BB8_1939 Depth=2
	v_or_b32_e32 v4, 0x10000, v10
	v_cmp_eq_u32_sdwa vcc, v10, v2 src0_sel:WORD_0 src1_sel:DWORD
	v_cndmask_b32_e32 v4, v4, v10, vcc
; %bb.2352:                             ;   in Loop: Header=BB8_1939 Depth=2
	s_or_b64 exec, exec, s[40:41]
	buffer_load_dword v10, off, s[0:3], s33 offset:276 ; 4-byte Folded Reload
	buffer_load_dword v11, off, s[0:3], s33 offset:280 ; 4-byte Folded Reload
	buffer_load_dword v12, off, s[0:3], s33 offset:284 ; 4-byte Folded Reload
	buffer_load_dword v13, off, s[0:3], s33 offset:288 ; 4-byte Folded Reload
	v_and_b32_e32 v8, 0xffff0000, v8
	s_waitcnt vmcnt(3)
	v_and_b32_e32 v10, 0xffff0000, v10
	v_add_f32_e32 v10, v10, v8
	v_and_b32_e32 v8, 0x7f800000, v10
	v_cmp_ne_u32_e32 vcc, s87, v8
                                        ; implicit-def: $vgpr8
	s_and_saveexec_b64 s[40:41], vcc
	s_xor_b64 s[40:41], exec, s[40:41]
; %bb.2353:                             ;   in Loop: Header=BB8_1939 Depth=2
	v_bfe_u32 v8, v10, 16, 1
	v_add3_u32 v8, v10, v8, s96
                                        ; implicit-def: $vgpr10
; %bb.2354:                             ;   in Loop: Header=BB8_1939 Depth=2
	s_andn2_saveexec_b64 s[40:41], s[40:41]
; %bb.2355:                             ;   in Loop: Header=BB8_1939 Depth=2
	v_or_b32_e32 v8, 0x10000, v10
	v_cmp_eq_u32_sdwa vcc, v10, v2 src0_sel:WORD_0 src1_sel:DWORD
	v_cndmask_b32_e32 v8, v8, v10, vcc
; %bb.2356:                             ;   in Loop: Header=BB8_1939 Depth=2
	s_or_b64 exec, exec, s[40:41]
	buffer_load_dword v10, off, s[0:3], s33 offset:276 ; 4-byte Folded Reload
	buffer_load_dword v11, off, s[0:3], s33 offset:280 ; 4-byte Folded Reload
	;; [unrolled: 1-line block ×4, first 2 shown]
	v_and_b32_e32 v9, 0xffff0000, v9
	s_waitcnt vmcnt(2)
	v_lshlrev_b32_e32 v10, 16, v11
	v_add_f32_e32 v10, v10, v9
	v_and_b32_e32 v9, 0x7f800000, v10
	v_cmp_ne_u32_e32 vcc, s87, v9
                                        ; implicit-def: $vgpr9
	s_and_saveexec_b64 s[40:41], vcc
	s_xor_b64 s[40:41], exec, s[40:41]
; %bb.2357:                             ;   in Loop: Header=BB8_1939 Depth=2
	v_bfe_u32 v9, v10, 16, 1
	v_add3_u32 v9, v10, v9, s96
                                        ; implicit-def: $vgpr10
; %bb.2358:                             ;   in Loop: Header=BB8_1939 Depth=2
	s_andn2_saveexec_b64 s[40:41], s[40:41]
; %bb.2359:                             ;   in Loop: Header=BB8_1939 Depth=2
	v_or_b32_e32 v9, 0x10000, v10
	v_cmp_eq_u32_sdwa vcc, v10, v2 src0_sel:WORD_0 src1_sel:DWORD
	v_cndmask_b32_e32 v9, v9, v10, vcc
; %bb.2360:                             ;   in Loop: Header=BB8_1939 Depth=2
	s_or_b64 exec, exec, s[40:41]
	buffer_load_dword v10, off, s[0:3], s33 offset:276 ; 4-byte Folded Reload
	buffer_load_dword v11, off, s[0:3], s33 offset:280 ; 4-byte Folded Reload
	;; [unrolled: 1-line block ×4, first 2 shown]
	v_and_b32_e32 v3, 0xffff0000, v3
	s_waitcnt vmcnt(2)
	v_and_b32_e32 v10, 0xffff0000, v11
	v_add_f32_e32 v10, v10, v3
	v_and_b32_e32 v3, 0x7f800000, v10
	v_cmp_ne_u32_e32 vcc, s87, v3
                                        ; implicit-def: $vgpr3
	s_and_saveexec_b64 s[40:41], vcc
	s_xor_b64 s[40:41], exec, s[40:41]
; %bb.2361:                             ;   in Loop: Header=BB8_1939 Depth=2
	v_bfe_u32 v3, v10, 16, 1
	v_add3_u32 v3, v10, v3, s96
                                        ; implicit-def: $vgpr10
; %bb.2362:                             ;   in Loop: Header=BB8_1939 Depth=2
	s_andn2_saveexec_b64 s[40:41], s[40:41]
; %bb.2363:                             ;   in Loop: Header=BB8_1939 Depth=2
	v_or_b32_e32 v3, 0x10000, v10
	v_cmp_eq_u32_sdwa vcc, v10, v2 src0_sel:WORD_0 src1_sel:DWORD
	v_cndmask_b32_e32 v3, v3, v10, vcc
; %bb.2364:                             ;   in Loop: Header=BB8_1939 Depth=2
	s_or_b64 exec, exec, s[40:41]
	buffer_load_dword v11, off, s[0:3], s33 offset:276 ; 4-byte Folded Reload
	buffer_load_dword v12, off, s[0:3], s33 offset:280 ; 4-byte Folded Reload
	;; [unrolled: 1-line block ×4, first 2 shown]
	v_and_b32_e32 v10, 0xffff0000, v24
	s_waitcnt vmcnt(1)
	v_lshlrev_b32_e32 v11, 16, v13
	v_add_f32_e32 v11, v11, v10
	v_and_b32_e32 v10, 0x7f800000, v11
	v_cmp_ne_u32_e32 vcc, s87, v10
                                        ; implicit-def: $vgpr10
	s_and_saveexec_b64 s[40:41], vcc
	s_xor_b64 s[40:41], exec, s[40:41]
; %bb.2365:                             ;   in Loop: Header=BB8_1939 Depth=2
	v_bfe_u32 v10, v11, 16, 1
	v_add3_u32 v10, v11, v10, s96
                                        ; implicit-def: $vgpr11
; %bb.2366:                             ;   in Loop: Header=BB8_1939 Depth=2
	s_andn2_saveexec_b64 s[40:41], s[40:41]
; %bb.2367:                             ;   in Loop: Header=BB8_1939 Depth=2
	v_or_b32_e32 v10, 0x10000, v11
	v_cmp_eq_u32_sdwa vcc, v11, v2 src0_sel:WORD_0 src1_sel:DWORD
	v_cndmask_b32_e32 v10, v10, v11, vcc
; %bb.2368:                             ;   in Loop: Header=BB8_1939 Depth=2
	s_or_b64 exec, exec, s[40:41]
	buffer_load_dword v11, off, s[0:3], s33 offset:276 ; 4-byte Folded Reload
	buffer_load_dword v12, off, s[0:3], s33 offset:280 ; 4-byte Folded Reload
	;; [unrolled: 1-line block ×4, first 2 shown]
	v_and_b32_e32 v0, 0xffff0000, v0
	s_waitcnt vmcnt(1)
	v_and_b32_e32 v11, 0xffff0000, v13
	v_add_f32_e32 v11, v11, v0
	v_and_b32_e32 v0, 0x7f800000, v11
	v_cmp_ne_u32_e32 vcc, s87, v0
                                        ; implicit-def: $vgpr0
	s_and_saveexec_b64 s[40:41], vcc
	s_xor_b64 s[40:41], exec, s[40:41]
; %bb.2369:                             ;   in Loop: Header=BB8_1939 Depth=2
	v_bfe_u32 v0, v11, 16, 1
	v_add3_u32 v0, v11, v0, s96
                                        ; implicit-def: $vgpr11
; %bb.2370:                             ;   in Loop: Header=BB8_1939 Depth=2
	s_andn2_saveexec_b64 s[40:41], s[40:41]
; %bb.2371:                             ;   in Loop: Header=BB8_1939 Depth=2
	v_or_b32_e32 v0, 0x10000, v11
	v_cmp_eq_u32_sdwa vcc, v11, v2 src0_sel:WORD_0 src1_sel:DWORD
	v_cndmask_b32_e32 v0, v0, v11, vcc
; %bb.2372:                             ;   in Loop: Header=BB8_1939 Depth=2
	s_or_b64 exec, exec, s[40:41]
	buffer_load_dword v11, off, s[0:3], s33 offset:276 ; 4-byte Folded Reload
	buffer_load_dword v12, off, s[0:3], s33 offset:280 ; 4-byte Folded Reload
	buffer_load_dword v13, off, s[0:3], s33 offset:284 ; 4-byte Folded Reload
	buffer_load_dword v14, off, s[0:3], s33 offset:288 ; 4-byte Folded Reload
	v_and_b32_e32 v1, 0xffff0000, v1
	s_waitcnt vmcnt(0)
	v_lshlrev_b32_e32 v11, 16, v14
	v_add_f32_e32 v11, v11, v1
	v_and_b32_e32 v1, 0x7f800000, v11
	v_cmp_ne_u32_e32 vcc, s87, v1
                                        ; implicit-def: $vgpr1
	s_and_saveexec_b64 s[40:41], vcc
	s_xor_b64 s[40:41], exec, s[40:41]
; %bb.2373:                             ;   in Loop: Header=BB8_1939 Depth=2
	v_bfe_u32 v1, v11, 16, 1
	v_add3_u32 v1, v11, v1, s96
                                        ; implicit-def: $vgpr11
; %bb.2374:                             ;   in Loop: Header=BB8_1939 Depth=2
	s_andn2_saveexec_b64 s[40:41], s[40:41]
; %bb.2375:                             ;   in Loop: Header=BB8_1939 Depth=2
	v_or_b32_e32 v1, 0x10000, v11
	v_cmp_eq_u32_sdwa vcc, v11, v2 src0_sel:WORD_0 src1_sel:DWORD
	v_cndmask_b32_e32 v1, v1, v11, vcc
; %bb.2376:                             ;   in Loop: Header=BB8_1939 Depth=2
	s_or_b64 exec, exec, s[40:41]
	buffer_load_dword v11, off, s[0:3], s33 offset:276 ; 4-byte Folded Reload
	buffer_load_dword v12, off, s[0:3], s33 offset:280 ; 4-byte Folded Reload
	buffer_load_dword v13, off, s[0:3], s33 offset:284 ; 4-byte Folded Reload
	buffer_load_dword v14, off, s[0:3], s33 offset:288 ; 4-byte Folded Reload
	s_waitcnt vmcnt(2)
	v_and_b32_e32 v12, 0xffff0000, v22
	s_waitcnt vmcnt(0)
	v_and_b32_e32 v11, 0xffff0000, v14
	v_add_f32_e32 v12, v11, v12
	v_and_b32_e32 v11, 0x7f800000, v12
	v_cmp_ne_u32_e32 vcc, s87, v11
                                        ; implicit-def: $vgpr11
	s_and_saveexec_b64 s[40:41], vcc
	s_xor_b64 s[40:41], exec, s[40:41]
; %bb.2377:                             ;   in Loop: Header=BB8_1939 Depth=2
	v_bfe_u32 v11, v12, 16, 1
	v_add3_u32 v11, v12, v11, s96
                                        ; implicit-def: $vgpr12
; %bb.2378:                             ;   in Loop: Header=BB8_1939 Depth=2
	s_andn2_saveexec_b64 s[40:41], s[40:41]
; %bb.2379:                             ;   in Loop: Header=BB8_1939 Depth=2
	v_or_b32_e32 v11, 0x10000, v12
	v_cmp_eq_u32_sdwa vcc, v12, v2 src0_sel:WORD_0 src1_sel:DWORD
	v_cndmask_b32_e32 v11, v11, v12, vcc
; %bb.2380:                             ;   in Loop: Header=BB8_1939 Depth=2
	s_or_b64 exec, exec, s[40:41]
	buffer_load_dword v30, off, s[0:3], s33 offset:240 ; 4-byte Folded Reload
	buffer_load_dword v31, off, s[0:3], s33 offset:244 ; 4-byte Folded Reload
	;; [unrolled: 1-line block ×4, first 2 shown]
	v_and_b32_e32 v12, 0xffff0000, v23
	s_waitcnt vmcnt(3)
	v_lshlrev_b32_e32 v13, 16, v30
	v_add_f32_e32 v13, v13, v12
	v_and_b32_e32 v12, 0x7f800000, v13
	v_cmp_ne_u32_e32 vcc, s87, v12
                                        ; implicit-def: $vgpr12
	s_and_saveexec_b64 s[40:41], vcc
	s_xor_b64 s[40:41], exec, s[40:41]
; %bb.2381:                             ;   in Loop: Header=BB8_1939 Depth=2
	v_bfe_u32 v12, v13, 16, 1
	v_add3_u32 v12, v13, v12, s96
                                        ; implicit-def: $vgpr13
; %bb.2382:                             ;   in Loop: Header=BB8_1939 Depth=2
	s_andn2_saveexec_b64 s[40:41], s[40:41]
; %bb.2383:                             ;   in Loop: Header=BB8_1939 Depth=2
	v_or_b32_e32 v12, 0x10000, v13
	v_cmp_eq_u32_sdwa vcc, v13, v2 src0_sel:WORD_0 src1_sel:DWORD
	v_cndmask_b32_e32 v12, v12, v13, vcc
; %bb.2384:                             ;   in Loop: Header=BB8_1939 Depth=2
	s_or_b64 exec, exec, s[40:41]
	buffer_load_dword v30, off, s[0:3], s33 offset:240 ; 4-byte Folded Reload
	buffer_load_dword v31, off, s[0:3], s33 offset:244 ; 4-byte Folded Reload
	;; [unrolled: 1-line block ×4, first 2 shown]
	v_and_b32_e32 v14, 0xffff0000, v20
	s_waitcnt vmcnt(3)
	v_and_b32_e32 v13, 0xffff0000, v30
	v_add_f32_e32 v14, v13, v14
	v_and_b32_e32 v13, 0x7f800000, v14
	v_cmp_ne_u32_e32 vcc, s87, v13
                                        ; implicit-def: $vgpr13
	s_and_saveexec_b64 s[40:41], vcc
	s_xor_b64 s[40:41], exec, s[40:41]
; %bb.2385:                             ;   in Loop: Header=BB8_1939 Depth=2
	v_bfe_u32 v13, v14, 16, 1
	v_add3_u32 v13, v14, v13, s96
                                        ; implicit-def: $vgpr14
; %bb.2386:                             ;   in Loop: Header=BB8_1939 Depth=2
	s_andn2_saveexec_b64 s[40:41], s[40:41]
; %bb.2387:                             ;   in Loop: Header=BB8_1939 Depth=2
	v_or_b32_e32 v13, 0x10000, v14
	v_cmp_eq_u32_sdwa vcc, v14, v2 src0_sel:WORD_0 src1_sel:DWORD
	v_cndmask_b32_e32 v13, v13, v14, vcc
; %bb.2388:                             ;   in Loop: Header=BB8_1939 Depth=2
	s_or_b64 exec, exec, s[40:41]
	v_and_b32_e32 v14, 0xffff0000, v21
	buffer_load_dword v18, off, s[0:3], s33 offset:240 ; 4-byte Folded Reload
	buffer_load_dword v19, off, s[0:3], s33 offset:244 ; 4-byte Folded Reload
	;; [unrolled: 1-line block ×4, first 2 shown]
	s_waitcnt vmcnt(2)
	v_lshlrev_b32_e32 v15, 16, v19
	v_add_f32_e32 v15, v15, v14
	v_and_b32_e32 v14, 0x7f800000, v15
	v_cmp_ne_u32_e32 vcc, s87, v14
                                        ; implicit-def: $vgpr14
	s_and_saveexec_b64 s[40:41], vcc
	s_xor_b64 s[40:41], exec, s[40:41]
; %bb.2389:                             ;   in Loop: Header=BB8_1939 Depth=2
	v_bfe_u32 v14, v15, 16, 1
	v_add3_u32 v14, v15, v14, s96
                                        ; implicit-def: $vgpr15
; %bb.2390:                             ;   in Loop: Header=BB8_1939 Depth=2
	s_andn2_saveexec_b64 s[40:41], s[40:41]
; %bb.2391:                             ;   in Loop: Header=BB8_1939 Depth=2
	v_or_b32_e32 v14, 0x10000, v15
	v_cmp_eq_u32_sdwa vcc, v15, v2 src0_sel:WORD_0 src1_sel:DWORD
	v_cndmask_b32_e32 v14, v14, v15, vcc
; %bb.2392:                             ;   in Loop: Header=BB8_1939 Depth=2
	s_or_b64 exec, exec, s[40:41]
	buffer_load_dword v18, off, s[0:3], s33 offset:240 ; 4-byte Folded Reload
	buffer_load_dword v19, off, s[0:3], s33 offset:244 ; 4-byte Folded Reload
	;; [unrolled: 1-line block ×4, first 2 shown]
	v_and_b32_e32 v16, 0xffff0000, v16
	s_waitcnt vmcnt(2)
	v_and_b32_e32 v15, 0xffff0000, v19
	v_add_f32_e32 v16, v15, v16
	v_and_b32_e32 v15, 0x7f800000, v16
	v_cmp_ne_u32_e32 vcc, s87, v15
                                        ; implicit-def: $vgpr15
	s_and_saveexec_b64 s[40:41], vcc
	s_xor_b64 s[40:41], exec, s[40:41]
; %bb.2393:                             ;   in Loop: Header=BB8_1939 Depth=2
	v_bfe_u32 v15, v16, 16, 1
	v_add3_u32 v15, v16, v15, s96
                                        ; implicit-def: $vgpr16
; %bb.2394:                             ;   in Loop: Header=BB8_1939 Depth=2
	s_andn2_saveexec_b64 s[40:41], s[40:41]
; %bb.2395:                             ;   in Loop: Header=BB8_1939 Depth=2
	v_or_b32_e32 v15, 0x10000, v16
	v_cmp_eq_u32_sdwa vcc, v16, v2 src0_sel:WORD_0 src1_sel:DWORD
	v_cndmask_b32_e32 v15, v15, v16, vcc
; %bb.2396:                             ;   in Loop: Header=BB8_1939 Depth=2
	s_or_b64 exec, exec, s[40:41]
	v_and_b32_e32 v16, 0xffff0000, v17
	buffer_load_dword v17, off, s[0:3], s33 offset:240 ; 4-byte Folded Reload
	buffer_load_dword v18, off, s[0:3], s33 offset:244 ; 4-byte Folded Reload
	;; [unrolled: 1-line block ×4, first 2 shown]
	s_waitcnt vmcnt(1)
	v_lshlrev_b32_e32 v17, 16, v19
	v_add_f32_e32 v17, v17, v16
	v_and_b32_e32 v16, 0x7f800000, v17
	v_cmp_ne_u32_e32 vcc, s87, v16
                                        ; implicit-def: $vgpr16
	s_and_saveexec_b64 s[40:41], vcc
	s_xor_b64 s[40:41], exec, s[40:41]
; %bb.2397:                             ;   in Loop: Header=BB8_1939 Depth=2
	v_bfe_u32 v16, v17, 16, 1
	v_add3_u32 v16, v17, v16, s96
                                        ; implicit-def: $vgpr17
; %bb.2398:                             ;   in Loop: Header=BB8_1939 Depth=2
	s_andn2_saveexec_b64 s[40:41], s[40:41]
; %bb.2399:                             ;   in Loop: Header=BB8_1939 Depth=2
	v_or_b32_e32 v16, 0x10000, v17
	v_cmp_eq_u32_sdwa vcc, v17, v2 src0_sel:WORD_0 src1_sel:DWORD
	v_cndmask_b32_e32 v16, v16, v17, vcc
; %bb.2400:                             ;   in Loop: Header=BB8_1939 Depth=2
	s_or_b64 exec, exec, s[40:41]
	buffer_load_dword v17, off, s[0:3], s33 offset:240 ; 4-byte Folded Reload
	buffer_load_dword v18, off, s[0:3], s33 offset:244 ; 4-byte Folded Reload
	;; [unrolled: 1-line block ×4, first 2 shown]
	v_and_b32_e32 v6, 0xffff0000, v6
	s_waitcnt vmcnt(1)
	v_and_b32_e32 v17, 0xffff0000, v19
	v_add_f32_e32 v17, v17, v6
	v_and_b32_e32 v6, 0x7f800000, v17
	v_cmp_ne_u32_e32 vcc, s87, v6
                                        ; implicit-def: $vgpr6
	s_and_saveexec_b64 s[40:41], vcc
	s_xor_b64 s[40:41], exec, s[40:41]
; %bb.2401:                             ;   in Loop: Header=BB8_1939 Depth=2
	v_bfe_u32 v6, v17, 16, 1
	v_add3_u32 v6, v17, v6, s96
                                        ; implicit-def: $vgpr17
; %bb.2402:                             ;   in Loop: Header=BB8_1939 Depth=2
	s_andn2_saveexec_b64 s[40:41], s[40:41]
; %bb.2403:                             ;   in Loop: Header=BB8_1939 Depth=2
	v_or_b32_e32 v6, 0x10000, v17
	v_cmp_eq_u32_sdwa vcc, v17, v2 src0_sel:WORD_0 src1_sel:DWORD
	v_cndmask_b32_e32 v6, v6, v17, vcc
; %bb.2404:                             ;   in Loop: Header=BB8_1939 Depth=2
	s_or_b64 exec, exec, s[40:41]
	buffer_load_dword v17, off, s[0:3], s33 offset:240 ; 4-byte Folded Reload
	buffer_load_dword v18, off, s[0:3], s33 offset:244 ; 4-byte Folded Reload
	;; [unrolled: 1-line block ×4, first 2 shown]
	v_and_b32_e32 v7, 0xffff0000, v7
	s_waitcnt vmcnt(0)
	v_lshlrev_b32_e32 v17, 16, v20
	v_add_f32_e32 v17, v17, v7
	v_and_b32_e32 v7, 0x7f800000, v17
	v_cmp_ne_u32_e32 vcc, s87, v7
                                        ; implicit-def: $vgpr7
	s_and_saveexec_b64 s[40:41], vcc
	s_xor_b64 s[40:41], exec, s[40:41]
; %bb.2405:                             ;   in Loop: Header=BB8_1939 Depth=2
	v_bfe_u32 v7, v17, 16, 1
	v_add3_u32 v7, v17, v7, s96
                                        ; implicit-def: $vgpr17
; %bb.2406:                             ;   in Loop: Header=BB8_1939 Depth=2
	s_andn2_saveexec_b64 s[40:41], s[40:41]
; %bb.2407:                             ;   in Loop: Header=BB8_1939 Depth=2
	v_or_b32_e32 v7, 0x10000, v17
	v_cmp_eq_u32_sdwa vcc, v17, v2 src0_sel:WORD_0 src1_sel:DWORD
	v_cndmask_b32_e32 v7, v7, v17, vcc
; %bb.2408:                             ;   in Loop: Header=BB8_1939 Depth=2
	s_or_b64 exec, exec, s[40:41]
	buffer_load_dword v17, off, s[0:3], s33 offset:240 ; 4-byte Folded Reload
	buffer_load_dword v18, off, s[0:3], s33 offset:244 ; 4-byte Folded Reload
	;; [unrolled: 1-line block ×4, first 2 shown]
	v_and_b32_e32 v5, 0xffff0000, v5
	s_waitcnt vmcnt(0)
	v_and_b32_e32 v17, 0xffff0000, v20
	v_add_f32_e32 v17, v17, v5
	v_and_b32_e32 v5, 0x7f800000, v17
	v_cmp_ne_u32_e32 vcc, s87, v5
                                        ; implicit-def: $vgpr5
	s_and_saveexec_b64 s[40:41], vcc
	s_xor_b64 s[40:41], exec, s[40:41]
; %bb.2409:                             ;   in Loop: Header=BB8_1939 Depth=2
	v_bfe_u32 v5, v17, 16, 1
	v_add3_u32 v5, v17, v5, s96
                                        ; implicit-def: $vgpr17
; %bb.2410:                             ;   in Loop: Header=BB8_1939 Depth=2
	s_andn2_saveexec_b64 s[40:41], s[40:41]
; %bb.2411:                             ;   in Loop: Header=BB8_1939 Depth=2
	v_or_b32_e32 v5, 0x10000, v17
	v_cmp_eq_u32_sdwa vcc, v17, v2 src0_sel:WORD_0 src1_sel:DWORD
	v_cndmask_b32_e32 v5, v5, v17, vcc
; %bb.2412:                             ;   in Loop: Header=BB8_1939 Depth=2
	s_or_b64 exec, exec, s[40:41]
	v_lshrrev_b32_e32 v9, 16, v9
	v_and_or_b32 v9, v3, s97, v9
	v_lshrrev_b32_e32 v3, 16, v4
	v_and_or_b32 v8, v8, s97, v3
	;; [unrolled: 2-line block ×8, first 2 shown]
	global_store_dwordx4 v[28:29], v[8:11], off glc slc
	global_store_dwordx4 v[28:29], v[13:16], off offset:1024 glc slc
	global_store_dwordx4 v[44:45], v[8:11], off glc slc
	global_store_dwordx4 v[44:45], v[13:16], off offset:1024 glc slc
.LBB8_2413:                             ;   in Loop: Header=BB8_1939 Depth=2
	s_or_b64 exec, exec, s[28:29]
	buffer_load_dword v0, off, s[0:3], s33 offset:312 ; 4-byte Folded Reload
	s_waitcnt vmcnt(1)
	v_lshlrev_b32_e32 v6, 11, v25
                                        ; implicit-def: $vgpr15
                                        ; implicit-def: $vgpr14
                                        ; implicit-def: $vgpr3
	s_waitcnt vmcnt(0)
	v_cmp_ne_u32_e32 vcc, v0, v6
                                        ; implicit-def: $vgpr0
	s_mov_b64 s[92:93], exec
	buffer_load_dword v29, off, s[0:3], s33 offset:372 ; 4-byte Folded Reload
	buffer_load_dword v30, off, s[0:3], s33 offset:376 ; 4-byte Folded Reload
	;; [unrolled: 1-line block ×4, first 2 shown]
	s_and_b64 s[28:29], s[92:93], vcc
	s_mov_b64 exec, s[28:29]
	s_cbranch_execz .LBB8_2629
; %bb.2414:                             ;   in Loop: Header=BB8_1939 Depth=2
	buffer_load_dword v0, off, s[0:3], s33 offset:312 ; 4-byte Folded Reload
	buffer_load_dword v3, off, s[0:3], s33 offset:272 ; 4-byte Folded Reload
	s_mov_b64 s[40:41], 0
	s_waitcnt vmcnt(1)
	v_sub_u32_e32 v1, v0, v6
	v_lshlrev_b32_e32 v0, 6, v43
	s_waitcnt vmcnt(0)
	v_sub_u32_e32 v0, v3, v0
	v_ashrrev_i32_e32 v3, 31, v0
	v_lshrrev_b32_e32 v3, 26, v3
	v_add_u32_e32 v3, v0, v3
	v_ashrrev_i32_e32 v5, 6, v3
	v_and_b32_e32 v3, 0xffffffc0, v3
	v_sub_u32_e32 v7, v0, v3
	v_lshlrev_b32_e32 v0, 4, v7
	v_lshl_add_u32 v3, v5, 10, v0
	v_add_u32_e32 v0, v3, v6
	v_sub_u32_e32 v18, v1, v3
	v_ashrrev_i32_e32 v3, 31, v1
	v_lshrrev_b32_e32 v3, 22, v3
	v_add_u32_e32 v3, v1, v3
	v_and_b32_e32 v4, 0xfffffc00, v3
	v_sub_u32_e32 v12, v1, v4
	v_ashrrev_i32_e32 v8, 10, v3
	v_cmp_lt_i32_e64 s[28:29], 15, v12
	v_addc_co_u32_e64 v3, vcc, 0, v8, s[28:29]
	buffer_load_dword v8, off, s[0:3], s33 offset:328 ; 4-byte Folded Reload
	buffer_load_dword v9, off, s[0:3], s33 offset:332 ; 4-byte Folded Reload
	v_ashrrev_i32_e32 v1, 31, v0
	v_sub_u32_e32 v13, v3, v5
	s_waitcnt vmcnt(1)
	v_add_co_u32_e32 v14, vcc, v0, v8
	s_waitcnt vmcnt(0)
	v_addc_co_u32_e32 v15, vcc, v1, v9, vcc
	v_add_co_u32_e32 v16, vcc, v0, v36
	v_addc_co_u32_e32 v17, vcc, v1, v37, vcc
	v_cmp_lt_i32_e32 vcc, 15, v18
	s_and_saveexec_b64 s[94:95], vcc
	s_cbranch_execz .LBB8_2559
; %bb.2415:                             ;   in Loop: Header=BB8_1939 Depth=2
	s_trap 2
	ds_read_b64 v[8:9], v0
	buffer_load_dword v10, off, s[0:3], s33 offset:320 ; 4-byte Folded Reload
	buffer_load_dword v11, off, s[0:3], s33 offset:324 ; 4-byte Folded Reload
	s_mov_b64 s[36:37], 0
	s_mov_b64 s[30:31], 0
                                        ; implicit-def: $sgpr34_sgpr35
	s_waitcnt vmcnt(1)
	v_add_co_u32_e32 v19, vcc, v0, v10
	s_waitcnt vmcnt(0)
	v_addc_co_u32_e32 v20, vcc, v1, v11, vcc
	s_waitcnt lgkmcnt(0)
	v_add_co_u32_e32 v21, vcc, v8, v0
	ds_read_b32 v0, v0
	v_addc_co_u32_e32 v22, vcc, v9, v1, vcc
	s_waitcnt lgkmcnt(0)
	v_lshlrev_b32_e32 v23, 16, v0
	s_branch .LBB8_2417
.LBB8_2416:                             ;   in Loop: Header=BB8_2417 Depth=3
	s_or_b64 exec, exec, s[40:41]
	v_cmp_gt_i32_e32 vcc, 16, v18
	s_or_b64 s[30:31], vcc, s[30:31]
	s_andn2_b64 s[40:41], s[34:35], exec
	s_and_b64 s[42:43], s[36:37], exec
	s_or_b64 s[34:35], s[40:41], s[42:43]
	s_andn2_b64 exec, exec, s[30:31]
	s_cbranch_execz .LBB8_2558
.LBB8_2417:                             ;   Parent Loop BB8_47 Depth=1
                                        ;     Parent Loop BB8_1939 Depth=2
                                        ; =>    This Loop Header: Depth=3
                                        ;         Child Loop BB8_2418 Depth 4
                                        ;         Child Loop BB8_2485 Depth 4
	;; [unrolled: 1-line block ×4, first 2 shown]
	s_lshr_b32 s44, s33, 6
	s_add_i32 s44, s44, 64
	s_mov_b64 s[42:43], -1
	s_mov_b64 s[38:39], 0
.LBB8_2418:                             ;   Parent Loop BB8_47 Depth=1
                                        ;     Parent Loop BB8_1939 Depth=2
                                        ;       Parent Loop BB8_2417 Depth=3
                                        ; =>      This Inner Loop Header: Depth=4
	s_cmp_eq_u32 s38, 1
	s_cselect_b64 s[40:41], -1, 0
	v_cndmask_b32_e64 v1, v20, v22, s[40:41]
	v_cndmask_b32_e64 v0, v19, v21, s[40:41]
	global_load_dwordx4 v[8:11], v[0:1], off glc slc
	v_add_co_u32_e32 v0, vcc, s55, v0
	v_addc_co_u32_e32 v1, vcc, 0, v1, vcc
	s_cmp_eq_u32 s38, 0
	s_cselect_b64 vcc, -1, 0
	v_mov_b32_e32 v3, s44
	v_cndmask_b32_e32 v20, v20, v1, vcc
	v_cndmask_b32_e32 v19, v19, v0, vcc
	v_cndmask_b32_e64 v22, v22, v1, s[40:41]
	v_cndmask_b32_e64 v21, v21, v0, s[40:41]
	s_mov_b64 s[38:39], 1
	s_and_b64 vcc, exec, s[42:43]
	s_mov_b64 s[42:43], 0
	s_mov_b32 s44, s81
	s_waitcnt vmcnt(0)
	buffer_store_dword v9, v3, s[0:3], 0 offen offset:4
	buffer_store_dword v8, v3, s[0:3], 0 offen
	buffer_store_dword v11, v3, s[0:3], 0 offen offset:12
	buffer_store_dword v10, v3, s[0:3], 0 offen offset:8
	s_cbranch_vccnz .LBB8_2418
; %bb.2419:                             ;   in Loop: Header=BB8_2417 Depth=3
	s_and_saveexec_b64 s[38:39], s[36:37]
	s_cbranch_execz .LBB8_2487
; %bb.2420:                             ;   in Loop: Header=BB8_2417 Depth=3
	buffer_load_dword v8, off, s[0:3], s33 offset:96
	buffer_load_dword v3, off, s[0:3], s33 offset:100
	;; [unrolled: 1-line block ×4, first 2 shown]
	s_waitcnt vmcnt(3)
	v_lshlrev_b32_e32 v5, 16, v8
	v_mul_f32_e32 v9, v23, v5
	v_and_b32_e32 v5, 0x7f800000, v9
	v_cmp_ne_u32_e32 vcc, s87, v5
                                        ; implicit-def: $vgpr5
	s_and_saveexec_b64 s[40:41], vcc
	s_xor_b64 s[40:41], exec, s[40:41]
; %bb.2421:                             ;   in Loop: Header=BB8_2417 Depth=3
	v_bfe_u32 v5, v9, 16, 1
	v_add3_u32 v5, v9, v5, s96
                                        ; implicit-def: $vgpr9
; %bb.2422:                             ;   in Loop: Header=BB8_2417 Depth=3
	s_andn2_saveexec_b64 s[40:41], s[40:41]
; %bb.2423:                             ;   in Loop: Header=BB8_2417 Depth=3
	v_or_b32_e32 v5, 0x10000, v9
	v_cmp_eq_u32_sdwa vcc, v9, v2 src0_sel:WORD_0 src1_sel:DWORD
	v_cndmask_b32_e32 v5, v5, v9, vcc
; %bb.2424:                             ;   in Loop: Header=BB8_2417 Depth=3
	s_or_b64 exec, exec, s[40:41]
	v_and_b32_e32 v8, 0xffff0000, v8
	v_mul_f32_e32 v8, v23, v8
	v_and_b32_e32 v9, 0x7f800000, v8
	v_cmp_ne_u32_e32 vcc, s87, v9
                                        ; implicit-def: $vgpr11
	s_and_saveexec_b64 s[40:41], vcc
	s_xor_b64 s[40:41], exec, s[40:41]
; %bb.2425:                             ;   in Loop: Header=BB8_2417 Depth=3
	v_bfe_u32 v9, v8, 16, 1
	v_add3_u32 v11, v8, v9, s96
                                        ; implicit-def: $vgpr8
; %bb.2426:                             ;   in Loop: Header=BB8_2417 Depth=3
	s_andn2_saveexec_b64 s[40:41], s[40:41]
; %bb.2427:                             ;   in Loop: Header=BB8_2417 Depth=3
	v_or_b32_e32 v9, 0x10000, v8
	v_cmp_eq_u32_sdwa vcc, v8, v2 src0_sel:WORD_0 src1_sel:DWORD
	v_cndmask_b32_e32 v11, v9, v8, vcc
; %bb.2428:                             ;   in Loop: Header=BB8_2417 Depth=3
	s_or_b64 exec, exec, s[40:41]
	s_waitcnt vmcnt(2)
	v_lshlrev_b32_e32 v8, 16, v3
	v_mul_f32_e32 v8, v23, v8
	v_and_b32_e32 v9, 0x7f800000, v8
	v_cmp_ne_u32_e32 vcc, s87, v9
                                        ; implicit-def: $vgpr10
	s_and_saveexec_b64 s[40:41], vcc
	s_xor_b64 s[40:41], exec, s[40:41]
; %bb.2429:                             ;   in Loop: Header=BB8_2417 Depth=3
	v_bfe_u32 v9, v8, 16, 1
	v_add3_u32 v10, v8, v9, s96
                                        ; implicit-def: $vgpr8
; %bb.2430:                             ;   in Loop: Header=BB8_2417 Depth=3
	s_andn2_saveexec_b64 s[40:41], s[40:41]
; %bb.2431:                             ;   in Loop: Header=BB8_2417 Depth=3
	v_or_b32_e32 v9, 0x10000, v8
	v_cmp_eq_u32_sdwa vcc, v8, v2 src0_sel:WORD_0 src1_sel:DWORD
	v_cndmask_b32_e32 v10, v9, v8, vcc
; %bb.2432:                             ;   in Loop: Header=BB8_2417 Depth=3
	s_or_b64 exec, exec, s[40:41]
	v_and_b32_e32 v3, 0xffff0000, v3
	v_mul_f32_e32 v3, v23, v3
	v_and_b32_e32 v8, 0x7f800000, v3
	v_cmp_ne_u32_e32 vcc, s87, v8
                                        ; implicit-def: $vgpr8
	s_and_saveexec_b64 s[40:41], vcc
	s_xor_b64 s[40:41], exec, s[40:41]
; %bb.2433:                             ;   in Loop: Header=BB8_2417 Depth=3
	v_bfe_u32 v8, v3, 16, 1
	v_add3_u32 v8, v3, v8, s96
                                        ; implicit-def: $vgpr3
; %bb.2434:                             ;   in Loop: Header=BB8_2417 Depth=3
	s_andn2_saveexec_b64 s[40:41], s[40:41]
; %bb.2435:                             ;   in Loop: Header=BB8_2417 Depth=3
	v_or_b32_e32 v8, 0x10000, v3
	v_cmp_eq_u32_sdwa vcc, v3, v2 src0_sel:WORD_0 src1_sel:DWORD
	v_cndmask_b32_e32 v8, v8, v3, vcc
; %bb.2436:                             ;   in Loop: Header=BB8_2417 Depth=3
	s_or_b64 exec, exec, s[40:41]
	s_waitcnt vmcnt(1)
	v_lshlrev_b32_e32 v3, 16, v1
	v_mul_f32_e32 v3, v23, v3
	v_and_b32_e32 v9, 0x7f800000, v3
	v_cmp_ne_u32_e32 vcc, s87, v9
                                        ; implicit-def: $vgpr9
	s_and_saveexec_b64 s[40:41], vcc
	s_xor_b64 s[40:41], exec, s[40:41]
; %bb.2437:                             ;   in Loop: Header=BB8_2417 Depth=3
	v_bfe_u32 v9, v3, 16, 1
	v_add3_u32 v9, v3, v9, s96
                                        ; implicit-def: $vgpr3
; %bb.2438:                             ;   in Loop: Header=BB8_2417 Depth=3
	s_andn2_saveexec_b64 s[40:41], s[40:41]
; %bb.2439:                             ;   in Loop: Header=BB8_2417 Depth=3
	v_or_b32_e32 v9, 0x10000, v3
	v_cmp_eq_u32_sdwa vcc, v3, v2 src0_sel:WORD_0 src1_sel:DWORD
	v_cndmask_b32_e32 v9, v9, v3, vcc
; %bb.2440:                             ;   in Loop: Header=BB8_2417 Depth=3
	s_or_b64 exec, exec, s[40:41]
	v_and_b32_e32 v1, 0xffff0000, v1
	v_mul_f32_e32 v3, v23, v1
	v_and_b32_e32 v1, 0x7f800000, v3
	v_cmp_ne_u32_e32 vcc, s87, v1
                                        ; implicit-def: $vgpr1
	s_and_saveexec_b64 s[40:41], vcc
	s_xor_b64 s[40:41], exec, s[40:41]
; %bb.2441:                             ;   in Loop: Header=BB8_2417 Depth=3
	v_bfe_u32 v1, v3, 16, 1
	v_add3_u32 v1, v3, v1, s96
                                        ; implicit-def: $vgpr3
; %bb.2442:                             ;   in Loop: Header=BB8_2417 Depth=3
	s_andn2_saveexec_b64 s[40:41], s[40:41]
; %bb.2443:                             ;   in Loop: Header=BB8_2417 Depth=3
	v_or_b32_e32 v1, 0x10000, v3
	v_cmp_eq_u32_sdwa vcc, v3, v2 src0_sel:WORD_0 src1_sel:DWORD
	v_cndmask_b32_e32 v1, v1, v3, vcc
; %bb.2444:                             ;   in Loop: Header=BB8_2417 Depth=3
	s_or_b64 exec, exec, s[40:41]
	s_waitcnt vmcnt(0)
	v_lshlrev_b32_e32 v3, 16, v0
	v_mul_f32_e32 v24, v23, v3
	v_and_b32_e32 v3, 0x7f800000, v24
	v_cmp_ne_u32_e32 vcc, s87, v3
                                        ; implicit-def: $vgpr3
	s_and_saveexec_b64 s[40:41], vcc
	s_xor_b64 s[40:41], exec, s[40:41]
; %bb.2445:                             ;   in Loop: Header=BB8_2417 Depth=3
	v_bfe_u32 v3, v24, 16, 1
	v_add3_u32 v3, v24, v3, s96
                                        ; implicit-def: $vgpr24
; %bb.2446:                             ;   in Loop: Header=BB8_2417 Depth=3
	s_andn2_saveexec_b64 s[40:41], s[40:41]
; %bb.2447:                             ;   in Loop: Header=BB8_2417 Depth=3
	v_or_b32_e32 v3, 0x10000, v24
	v_cmp_eq_u32_sdwa vcc, v24, v2 src0_sel:WORD_0 src1_sel:DWORD
	v_cndmask_b32_e32 v3, v3, v24, vcc
; %bb.2448:                             ;   in Loop: Header=BB8_2417 Depth=3
	s_or_b64 exec, exec, s[40:41]
	v_and_b32_e32 v0, 0xffff0000, v0
	v_mul_f32_e32 v24, v23, v0
	v_and_b32_e32 v0, 0x7f800000, v24
	v_cmp_ne_u32_e32 vcc, s87, v0
                                        ; implicit-def: $vgpr0
	s_and_saveexec_b64 s[40:41], vcc
	s_xor_b64 s[40:41], exec, s[40:41]
; %bb.2449:                             ;   in Loop: Header=BB8_2417 Depth=3
	v_bfe_u32 v0, v24, 16, 1
	v_add3_u32 v0, v24, v0, s96
                                        ; implicit-def: $vgpr24
; %bb.2450:                             ;   in Loop: Header=BB8_2417 Depth=3
	s_andn2_saveexec_b64 s[40:41], s[40:41]
; %bb.2451:                             ;   in Loop: Header=BB8_2417 Depth=3
	v_or_b32_e32 v0, 0x10000, v24
	v_cmp_eq_u32_sdwa vcc, v24, v2 src0_sel:WORD_0 src1_sel:DWORD
	v_cndmask_b32_e32 v0, v0, v24, vcc
; %bb.2452:                             ;   in Loop: Header=BB8_2417 Depth=3
	s_or_b64 exec, exec, s[40:41]
	buffer_load_dword v27, off, s[0:3], s33 offset:112
	buffer_load_dword v26, off, s[0:3], s33 offset:116
	;; [unrolled: 1-line block ×4, first 2 shown]
	v_and_b32_e32 v5, 0xffff0000, v5
	s_waitcnt vmcnt(3)
	v_lshlrev_b32_e32 v28, 16, v27
	v_add_f32_e32 v28, v5, v28
	v_and_b32_e32 v5, 0x7f800000, v28
	v_cmp_ne_u32_e32 vcc, s87, v5
                                        ; implicit-def: $vgpr5
	s_and_saveexec_b64 s[40:41], vcc
	s_xor_b64 s[40:41], exec, s[40:41]
; %bb.2453:                             ;   in Loop: Header=BB8_2417 Depth=3
	v_bfe_u32 v5, v28, 16, 1
	v_add3_u32 v5, v28, v5, s96
                                        ; implicit-def: $vgpr28
; %bb.2454:                             ;   in Loop: Header=BB8_2417 Depth=3
	s_andn2_saveexec_b64 s[40:41], s[40:41]
; %bb.2455:                             ;   in Loop: Header=BB8_2417 Depth=3
	v_or_b32_e32 v5, 0x10000, v28
	v_cmp_eq_u32_sdwa vcc, v28, v2 src0_sel:WORD_0 src1_sel:DWORD
	v_cndmask_b32_e32 v5, v5, v28, vcc
; %bb.2456:                             ;   in Loop: Header=BB8_2417 Depth=3
	s_or_b64 exec, exec, s[40:41]
	v_and_b32_e32 v11, 0xffff0000, v11
	v_and_b32_e32 v27, 0xffff0000, v27
	v_add_f32_e32 v27, v11, v27
	v_and_b32_e32 v11, 0x7f800000, v27
	v_cmp_ne_u32_e32 vcc, s87, v11
                                        ; implicit-def: $vgpr11
	s_and_saveexec_b64 s[40:41], vcc
	s_xor_b64 s[40:41], exec, s[40:41]
; %bb.2457:                             ;   in Loop: Header=BB8_2417 Depth=3
	v_bfe_u32 v11, v27, 16, 1
	v_add3_u32 v11, v27, v11, s96
                                        ; implicit-def: $vgpr27
; %bb.2458:                             ;   in Loop: Header=BB8_2417 Depth=3
	s_andn2_saveexec_b64 s[40:41], s[40:41]
; %bb.2459:                             ;   in Loop: Header=BB8_2417 Depth=3
	v_or_b32_e32 v11, 0x10000, v27
	v_cmp_eq_u32_sdwa vcc, v27, v2 src0_sel:WORD_0 src1_sel:DWORD
	v_cndmask_b32_e32 v11, v11, v27, vcc
; %bb.2460:                             ;   in Loop: Header=BB8_2417 Depth=3
	s_or_b64 exec, exec, s[40:41]
	v_and_b32_e32 v10, 0xffff0000, v10
	s_waitcnt vmcnt(2)
	v_lshlrev_b32_e32 v27, 16, v26
	v_add_f32_e32 v27, v10, v27
	v_and_b32_e32 v10, 0x7f800000, v27
	v_cmp_ne_u32_e32 vcc, s87, v10
                                        ; implicit-def: $vgpr10
	s_and_saveexec_b64 s[40:41], vcc
	s_xor_b64 s[40:41], exec, s[40:41]
; %bb.2461:                             ;   in Loop: Header=BB8_2417 Depth=3
	v_bfe_u32 v10, v27, 16, 1
	v_add3_u32 v10, v27, v10, s96
                                        ; implicit-def: $vgpr27
; %bb.2462:                             ;   in Loop: Header=BB8_2417 Depth=3
	s_andn2_saveexec_b64 s[40:41], s[40:41]
; %bb.2463:                             ;   in Loop: Header=BB8_2417 Depth=3
	v_or_b32_e32 v10, 0x10000, v27
	v_cmp_eq_u32_sdwa vcc, v27, v2 src0_sel:WORD_0 src1_sel:DWORD
	v_cndmask_b32_e32 v10, v10, v27, vcc
; %bb.2464:                             ;   in Loop: Header=BB8_2417 Depth=3
	s_or_b64 exec, exec, s[40:41]
	v_and_b32_e32 v26, 0xffff0000, v26
	v_and_b32_e32 v8, 0xffff0000, v8
	v_add_f32_e32 v26, v8, v26
	v_and_b32_e32 v8, 0x7f800000, v26
	v_cmp_ne_u32_e32 vcc, s87, v8
                                        ; implicit-def: $vgpr8
	s_and_saveexec_b64 s[40:41], vcc
	s_xor_b64 s[40:41], exec, s[40:41]
; %bb.2465:                             ;   in Loop: Header=BB8_2417 Depth=3
	v_bfe_u32 v8, v26, 16, 1
	v_add3_u32 v8, v26, v8, s96
                                        ; implicit-def: $vgpr26
; %bb.2466:                             ;   in Loop: Header=BB8_2417 Depth=3
	s_andn2_saveexec_b64 s[40:41], s[40:41]
; %bb.2467:                             ;   in Loop: Header=BB8_2417 Depth=3
	v_or_b32_e32 v8, 0x10000, v26
	v_cmp_eq_u32_sdwa vcc, v26, v2 src0_sel:WORD_0 src1_sel:DWORD
	v_cndmask_b32_e32 v8, v8, v26, vcc
; %bb.2468:                             ;   in Loop: Header=BB8_2417 Depth=3
	s_or_b64 exec, exec, s[40:41]
	v_and_b32_e32 v9, 0xffff0000, v9
	s_waitcnt vmcnt(1)
	v_lshlrev_b32_e32 v26, 16, v25
	v_add_f32_e32 v9, v9, v26
	v_and_b32_e32 v26, 0x7f800000, v9
	v_cmp_ne_u32_e32 vcc, s87, v26
                                        ; implicit-def: $vgpr26
	s_and_saveexec_b64 s[40:41], vcc
	s_xor_b64 s[40:41], exec, s[40:41]
; %bb.2469:                             ;   in Loop: Header=BB8_2417 Depth=3
	v_bfe_u32 v26, v9, 16, 1
	v_add3_u32 v26, v9, v26, s96
                                        ; implicit-def: $vgpr9
; %bb.2470:                             ;   in Loop: Header=BB8_2417 Depth=3
	s_andn2_saveexec_b64 s[40:41], s[40:41]
; %bb.2471:                             ;   in Loop: Header=BB8_2417 Depth=3
	v_or_b32_e32 v26, 0x10000, v9
	v_cmp_eq_u32_sdwa vcc, v9, v2 src0_sel:WORD_0 src1_sel:DWORD
	v_cndmask_b32_e32 v26, v26, v9, vcc
; %bb.2472:                             ;   in Loop: Header=BB8_2417 Depth=3
	s_or_b64 exec, exec, s[40:41]
	v_and_b32_e32 v9, 0xffff0000, v25
	v_and_b32_e32 v1, 0xffff0000, v1
	v_add_f32_e32 v9, v1, v9
	v_and_b32_e32 v1, 0x7f800000, v9
	v_cmp_ne_u32_e32 vcc, s87, v1
                                        ; implicit-def: $vgpr1
	s_and_saveexec_b64 s[40:41], vcc
	s_xor_b64 s[40:41], exec, s[40:41]
; %bb.2473:                             ;   in Loop: Header=BB8_2417 Depth=3
	v_bfe_u32 v1, v9, 16, 1
	v_add3_u32 v1, v9, v1, s96
                                        ; implicit-def: $vgpr9
; %bb.2474:                             ;   in Loop: Header=BB8_2417 Depth=3
	s_andn2_saveexec_b64 s[40:41], s[40:41]
; %bb.2475:                             ;   in Loop: Header=BB8_2417 Depth=3
	v_or_b32_e32 v1, 0x10000, v9
	v_cmp_eq_u32_sdwa vcc, v9, v2 src0_sel:WORD_0 src1_sel:DWORD
	v_cndmask_b32_e32 v1, v1, v9, vcc
; %bb.2476:                             ;   in Loop: Header=BB8_2417 Depth=3
	s_or_b64 exec, exec, s[40:41]
	v_and_b32_e32 v3, 0xffff0000, v3
	s_waitcnt vmcnt(0)
	v_lshlrev_b32_e32 v9, 16, v24
	v_add_f32_e32 v9, v3, v9
	v_and_b32_e32 v3, 0x7f800000, v9
	v_cmp_ne_u32_e32 vcc, s87, v3
                                        ; implicit-def: $vgpr3
	s_and_saveexec_b64 s[40:41], vcc
	s_xor_b64 s[40:41], exec, s[40:41]
; %bb.2477:                             ;   in Loop: Header=BB8_2417 Depth=3
	v_bfe_u32 v3, v9, 16, 1
	v_add3_u32 v3, v9, v3, s96
                                        ; implicit-def: $vgpr9
; %bb.2478:                             ;   in Loop: Header=BB8_2417 Depth=3
	s_andn2_saveexec_b64 s[40:41], s[40:41]
; %bb.2479:                             ;   in Loop: Header=BB8_2417 Depth=3
	v_or_b32_e32 v3, 0x10000, v9
	v_cmp_eq_u32_sdwa vcc, v9, v2 src0_sel:WORD_0 src1_sel:DWORD
	v_cndmask_b32_e32 v3, v3, v9, vcc
; %bb.2480:                             ;   in Loop: Header=BB8_2417 Depth=3
	s_or_b64 exec, exec, s[40:41]
	v_and_b32_e32 v9, 0xffff0000, v24
	v_and_b32_e32 v0, 0xffff0000, v0
	v_add_f32_e32 v9, v0, v9
	v_and_b32_e32 v0, 0x7f800000, v9
	v_cmp_ne_u32_e32 vcc, s87, v0
                                        ; implicit-def: $vgpr0
	s_and_saveexec_b64 s[40:41], vcc
	s_xor_b64 s[40:41], exec, s[40:41]
; %bb.2481:                             ;   in Loop: Header=BB8_2417 Depth=3
	v_bfe_u32 v0, v9, 16, 1
	v_add3_u32 v0, v9, v0, s96
                                        ; implicit-def: $vgpr9
; %bb.2482:                             ;   in Loop: Header=BB8_2417 Depth=3
	s_andn2_saveexec_b64 s[40:41], s[40:41]
; %bb.2483:                             ;   in Loop: Header=BB8_2417 Depth=3
	v_or_b32_e32 v0, 0x10000, v9
	v_cmp_eq_u32_sdwa vcc, v9, v2 src0_sel:WORD_0 src1_sel:DWORD
	v_cndmask_b32_e32 v0, v0, v9, vcc
; %bb.2484:                             ;   in Loop: Header=BB8_2417 Depth=3
	s_or_b64 exec, exec, s[40:41]
	v_lshrrev_b32_e32 v9, 16, v10
	v_lshrrev_b32_e32 v5, 16, v5
	v_and_or_b32 v9, v8, s97, v9
	v_and_or_b32 v8, v11, s97, v5
	v_lshrrev_b32_e32 v5, 16, v26
	v_and_or_b32 v10, v1, s97, v5
	v_lshrrev_b32_e32 v1, 16, v3
	v_and_or_b32 v11, v0, s97, v1
	s_mov_b64 s[48:49], 0
	s_mov_b64 s[36:37], -1
	buffer_store_dword v9, off, s[0:3], s33 offset:100
	buffer_store_dword v8, off, s[0:3], s33 offset:96
	;; [unrolled: 1-line block ×4, first 2 shown]
.LBB8_2485:                             ;   Parent Loop BB8_47 Depth=1
                                        ;     Parent Loop BB8_1939 Depth=2
                                        ;       Parent Loop BB8_2417 Depth=3
                                        ; =>      This Inner Loop Header: Depth=4
	s_cmp_eq_u32 s48, 1
	s_cselect_b64 s[40:41], -1, 0
	v_cndmask_b32_e64 v1, v15, v17, s[40:41]
	v_cndmask_b32_e64 v0, v14, v16, s[40:41]
	global_store_dwordx4 v[0:1], v[8:11], off glc slc
	v_add_co_u32_e32 v0, vcc, 0x400, v0
	s_cmp_eq_u32 s48, 0
	v_addc_co_u32_e32 v1, vcc, 0, v1, vcc
	s_cselect_b64 vcc, -1, 0
	s_and_b64 s[42:43], exec, s[36:37]
	s_mov_b64 s[48:49], 1
	v_cndmask_b32_e64 v16, v16, v0, s[40:41]
	s_mov_b64 s[36:37], 0
	v_cndmask_b32_e64 v17, v17, v1, s[40:41]
	v_cndmask_b32_e32 v15, v15, v1, vcc
	v_cndmask_b32_e32 v14, v14, v0, vcc
	s_mov_b64 vcc, s[42:43]
	s_cbranch_vccnz .LBB8_2485
; %bb.2486:                             ;   in Loop: Header=BB8_2417 Depth=3
	v_add_co_u32_e32 v14, vcc, v14, v54
	v_addc_co_u32_e32 v15, vcc, v15, v55, vcc
	v_add_co_u32_e32 v16, vcc, v16, v54
	v_addc_co_u32_e32 v17, vcc, v17, v55, vcc
.LBB8_2487:                             ;   in Loop: Header=BB8_2417 Depth=3
	s_or_b64 exec, exec, s[38:39]
	buffer_load_dword v0, off, s[0:3], s33 offset:180 ; 4-byte Folded Reload
	v_add_co_u32_e32 v19, vcc, v19, v54
	v_addc_co_u32_e32 v20, vcc, v20, v55, vcc
	v_add_co_u32_e32 v21, vcc, v21, v54
	v_addc_co_u32_e32 v22, vcc, v22, v55, vcc
	s_waitcnt vmcnt(0)
	v_sub_u32_e32 v18, v18, v0
	v_cmp_lt_i32_e64 s[36:37], 15, v18
	s_and_saveexec_b64 s[42:43], s[36:37]
	s_cbranch_execz .LBB8_2490
; %bb.2488:                             ;   in Loop: Header=BB8_2417 Depth=3
	s_lshr_b32 s44, s33, 6
	s_addk_i32 s44, 0x60
	s_mov_b64 s[48:49], 0
	s_mov_b64 s[38:39], -1
.LBB8_2489:                             ;   Parent Loop BB8_47 Depth=1
                                        ;     Parent Loop BB8_1939 Depth=2
                                        ;       Parent Loop BB8_2417 Depth=3
                                        ; =>      This Inner Loop Header: Depth=4
	s_cmp_eq_u32 s48, 1
	s_cselect_b64 s[40:41], -1, 0
	v_cndmask_b32_e64 v1, v20, v22, s[40:41]
	v_cndmask_b32_e64 v0, v19, v21, s[40:41]
	global_load_dwordx4 v[8:11], v[0:1], off glc slc
	v_add_co_u32_e32 v0, vcc, s55, v0
	v_addc_co_u32_e32 v1, vcc, 0, v1, vcc
	s_cmp_eq_u32 s48, 0
	s_cselect_b64 vcc, -1, 0
	v_mov_b32_e32 v3, s44
	v_cndmask_b32_e32 v20, v20, v1, vcc
	v_cndmask_b32_e32 v19, v19, v0, vcc
	v_cndmask_b32_e64 v22, v22, v1, s[40:41]
	v_cndmask_b32_e64 v21, v21, v0, s[40:41]
	s_mov_b64 s[48:49], 1
	s_and_b64 vcc, exec, s[38:39]
	s_mov_b64 s[38:39], 0
	s_mov_b32 s44, s80
	s_waitcnt vmcnt(0)
	buffer_store_dword v9, v3, s[0:3], 0 offen offset:4
	buffer_store_dword v8, v3, s[0:3], 0 offen
	buffer_store_dword v11, v3, s[0:3], 0 offen offset:12
	buffer_store_dword v10, v3, s[0:3], 0 offen offset:8
	s_cbranch_vccnz .LBB8_2489
.LBB8_2490:                             ;   in Loop: Header=BB8_2417 Depth=3
	s_or_b64 exec, exec, s[42:43]
	buffer_load_dword v8, off, s[0:3], s33 offset:64
	buffer_load_dword v3, off, s[0:3], s33 offset:68
	;; [unrolled: 1-line block ×4, first 2 shown]
	s_waitcnt vmcnt(3)
	v_lshlrev_b32_e32 v5, 16, v8
	v_mul_f32_e32 v9, v23, v5
	v_and_b32_e32 v5, 0x7f800000, v9
	v_cmp_ne_u32_e32 vcc, s87, v5
                                        ; implicit-def: $vgpr5
	s_and_saveexec_b64 s[40:41], vcc
	s_xor_b64 s[40:41], exec, s[40:41]
; %bb.2491:                             ;   in Loop: Header=BB8_2417 Depth=3
	v_bfe_u32 v5, v9, 16, 1
	v_add3_u32 v5, v9, v5, s96
                                        ; implicit-def: $vgpr9
; %bb.2492:                             ;   in Loop: Header=BB8_2417 Depth=3
	s_andn2_saveexec_b64 s[40:41], s[40:41]
; %bb.2493:                             ;   in Loop: Header=BB8_2417 Depth=3
	v_or_b32_e32 v5, 0x10000, v9
	v_cmp_eq_u32_sdwa vcc, v9, v2 src0_sel:WORD_0 src1_sel:DWORD
	v_cndmask_b32_e32 v5, v5, v9, vcc
; %bb.2494:                             ;   in Loop: Header=BB8_2417 Depth=3
	s_or_b64 exec, exec, s[40:41]
	v_and_b32_e32 v8, 0xffff0000, v8
	v_mul_f32_e32 v8, v23, v8
	v_and_b32_e32 v9, 0x7f800000, v8
	v_cmp_ne_u32_e32 vcc, s87, v9
                                        ; implicit-def: $vgpr11
	s_and_saveexec_b64 s[40:41], vcc
	s_xor_b64 s[40:41], exec, s[40:41]
; %bb.2495:                             ;   in Loop: Header=BB8_2417 Depth=3
	v_bfe_u32 v9, v8, 16, 1
	v_add3_u32 v11, v8, v9, s96
                                        ; implicit-def: $vgpr8
; %bb.2496:                             ;   in Loop: Header=BB8_2417 Depth=3
	s_andn2_saveexec_b64 s[40:41], s[40:41]
; %bb.2497:                             ;   in Loop: Header=BB8_2417 Depth=3
	v_or_b32_e32 v9, 0x10000, v8
	v_cmp_eq_u32_sdwa vcc, v8, v2 src0_sel:WORD_0 src1_sel:DWORD
	v_cndmask_b32_e32 v11, v9, v8, vcc
; %bb.2498:                             ;   in Loop: Header=BB8_2417 Depth=3
	s_or_b64 exec, exec, s[40:41]
	s_waitcnt vmcnt(2)
	v_lshlrev_b32_e32 v8, 16, v3
	v_mul_f32_e32 v8, v23, v8
	v_and_b32_e32 v9, 0x7f800000, v8
	v_cmp_ne_u32_e32 vcc, s87, v9
                                        ; implicit-def: $vgpr10
	s_and_saveexec_b64 s[40:41], vcc
	s_xor_b64 s[40:41], exec, s[40:41]
; %bb.2499:                             ;   in Loop: Header=BB8_2417 Depth=3
	v_bfe_u32 v9, v8, 16, 1
	v_add3_u32 v10, v8, v9, s96
                                        ; implicit-def: $vgpr8
; %bb.2500:                             ;   in Loop: Header=BB8_2417 Depth=3
	s_andn2_saveexec_b64 s[40:41], s[40:41]
; %bb.2501:                             ;   in Loop: Header=BB8_2417 Depth=3
	v_or_b32_e32 v9, 0x10000, v8
	v_cmp_eq_u32_sdwa vcc, v8, v2 src0_sel:WORD_0 src1_sel:DWORD
	v_cndmask_b32_e32 v10, v9, v8, vcc
; %bb.2502:                             ;   in Loop: Header=BB8_2417 Depth=3
	s_or_b64 exec, exec, s[40:41]
	v_and_b32_e32 v3, 0xffff0000, v3
	v_mul_f32_e32 v3, v23, v3
	v_and_b32_e32 v8, 0x7f800000, v3
	v_cmp_ne_u32_e32 vcc, s87, v8
                                        ; implicit-def: $vgpr8
	s_and_saveexec_b64 s[40:41], vcc
	s_xor_b64 s[40:41], exec, s[40:41]
; %bb.2503:                             ;   in Loop: Header=BB8_2417 Depth=3
	v_bfe_u32 v8, v3, 16, 1
	v_add3_u32 v8, v3, v8, s96
                                        ; implicit-def: $vgpr3
; %bb.2504:                             ;   in Loop: Header=BB8_2417 Depth=3
	s_andn2_saveexec_b64 s[40:41], s[40:41]
; %bb.2505:                             ;   in Loop: Header=BB8_2417 Depth=3
	v_or_b32_e32 v8, 0x10000, v3
	v_cmp_eq_u32_sdwa vcc, v3, v2 src0_sel:WORD_0 src1_sel:DWORD
	v_cndmask_b32_e32 v8, v8, v3, vcc
; %bb.2506:                             ;   in Loop: Header=BB8_2417 Depth=3
	s_or_b64 exec, exec, s[40:41]
	s_waitcnt vmcnt(1)
	v_lshlrev_b32_e32 v3, 16, v1
	v_mul_f32_e32 v3, v23, v3
	v_and_b32_e32 v9, 0x7f800000, v3
	v_cmp_ne_u32_e32 vcc, s87, v9
                                        ; implicit-def: $vgpr9
	s_and_saveexec_b64 s[40:41], vcc
	s_xor_b64 s[40:41], exec, s[40:41]
; %bb.2507:                             ;   in Loop: Header=BB8_2417 Depth=3
	v_bfe_u32 v9, v3, 16, 1
	v_add3_u32 v9, v3, v9, s96
                                        ; implicit-def: $vgpr3
; %bb.2508:                             ;   in Loop: Header=BB8_2417 Depth=3
	s_andn2_saveexec_b64 s[40:41], s[40:41]
; %bb.2509:                             ;   in Loop: Header=BB8_2417 Depth=3
	v_or_b32_e32 v9, 0x10000, v3
	v_cmp_eq_u32_sdwa vcc, v3, v2 src0_sel:WORD_0 src1_sel:DWORD
	v_cndmask_b32_e32 v9, v9, v3, vcc
; %bb.2510:                             ;   in Loop: Header=BB8_2417 Depth=3
	s_or_b64 exec, exec, s[40:41]
	v_and_b32_e32 v1, 0xffff0000, v1
	v_mul_f32_e32 v3, v23, v1
	v_and_b32_e32 v1, 0x7f800000, v3
	v_cmp_ne_u32_e32 vcc, s87, v1
                                        ; implicit-def: $vgpr1
	s_and_saveexec_b64 s[40:41], vcc
	s_xor_b64 s[40:41], exec, s[40:41]
; %bb.2511:                             ;   in Loop: Header=BB8_2417 Depth=3
	v_bfe_u32 v1, v3, 16, 1
	v_add3_u32 v1, v3, v1, s96
                                        ; implicit-def: $vgpr3
; %bb.2512:                             ;   in Loop: Header=BB8_2417 Depth=3
	s_andn2_saveexec_b64 s[40:41], s[40:41]
; %bb.2513:                             ;   in Loop: Header=BB8_2417 Depth=3
	v_or_b32_e32 v1, 0x10000, v3
	v_cmp_eq_u32_sdwa vcc, v3, v2 src0_sel:WORD_0 src1_sel:DWORD
	v_cndmask_b32_e32 v1, v1, v3, vcc
; %bb.2514:                             ;   in Loop: Header=BB8_2417 Depth=3
	s_or_b64 exec, exec, s[40:41]
	s_waitcnt vmcnt(0)
	v_lshlrev_b32_e32 v3, 16, v0
	v_mul_f32_e32 v24, v23, v3
	v_and_b32_e32 v3, 0x7f800000, v24
	v_cmp_ne_u32_e32 vcc, s87, v3
                                        ; implicit-def: $vgpr3
	s_and_saveexec_b64 s[40:41], vcc
	s_xor_b64 s[40:41], exec, s[40:41]
; %bb.2515:                             ;   in Loop: Header=BB8_2417 Depth=3
	v_bfe_u32 v3, v24, 16, 1
	v_add3_u32 v3, v24, v3, s96
                                        ; implicit-def: $vgpr24
; %bb.2516:                             ;   in Loop: Header=BB8_2417 Depth=3
	s_andn2_saveexec_b64 s[40:41], s[40:41]
; %bb.2517:                             ;   in Loop: Header=BB8_2417 Depth=3
	v_or_b32_e32 v3, 0x10000, v24
	v_cmp_eq_u32_sdwa vcc, v24, v2 src0_sel:WORD_0 src1_sel:DWORD
	v_cndmask_b32_e32 v3, v3, v24, vcc
; %bb.2518:                             ;   in Loop: Header=BB8_2417 Depth=3
	s_or_b64 exec, exec, s[40:41]
	v_and_b32_e32 v0, 0xffff0000, v0
	v_mul_f32_e32 v24, v23, v0
	v_and_b32_e32 v0, 0x7f800000, v24
	v_cmp_ne_u32_e32 vcc, s87, v0
                                        ; implicit-def: $vgpr0
	s_and_saveexec_b64 s[40:41], vcc
	s_xor_b64 s[40:41], exec, s[40:41]
; %bb.2519:                             ;   in Loop: Header=BB8_2417 Depth=3
	v_bfe_u32 v0, v24, 16, 1
	v_add3_u32 v0, v24, v0, s96
                                        ; implicit-def: $vgpr24
; %bb.2520:                             ;   in Loop: Header=BB8_2417 Depth=3
	s_andn2_saveexec_b64 s[40:41], s[40:41]
; %bb.2521:                             ;   in Loop: Header=BB8_2417 Depth=3
	v_or_b32_e32 v0, 0x10000, v24
	v_cmp_eq_u32_sdwa vcc, v24, v2 src0_sel:WORD_0 src1_sel:DWORD
	v_cndmask_b32_e32 v0, v0, v24, vcc
; %bb.2522:                             ;   in Loop: Header=BB8_2417 Depth=3
	s_or_b64 exec, exec, s[40:41]
	buffer_load_dword v27, off, s[0:3], s33 offset:80
	buffer_load_dword v26, off, s[0:3], s33 offset:84
	;; [unrolled: 1-line block ×4, first 2 shown]
	v_and_b32_e32 v5, 0xffff0000, v5
	s_waitcnt vmcnt(3)
	v_lshlrev_b32_e32 v28, 16, v27
	v_add_f32_e32 v28, v5, v28
	v_and_b32_e32 v5, 0x7f800000, v28
	v_cmp_ne_u32_e32 vcc, s87, v5
                                        ; implicit-def: $vgpr5
	s_and_saveexec_b64 s[40:41], vcc
	s_xor_b64 s[40:41], exec, s[40:41]
; %bb.2523:                             ;   in Loop: Header=BB8_2417 Depth=3
	v_bfe_u32 v5, v28, 16, 1
	v_add3_u32 v5, v28, v5, s96
                                        ; implicit-def: $vgpr28
; %bb.2524:                             ;   in Loop: Header=BB8_2417 Depth=3
	s_andn2_saveexec_b64 s[40:41], s[40:41]
; %bb.2525:                             ;   in Loop: Header=BB8_2417 Depth=3
	v_or_b32_e32 v5, 0x10000, v28
	v_cmp_eq_u32_sdwa vcc, v28, v2 src0_sel:WORD_0 src1_sel:DWORD
	v_cndmask_b32_e32 v5, v5, v28, vcc
; %bb.2526:                             ;   in Loop: Header=BB8_2417 Depth=3
	s_or_b64 exec, exec, s[40:41]
	v_and_b32_e32 v11, 0xffff0000, v11
	v_and_b32_e32 v27, 0xffff0000, v27
	v_add_f32_e32 v27, v11, v27
	v_and_b32_e32 v11, 0x7f800000, v27
	v_cmp_ne_u32_e32 vcc, s87, v11
                                        ; implicit-def: $vgpr11
	s_and_saveexec_b64 s[40:41], vcc
	s_xor_b64 s[40:41], exec, s[40:41]
; %bb.2527:                             ;   in Loop: Header=BB8_2417 Depth=3
	v_bfe_u32 v11, v27, 16, 1
	v_add3_u32 v11, v27, v11, s96
                                        ; implicit-def: $vgpr27
; %bb.2528:                             ;   in Loop: Header=BB8_2417 Depth=3
	s_andn2_saveexec_b64 s[40:41], s[40:41]
; %bb.2529:                             ;   in Loop: Header=BB8_2417 Depth=3
	v_or_b32_e32 v11, 0x10000, v27
	v_cmp_eq_u32_sdwa vcc, v27, v2 src0_sel:WORD_0 src1_sel:DWORD
	v_cndmask_b32_e32 v11, v11, v27, vcc
; %bb.2530:                             ;   in Loop: Header=BB8_2417 Depth=3
	s_or_b64 exec, exec, s[40:41]
	v_and_b32_e32 v10, 0xffff0000, v10
	s_waitcnt vmcnt(2)
	v_lshlrev_b32_e32 v27, 16, v26
	v_add_f32_e32 v27, v10, v27
	v_and_b32_e32 v10, 0x7f800000, v27
	v_cmp_ne_u32_e32 vcc, s87, v10
                                        ; implicit-def: $vgpr10
	s_and_saveexec_b64 s[40:41], vcc
	s_xor_b64 s[40:41], exec, s[40:41]
; %bb.2531:                             ;   in Loop: Header=BB8_2417 Depth=3
	v_bfe_u32 v10, v27, 16, 1
	v_add3_u32 v10, v27, v10, s96
                                        ; implicit-def: $vgpr27
; %bb.2532:                             ;   in Loop: Header=BB8_2417 Depth=3
	s_andn2_saveexec_b64 s[40:41], s[40:41]
; %bb.2533:                             ;   in Loop: Header=BB8_2417 Depth=3
	v_or_b32_e32 v10, 0x10000, v27
	v_cmp_eq_u32_sdwa vcc, v27, v2 src0_sel:WORD_0 src1_sel:DWORD
	v_cndmask_b32_e32 v10, v10, v27, vcc
; %bb.2534:                             ;   in Loop: Header=BB8_2417 Depth=3
	s_or_b64 exec, exec, s[40:41]
	v_and_b32_e32 v26, 0xffff0000, v26
	v_and_b32_e32 v8, 0xffff0000, v8
	v_add_f32_e32 v26, v8, v26
	v_and_b32_e32 v8, 0x7f800000, v26
	v_cmp_ne_u32_e32 vcc, s87, v8
                                        ; implicit-def: $vgpr8
	s_and_saveexec_b64 s[40:41], vcc
	s_xor_b64 s[40:41], exec, s[40:41]
; %bb.2535:                             ;   in Loop: Header=BB8_2417 Depth=3
	v_bfe_u32 v8, v26, 16, 1
	v_add3_u32 v8, v26, v8, s96
                                        ; implicit-def: $vgpr26
; %bb.2536:                             ;   in Loop: Header=BB8_2417 Depth=3
	s_andn2_saveexec_b64 s[40:41], s[40:41]
; %bb.2537:                             ;   in Loop: Header=BB8_2417 Depth=3
	v_or_b32_e32 v8, 0x10000, v26
	v_cmp_eq_u32_sdwa vcc, v26, v2 src0_sel:WORD_0 src1_sel:DWORD
	v_cndmask_b32_e32 v8, v8, v26, vcc
; %bb.2538:                             ;   in Loop: Header=BB8_2417 Depth=3
	s_or_b64 exec, exec, s[40:41]
	v_and_b32_e32 v9, 0xffff0000, v9
	s_waitcnt vmcnt(1)
	v_lshlrev_b32_e32 v26, 16, v25
	v_add_f32_e32 v9, v9, v26
	v_and_b32_e32 v26, 0x7f800000, v9
	v_cmp_ne_u32_e32 vcc, s87, v26
                                        ; implicit-def: $vgpr26
	s_and_saveexec_b64 s[40:41], vcc
	s_xor_b64 s[40:41], exec, s[40:41]
; %bb.2539:                             ;   in Loop: Header=BB8_2417 Depth=3
	v_bfe_u32 v26, v9, 16, 1
	v_add3_u32 v26, v9, v26, s96
                                        ; implicit-def: $vgpr9
; %bb.2540:                             ;   in Loop: Header=BB8_2417 Depth=3
	s_andn2_saveexec_b64 s[40:41], s[40:41]
; %bb.2541:                             ;   in Loop: Header=BB8_2417 Depth=3
	v_or_b32_e32 v26, 0x10000, v9
	v_cmp_eq_u32_sdwa vcc, v9, v2 src0_sel:WORD_0 src1_sel:DWORD
	v_cndmask_b32_e32 v26, v26, v9, vcc
; %bb.2542:                             ;   in Loop: Header=BB8_2417 Depth=3
	s_or_b64 exec, exec, s[40:41]
	v_and_b32_e32 v9, 0xffff0000, v25
	v_and_b32_e32 v1, 0xffff0000, v1
	v_add_f32_e32 v9, v1, v9
	v_and_b32_e32 v1, 0x7f800000, v9
	v_cmp_ne_u32_e32 vcc, s87, v1
                                        ; implicit-def: $vgpr1
	s_and_saveexec_b64 s[40:41], vcc
	s_xor_b64 s[40:41], exec, s[40:41]
; %bb.2543:                             ;   in Loop: Header=BB8_2417 Depth=3
	v_bfe_u32 v1, v9, 16, 1
	v_add3_u32 v1, v9, v1, s96
                                        ; implicit-def: $vgpr9
; %bb.2544:                             ;   in Loop: Header=BB8_2417 Depth=3
	s_andn2_saveexec_b64 s[40:41], s[40:41]
; %bb.2545:                             ;   in Loop: Header=BB8_2417 Depth=3
	v_or_b32_e32 v1, 0x10000, v9
	v_cmp_eq_u32_sdwa vcc, v9, v2 src0_sel:WORD_0 src1_sel:DWORD
	v_cndmask_b32_e32 v1, v1, v9, vcc
; %bb.2546:                             ;   in Loop: Header=BB8_2417 Depth=3
	s_or_b64 exec, exec, s[40:41]
	v_and_b32_e32 v3, 0xffff0000, v3
	s_waitcnt vmcnt(0)
	v_lshlrev_b32_e32 v9, 16, v24
	v_add_f32_e32 v9, v3, v9
	v_and_b32_e32 v3, 0x7f800000, v9
	v_cmp_ne_u32_e32 vcc, s87, v3
                                        ; implicit-def: $vgpr3
	s_and_saveexec_b64 s[40:41], vcc
	s_xor_b64 s[40:41], exec, s[40:41]
; %bb.2547:                             ;   in Loop: Header=BB8_2417 Depth=3
	v_bfe_u32 v3, v9, 16, 1
	v_add3_u32 v3, v9, v3, s96
                                        ; implicit-def: $vgpr9
; %bb.2548:                             ;   in Loop: Header=BB8_2417 Depth=3
	s_andn2_saveexec_b64 s[40:41], s[40:41]
; %bb.2549:                             ;   in Loop: Header=BB8_2417 Depth=3
	v_or_b32_e32 v3, 0x10000, v9
	v_cmp_eq_u32_sdwa vcc, v9, v2 src0_sel:WORD_0 src1_sel:DWORD
	v_cndmask_b32_e32 v3, v3, v9, vcc
; %bb.2550:                             ;   in Loop: Header=BB8_2417 Depth=3
	s_or_b64 exec, exec, s[40:41]
	v_and_b32_e32 v9, 0xffff0000, v24
	v_and_b32_e32 v0, 0xffff0000, v0
	v_add_f32_e32 v9, v0, v9
	v_and_b32_e32 v0, 0x7f800000, v9
	v_cmp_ne_u32_e32 vcc, s87, v0
                                        ; implicit-def: $vgpr0
	s_and_saveexec_b64 s[40:41], vcc
	s_xor_b64 s[40:41], exec, s[40:41]
; %bb.2551:                             ;   in Loop: Header=BB8_2417 Depth=3
	v_bfe_u32 v0, v9, 16, 1
	v_add3_u32 v0, v9, v0, s96
                                        ; implicit-def: $vgpr9
; %bb.2552:                             ;   in Loop: Header=BB8_2417 Depth=3
	s_andn2_saveexec_b64 s[40:41], s[40:41]
; %bb.2553:                             ;   in Loop: Header=BB8_2417 Depth=3
	v_or_b32_e32 v0, 0x10000, v9
	v_cmp_eq_u32_sdwa vcc, v9, v2 src0_sel:WORD_0 src1_sel:DWORD
	v_cndmask_b32_e32 v0, v0, v9, vcc
; %bb.2554:                             ;   in Loop: Header=BB8_2417 Depth=3
	s_or_b64 exec, exec, s[40:41]
	v_lshrrev_b32_e32 v9, 16, v10
	v_lshrrev_b32_e32 v5, 16, v5
	v_and_or_b32 v9, v8, s97, v9
	v_and_or_b32 v8, v11, s97, v5
	v_lshrrev_b32_e32 v5, 16, v26
	v_and_or_b32 v10, v1, s97, v5
	v_lshrrev_b32_e32 v1, 16, v3
	v_and_or_b32 v11, v0, s97, v1
	s_mov_b64 s[48:49], 0
	s_mov_b64 s[38:39], -1
	buffer_store_dword v9, off, s[0:3], s33 offset:68
	buffer_store_dword v8, off, s[0:3], s33 offset:64
	;; [unrolled: 1-line block ×4, first 2 shown]
.LBB8_2555:                             ;   Parent Loop BB8_47 Depth=1
                                        ;     Parent Loop BB8_1939 Depth=2
                                        ;       Parent Loop BB8_2417 Depth=3
                                        ; =>      This Inner Loop Header: Depth=4
	s_cmp_eq_u32 s48, 1
	s_cselect_b64 s[40:41], -1, 0
	v_cndmask_b32_e64 v1, v15, v17, s[40:41]
	v_cndmask_b32_e64 v0, v14, v16, s[40:41]
	global_store_dwordx4 v[0:1], v[8:11], off glc slc
	v_add_co_u32_e32 v0, vcc, 0x400, v0
	s_cmp_eq_u32 s48, 0
	v_addc_co_u32_e32 v1, vcc, 0, v1, vcc
	s_cselect_b64 vcc, -1, 0
	s_and_b64 s[42:43], exec, s[38:39]
	s_mov_b64 s[48:49], 1
	v_cndmask_b32_e64 v16, v16, v0, s[40:41]
	s_mov_b64 s[38:39], 0
	v_cndmask_b32_e64 v17, v17, v1, s[40:41]
	v_cndmask_b32_e32 v15, v15, v1, vcc
	v_cndmask_b32_e32 v14, v14, v0, vcc
	s_mov_b64 vcc, s[42:43]
	s_cbranch_vccnz .LBB8_2555
; %bb.2556:                             ;   in Loop: Header=BB8_2417 Depth=3
	buffer_load_dword v0, off, s[0:3], s33 offset:128 ; 4-byte Folded Reload
	s_waitcnt vmcnt(0)
	v_sub_u32_e32 v13, v13, v0
	s_and_saveexec_b64 s[40:41], s[36:37]
	s_cbranch_execz .LBB8_2416
; %bb.2557:                             ;   in Loop: Header=BB8_2417 Depth=3
	buffer_load_dword v0, off, s[0:3], s33 offset:180 ; 4-byte Folded Reload
	v_add_co_u32_e32 v14, vcc, v14, v54
	v_addc_co_u32_e32 v15, vcc, v15, v55, vcc
	v_add_co_u32_e32 v16, vcc, v16, v54
	v_addc_co_u32_e32 v17, vcc, v17, v55, vcc
	;; [unrolled: 2-line block ×4, first 2 shown]
	s_waitcnt vmcnt(0)
	v_sub_u32_e32 v18, v18, v0
	buffer_load_dword v0, off, s[0:3], s33 offset:128 ; 4-byte Folded Reload
	s_waitcnt vmcnt(0)
	v_sub_u32_e32 v13, v13, v0
	s_branch .LBB8_2416
.LBB8_2558:                             ;   in Loop: Header=BB8_1939 Depth=2
	s_or_b64 exec, exec, s[30:31]
	s_and_b64 s[40:41], s[34:35], exec
.LBB8_2559:                             ;   in Loop: Header=BB8_1939 Depth=2
	s_or_b64 exec, exec, s[94:95]
	s_and_saveexec_b64 s[94:95], s[40:41]
	s_cbranch_execz .LBB8_2626
; %bb.2560:                             ;   in Loop: Header=BB8_1939 Depth=2
	s_trap 2
	buffer_load_dword v8, off, s[0:3], s33 offset:96
	buffer_load_dword v3, off, s[0:3], s33 offset:100
	;; [unrolled: 1-line block ×4, first 2 shown]
	s_waitcnt vmcnt(0)
	ds_read_b32 v5, v0
	s_waitcnt lgkmcnt(0)
	v_lshlrev_b32_e32 v18, 16, v5
	v_lshlrev_b32_e32 v5, 16, v8
	v_mul_f32_e32 v9, v18, v5
	v_and_b32_e32 v5, 0x7f800000, v9
	v_cmp_ne_u32_e32 vcc, s87, v5
                                        ; implicit-def: $vgpr5
	s_and_saveexec_b64 s[40:41], vcc
	s_xor_b64 s[40:41], exec, s[40:41]
; %bb.2561:                             ;   in Loop: Header=BB8_1939 Depth=2
	v_bfe_u32 v5, v9, 16, 1
	v_add3_u32 v5, v9, v5, s96
                                        ; implicit-def: $vgpr9
; %bb.2562:                             ;   in Loop: Header=BB8_1939 Depth=2
	s_andn2_saveexec_b64 s[40:41], s[40:41]
; %bb.2563:                             ;   in Loop: Header=BB8_1939 Depth=2
	v_or_b32_e32 v5, 0x10000, v9
	v_cmp_eq_u32_sdwa vcc, v9, v2 src0_sel:WORD_0 src1_sel:DWORD
	v_cndmask_b32_e32 v5, v5, v9, vcc
; %bb.2564:                             ;   in Loop: Header=BB8_1939 Depth=2
	s_or_b64 exec, exec, s[40:41]
	v_and_b32_e32 v8, 0xffff0000, v8
	v_mul_f32_e32 v8, v18, v8
	v_and_b32_e32 v9, 0x7f800000, v8
	v_cmp_ne_u32_e32 vcc, s87, v9
                                        ; implicit-def: $vgpr11
	s_and_saveexec_b64 s[40:41], vcc
	s_xor_b64 s[40:41], exec, s[40:41]
; %bb.2565:                             ;   in Loop: Header=BB8_1939 Depth=2
	v_bfe_u32 v9, v8, 16, 1
	v_add3_u32 v11, v8, v9, s96
                                        ; implicit-def: $vgpr8
; %bb.2566:                             ;   in Loop: Header=BB8_1939 Depth=2
	s_andn2_saveexec_b64 s[40:41], s[40:41]
; %bb.2567:                             ;   in Loop: Header=BB8_1939 Depth=2
	v_or_b32_e32 v9, 0x10000, v8
	v_cmp_eq_u32_sdwa vcc, v8, v2 src0_sel:WORD_0 src1_sel:DWORD
	v_cndmask_b32_e32 v11, v9, v8, vcc
; %bb.2568:                             ;   in Loop: Header=BB8_1939 Depth=2
	s_or_b64 exec, exec, s[40:41]
	v_lshlrev_b32_e32 v8, 16, v3
	v_mul_f32_e32 v8, v18, v8
	v_and_b32_e32 v9, 0x7f800000, v8
	v_cmp_ne_u32_e32 vcc, s87, v9
                                        ; implicit-def: $vgpr10
	s_and_saveexec_b64 s[40:41], vcc
	s_xor_b64 s[40:41], exec, s[40:41]
; %bb.2569:                             ;   in Loop: Header=BB8_1939 Depth=2
	v_bfe_u32 v9, v8, 16, 1
	v_add3_u32 v10, v8, v9, s96
                                        ; implicit-def: $vgpr8
; %bb.2570:                             ;   in Loop: Header=BB8_1939 Depth=2
	s_andn2_saveexec_b64 s[40:41], s[40:41]
; %bb.2571:                             ;   in Loop: Header=BB8_1939 Depth=2
	v_or_b32_e32 v9, 0x10000, v8
	v_cmp_eq_u32_sdwa vcc, v8, v2 src0_sel:WORD_0 src1_sel:DWORD
	v_cndmask_b32_e32 v10, v9, v8, vcc
; %bb.2572:                             ;   in Loop: Header=BB8_1939 Depth=2
	s_or_b64 exec, exec, s[40:41]
	v_and_b32_e32 v3, 0xffff0000, v3
	v_mul_f32_e32 v3, v18, v3
	v_and_b32_e32 v8, 0x7f800000, v3
	v_cmp_ne_u32_e32 vcc, s87, v8
                                        ; implicit-def: $vgpr8
	s_and_saveexec_b64 s[40:41], vcc
	s_xor_b64 s[40:41], exec, s[40:41]
; %bb.2573:                             ;   in Loop: Header=BB8_1939 Depth=2
	v_bfe_u32 v8, v3, 16, 1
	v_add3_u32 v8, v3, v8, s96
                                        ; implicit-def: $vgpr3
; %bb.2574:                             ;   in Loop: Header=BB8_1939 Depth=2
	s_andn2_saveexec_b64 s[40:41], s[40:41]
; %bb.2575:                             ;   in Loop: Header=BB8_1939 Depth=2
	v_or_b32_e32 v8, 0x10000, v3
	v_cmp_eq_u32_sdwa vcc, v3, v2 src0_sel:WORD_0 src1_sel:DWORD
	v_cndmask_b32_e32 v8, v8, v3, vcc
; %bb.2576:                             ;   in Loop: Header=BB8_1939 Depth=2
	s_or_b64 exec, exec, s[40:41]
	v_lshlrev_b32_e32 v3, 16, v1
	v_mul_f32_e32 v3, v18, v3
	v_and_b32_e32 v9, 0x7f800000, v3
	v_cmp_ne_u32_e32 vcc, s87, v9
                                        ; implicit-def: $vgpr9
	s_and_saveexec_b64 s[40:41], vcc
	s_xor_b64 s[40:41], exec, s[40:41]
; %bb.2577:                             ;   in Loop: Header=BB8_1939 Depth=2
	v_bfe_u32 v9, v3, 16, 1
	v_add3_u32 v9, v3, v9, s96
                                        ; implicit-def: $vgpr3
; %bb.2578:                             ;   in Loop: Header=BB8_1939 Depth=2
	s_andn2_saveexec_b64 s[40:41], s[40:41]
; %bb.2579:                             ;   in Loop: Header=BB8_1939 Depth=2
	v_or_b32_e32 v9, 0x10000, v3
	v_cmp_eq_u32_sdwa vcc, v3, v2 src0_sel:WORD_0 src1_sel:DWORD
	v_cndmask_b32_e32 v9, v9, v3, vcc
; %bb.2580:                             ;   in Loop: Header=BB8_1939 Depth=2
	s_or_b64 exec, exec, s[40:41]
	v_and_b32_e32 v1, 0xffff0000, v1
	v_mul_f32_e32 v3, v18, v1
	v_and_b32_e32 v1, 0x7f800000, v3
	v_cmp_ne_u32_e32 vcc, s87, v1
                                        ; implicit-def: $vgpr1
	s_and_saveexec_b64 s[40:41], vcc
	s_xor_b64 s[40:41], exec, s[40:41]
; %bb.2581:                             ;   in Loop: Header=BB8_1939 Depth=2
	v_bfe_u32 v1, v3, 16, 1
	v_add3_u32 v1, v3, v1, s96
                                        ; implicit-def: $vgpr3
; %bb.2582:                             ;   in Loop: Header=BB8_1939 Depth=2
	s_andn2_saveexec_b64 s[40:41], s[40:41]
; %bb.2583:                             ;   in Loop: Header=BB8_1939 Depth=2
	v_or_b32_e32 v1, 0x10000, v3
	v_cmp_eq_u32_sdwa vcc, v3, v2 src0_sel:WORD_0 src1_sel:DWORD
	v_cndmask_b32_e32 v1, v1, v3, vcc
; %bb.2584:                             ;   in Loop: Header=BB8_1939 Depth=2
	s_or_b64 exec, exec, s[40:41]
	v_lshlrev_b32_e32 v3, 16, v0
	v_mul_f32_e32 v19, v18, v3
	v_and_b32_e32 v3, 0x7f800000, v19
	v_cmp_ne_u32_e32 vcc, s87, v3
                                        ; implicit-def: $vgpr3
	s_and_saveexec_b64 s[40:41], vcc
	s_xor_b64 s[40:41], exec, s[40:41]
; %bb.2585:                             ;   in Loop: Header=BB8_1939 Depth=2
	v_bfe_u32 v3, v19, 16, 1
	v_add3_u32 v3, v19, v3, s96
                                        ; implicit-def: $vgpr19
; %bb.2586:                             ;   in Loop: Header=BB8_1939 Depth=2
	s_andn2_saveexec_b64 s[40:41], s[40:41]
; %bb.2587:                             ;   in Loop: Header=BB8_1939 Depth=2
	v_or_b32_e32 v3, 0x10000, v19
	v_cmp_eq_u32_sdwa vcc, v19, v2 src0_sel:WORD_0 src1_sel:DWORD
	v_cndmask_b32_e32 v3, v3, v19, vcc
; %bb.2588:                             ;   in Loop: Header=BB8_1939 Depth=2
	s_or_b64 exec, exec, s[40:41]
	v_and_b32_e32 v0, 0xffff0000, v0
	v_mul_f32_e32 v18, v18, v0
	v_and_b32_e32 v0, 0x7f800000, v18
	v_cmp_ne_u32_e32 vcc, s87, v0
                                        ; implicit-def: $vgpr0
	s_and_saveexec_b64 s[40:41], vcc
	s_xor_b64 s[40:41], exec, s[40:41]
; %bb.2589:                             ;   in Loop: Header=BB8_1939 Depth=2
	v_bfe_u32 v0, v18, 16, 1
	v_add3_u32 v0, v18, v0, s96
                                        ; implicit-def: $vgpr18
; %bb.2590:                             ;   in Loop: Header=BB8_1939 Depth=2
	s_andn2_saveexec_b64 s[40:41], s[40:41]
; %bb.2591:                             ;   in Loop: Header=BB8_1939 Depth=2
	v_or_b32_e32 v0, 0x10000, v18
	v_cmp_eq_u32_sdwa vcc, v18, v2 src0_sel:WORD_0 src1_sel:DWORD
	v_cndmask_b32_e32 v0, v0, v18, vcc
; %bb.2592:                             ;   in Loop: Header=BB8_1939 Depth=2
	s_or_b64 exec, exec, s[40:41]
	buffer_load_dword v21, off, s[0:3], s33 offset:112
	buffer_load_dword v20, off, s[0:3], s33 offset:116
	;; [unrolled: 1-line block ×4, first 2 shown]
	v_and_b32_e32 v5, 0xffff0000, v5
	s_waitcnt vmcnt(3)
	v_lshlrev_b32_e32 v22, 16, v21
	v_add_f32_e32 v22, v5, v22
	v_and_b32_e32 v5, 0x7f800000, v22
	v_cmp_ne_u32_e32 vcc, s87, v5
                                        ; implicit-def: $vgpr5
	s_and_saveexec_b64 s[40:41], vcc
	s_xor_b64 s[40:41], exec, s[40:41]
; %bb.2593:                             ;   in Loop: Header=BB8_1939 Depth=2
	v_bfe_u32 v5, v22, 16, 1
	v_add3_u32 v5, v22, v5, s96
                                        ; implicit-def: $vgpr22
; %bb.2594:                             ;   in Loop: Header=BB8_1939 Depth=2
	s_andn2_saveexec_b64 s[40:41], s[40:41]
; %bb.2595:                             ;   in Loop: Header=BB8_1939 Depth=2
	v_or_b32_e32 v5, 0x10000, v22
	v_cmp_eq_u32_sdwa vcc, v22, v2 src0_sel:WORD_0 src1_sel:DWORD
	v_cndmask_b32_e32 v5, v5, v22, vcc
; %bb.2596:                             ;   in Loop: Header=BB8_1939 Depth=2
	s_or_b64 exec, exec, s[40:41]
	v_and_b32_e32 v11, 0xffff0000, v11
	v_and_b32_e32 v21, 0xffff0000, v21
	v_add_f32_e32 v21, v11, v21
	v_and_b32_e32 v11, 0x7f800000, v21
	v_cmp_ne_u32_e32 vcc, s87, v11
                                        ; implicit-def: $vgpr11
	s_and_saveexec_b64 s[40:41], vcc
	s_xor_b64 s[40:41], exec, s[40:41]
; %bb.2597:                             ;   in Loop: Header=BB8_1939 Depth=2
	v_bfe_u32 v11, v21, 16, 1
	v_add3_u32 v11, v21, v11, s96
                                        ; implicit-def: $vgpr21
; %bb.2598:                             ;   in Loop: Header=BB8_1939 Depth=2
	s_andn2_saveexec_b64 s[40:41], s[40:41]
; %bb.2599:                             ;   in Loop: Header=BB8_1939 Depth=2
	v_or_b32_e32 v11, 0x10000, v21
	v_cmp_eq_u32_sdwa vcc, v21, v2 src0_sel:WORD_0 src1_sel:DWORD
	v_cndmask_b32_e32 v11, v11, v21, vcc
; %bb.2600:                             ;   in Loop: Header=BB8_1939 Depth=2
	s_or_b64 exec, exec, s[40:41]
	v_and_b32_e32 v10, 0xffff0000, v10
	s_waitcnt vmcnt(2)
	v_lshlrev_b32_e32 v21, 16, v20
	v_add_f32_e32 v21, v10, v21
	v_and_b32_e32 v10, 0x7f800000, v21
	v_cmp_ne_u32_e32 vcc, s87, v10
                                        ; implicit-def: $vgpr10
	s_and_saveexec_b64 s[40:41], vcc
	s_xor_b64 s[40:41], exec, s[40:41]
; %bb.2601:                             ;   in Loop: Header=BB8_1939 Depth=2
	v_bfe_u32 v10, v21, 16, 1
	v_add3_u32 v10, v21, v10, s96
                                        ; implicit-def: $vgpr21
; %bb.2602:                             ;   in Loop: Header=BB8_1939 Depth=2
	s_andn2_saveexec_b64 s[40:41], s[40:41]
; %bb.2603:                             ;   in Loop: Header=BB8_1939 Depth=2
	v_or_b32_e32 v10, 0x10000, v21
	v_cmp_eq_u32_sdwa vcc, v21, v2 src0_sel:WORD_0 src1_sel:DWORD
	v_cndmask_b32_e32 v10, v10, v21, vcc
; %bb.2604:                             ;   in Loop: Header=BB8_1939 Depth=2
	s_or_b64 exec, exec, s[40:41]
	v_and_b32_e32 v20, 0xffff0000, v20
	v_and_b32_e32 v8, 0xffff0000, v8
	v_add_f32_e32 v20, v8, v20
	v_and_b32_e32 v8, 0x7f800000, v20
	v_cmp_ne_u32_e32 vcc, s87, v8
                                        ; implicit-def: $vgpr8
	s_and_saveexec_b64 s[40:41], vcc
	s_xor_b64 s[40:41], exec, s[40:41]
; %bb.2605:                             ;   in Loop: Header=BB8_1939 Depth=2
	v_bfe_u32 v8, v20, 16, 1
	v_add3_u32 v8, v20, v8, s96
                                        ; implicit-def: $vgpr20
; %bb.2606:                             ;   in Loop: Header=BB8_1939 Depth=2
	s_andn2_saveexec_b64 s[40:41], s[40:41]
; %bb.2607:                             ;   in Loop: Header=BB8_1939 Depth=2
	v_or_b32_e32 v8, 0x10000, v20
	v_cmp_eq_u32_sdwa vcc, v20, v2 src0_sel:WORD_0 src1_sel:DWORD
	v_cndmask_b32_e32 v8, v8, v20, vcc
; %bb.2608:                             ;   in Loop: Header=BB8_1939 Depth=2
	s_or_b64 exec, exec, s[40:41]
	v_and_b32_e32 v9, 0xffff0000, v9
	s_waitcnt vmcnt(1)
	v_lshlrev_b32_e32 v20, 16, v19
	v_add_f32_e32 v9, v9, v20
	v_and_b32_e32 v20, 0x7f800000, v9
	v_cmp_ne_u32_e32 vcc, s87, v20
                                        ; implicit-def: $vgpr20
	s_and_saveexec_b64 s[40:41], vcc
	s_xor_b64 s[40:41], exec, s[40:41]
; %bb.2609:                             ;   in Loop: Header=BB8_1939 Depth=2
	v_bfe_u32 v20, v9, 16, 1
	v_add3_u32 v20, v9, v20, s96
                                        ; implicit-def: $vgpr9
; %bb.2610:                             ;   in Loop: Header=BB8_1939 Depth=2
	s_andn2_saveexec_b64 s[40:41], s[40:41]
; %bb.2611:                             ;   in Loop: Header=BB8_1939 Depth=2
	v_or_b32_e32 v20, 0x10000, v9
	v_cmp_eq_u32_sdwa vcc, v9, v2 src0_sel:WORD_0 src1_sel:DWORD
	v_cndmask_b32_e32 v20, v20, v9, vcc
; %bb.2612:                             ;   in Loop: Header=BB8_1939 Depth=2
	s_or_b64 exec, exec, s[40:41]
	v_and_b32_e32 v9, 0xffff0000, v19
	v_and_b32_e32 v1, 0xffff0000, v1
	v_add_f32_e32 v9, v1, v9
	v_and_b32_e32 v1, 0x7f800000, v9
	v_cmp_ne_u32_e32 vcc, s87, v1
                                        ; implicit-def: $vgpr1
	s_and_saveexec_b64 s[40:41], vcc
	s_xor_b64 s[40:41], exec, s[40:41]
; %bb.2613:                             ;   in Loop: Header=BB8_1939 Depth=2
	v_bfe_u32 v1, v9, 16, 1
	v_add3_u32 v1, v9, v1, s96
                                        ; implicit-def: $vgpr9
; %bb.2614:                             ;   in Loop: Header=BB8_1939 Depth=2
	s_andn2_saveexec_b64 s[40:41], s[40:41]
; %bb.2615:                             ;   in Loop: Header=BB8_1939 Depth=2
	v_or_b32_e32 v1, 0x10000, v9
	v_cmp_eq_u32_sdwa vcc, v9, v2 src0_sel:WORD_0 src1_sel:DWORD
	v_cndmask_b32_e32 v1, v1, v9, vcc
; %bb.2616:                             ;   in Loop: Header=BB8_1939 Depth=2
	s_or_b64 exec, exec, s[40:41]
	v_and_b32_e32 v3, 0xffff0000, v3
	s_waitcnt vmcnt(0)
	v_lshlrev_b32_e32 v9, 16, v18
	v_add_f32_e32 v9, v3, v9
	v_and_b32_e32 v3, 0x7f800000, v9
	v_cmp_ne_u32_e32 vcc, s87, v3
                                        ; implicit-def: $vgpr3
	s_and_saveexec_b64 s[40:41], vcc
	s_xor_b64 s[40:41], exec, s[40:41]
; %bb.2617:                             ;   in Loop: Header=BB8_1939 Depth=2
	v_bfe_u32 v3, v9, 16, 1
	v_add3_u32 v3, v9, v3, s96
                                        ; implicit-def: $vgpr9
; %bb.2618:                             ;   in Loop: Header=BB8_1939 Depth=2
	s_andn2_saveexec_b64 s[40:41], s[40:41]
; %bb.2619:                             ;   in Loop: Header=BB8_1939 Depth=2
	v_or_b32_e32 v3, 0x10000, v9
	v_cmp_eq_u32_sdwa vcc, v9, v2 src0_sel:WORD_0 src1_sel:DWORD
	v_cndmask_b32_e32 v3, v3, v9, vcc
; %bb.2620:                             ;   in Loop: Header=BB8_1939 Depth=2
	s_or_b64 exec, exec, s[40:41]
	v_and_b32_e32 v9, 0xffff0000, v18
	v_and_b32_e32 v0, 0xffff0000, v0
	v_add_f32_e32 v9, v0, v9
	v_and_b32_e32 v0, 0x7f800000, v9
	v_cmp_ne_u32_e32 vcc, s87, v0
                                        ; implicit-def: $vgpr0
	s_and_saveexec_b64 s[40:41], vcc
	s_xor_b64 s[40:41], exec, s[40:41]
; %bb.2621:                             ;   in Loop: Header=BB8_1939 Depth=2
	v_bfe_u32 v0, v9, 16, 1
	v_add3_u32 v0, v9, v0, s96
                                        ; implicit-def: $vgpr9
; %bb.2622:                             ;   in Loop: Header=BB8_1939 Depth=2
	s_andn2_saveexec_b64 s[40:41], s[40:41]
; %bb.2623:                             ;   in Loop: Header=BB8_1939 Depth=2
	v_or_b32_e32 v0, 0x10000, v9
	v_cmp_eq_u32_sdwa vcc, v9, v2 src0_sel:WORD_0 src1_sel:DWORD
	v_cndmask_b32_e32 v0, v0, v9, vcc
; %bb.2624:                             ;   in Loop: Header=BB8_1939 Depth=2
	s_or_b64 exec, exec, s[40:41]
	v_lshrrev_b32_e32 v9, 16, v10
	v_lshrrev_b32_e32 v5, 16, v5
	v_and_or_b32 v9, v8, s97, v9
	v_and_or_b32 v8, v11, s97, v5
	v_lshrrev_b32_e32 v5, 16, v20
	v_and_or_b32 v10, v1, s97, v5
	v_lshrrev_b32_e32 v1, 16, v3
	v_and_or_b32 v11, v0, s97, v1
	s_mov_b64 s[34:35], 0
	s_mov_b64 s[30:31], -1
.LBB8_2625:                             ;   Parent Loop BB8_47 Depth=1
                                        ;     Parent Loop BB8_1939 Depth=2
                                        ; =>    This Inner Loop Header: Depth=3
	s_cmp_eq_u32 s34, 1
	s_cselect_b64 s[40:41], -1, 0
	v_cndmask_b32_e64 v1, v15, v17, s[40:41]
	v_cndmask_b32_e64 v0, v14, v16, s[40:41]
	global_store_dwordx4 v[0:1], v[8:11], off glc slc
	v_add_co_u32_e32 v0, vcc, 0x400, v0
	s_cmp_eq_u32 s34, 0
	v_addc_co_u32_e32 v1, vcc, 0, v1, vcc
	s_cselect_b64 vcc, -1, 0
	s_and_b64 s[42:43], exec, s[30:31]
	s_mov_b64 s[34:35], 1
	v_cndmask_b32_e64 v16, v16, v0, s[40:41]
	s_mov_b64 s[30:31], 0
	v_cndmask_b32_e64 v17, v17, v1, s[40:41]
	v_cndmask_b32_e32 v15, v15, v1, vcc
	v_cndmask_b32_e32 v14, v14, v0, vcc
	s_mov_b64 vcc, s[42:43]
	s_cbranch_vccnz .LBB8_2625
.LBB8_2626:                             ;   in Loop: Header=BB8_1939 Depth=2
	s_or_b64 exec, exec, s[94:95]
	buffer_load_dword v0, off, s[0:3], s33 offset:312 ; 4-byte Folded Reload
	s_mov_b64 s[40:41], s[90:91]
                                        ; implicit-def: $vgpr14
                                        ; implicit-def: $vgpr3
	s_waitcnt vmcnt(0)
	v_and_b32_e32 v1, 14, v0
	v_cndmask_b32_e64 v15, v12, v1, s[28:29]
	v_cmp_ne_u32_e32 vcc, 0, v15
                                        ; implicit-def: $vgpr0
	s_and_saveexec_b64 s[42:43], vcc
	s_cbranch_execz .LBB8_2628
; %bb.2627:                             ;   in Loop: Header=BB8_1939 Depth=2
	v_sub_u32_e32 v0, v12, v1
	v_cndmask_b32_e64 v0, 0, v0, s[28:29]
	v_add3_u32 v14, v4, v6, v0
	buffer_load_dword v0, off, s[0:3], s33 offset:128 ; 4-byte Folded Reload
	v_cmp_lt_i32_e32 vcc, 0, v13
	s_or_b64 s[40:41], s[90:91], exec
	s_waitcnt vmcnt(0)
	v_cndmask_b32_e32 v0, 0, v0, vcc
	v_sub_u32_e32 v0, v0, v13
	v_lshl_add_u32 v0, v0, 6, v7
	v_ashrrev_i32_e32 v1, 31, v0
	v_lshrrev_b32_e32 v1, 26, v1
	v_add_u32_e32 v1, v0, v1
	v_and_b32_e32 v1, 0xffffffc0, v1
	v_sub_u32_e32 v3, v0, v1
.LBB8_2628:                             ;   in Loop: Header=BB8_1939 Depth=2
	s_or_b64 exec, exec, s[42:43]
	s_andn2_b64 s[28:29], s[90:91], exec
	s_and_b64 s[40:41], s[40:41], exec
	s_or_b64 s[90:91], s[28:29], s[40:41]
.LBB8_2629:                             ;   in Loop: Header=BB8_1939 Depth=2
	s_or_b64 exec, exec, s[92:93]
	s_and_saveexec_b64 s[42:43], s[90:91]
	s_cbranch_execz .LBB8_2878
.LBB8_2630:                             ;   in Loop: Header=BB8_1939 Depth=2
	buffer_load_dword v5, off, s[0:3], s33 offset:328 ; 4-byte Folded Reload
	buffer_load_dword v6, off, s[0:3], s33 offset:332 ; 4-byte Folded Reload
	s_waitcnt vmcnt(3)
	v_ashrrev_i32_e32 v1, 31, v0
	v_lshrrev_b32_e32 v1, 26, v1
	v_add_u32_e32 v0, v0, v1
	v_ashrrev_i32_e32 v0, 6, v0
	v_lshlrev_b32_e32 v1, 10, v0
	s_waitcnt vmcnt(2)
	v_mov_b32_e32 v57, v3
	v_lshlrev_b32_e32 v3, 1, v3
	v_add3_u32 v18, v14, v3, v1
	v_ashrrev_i32_e32 v1, 31, v15
	v_lshrrev_b32_e32 v1, 22, v1
	v_ashrrev_i32_e32 v19, 31, v18
	v_add_u32_e32 v1, v15, v1
	v_ashrrev_i32_e32 v4, 10, v1
	v_sub_u32_e32 v17, v4, v0
	v_mov_b32_e32 v53, v31
	v_mov_b32_e32 v52, v29
	;; [unrolled: 1-line block ×3, first 2 shown]
	s_mov_b64 s[40:41], 0
	v_mov_b32_e32 v31, 0
	v_mov_b32_e32 v30, 0
	;; [unrolled: 1-line block ×14, first 2 shown]
	s_waitcnt vmcnt(1)
	v_add_co_u32_e32 v8, vcc, v5, v18
	s_waitcnt vmcnt(0)
	v_addc_co_u32_e32 v9, vcc, v6, v19, vcc
	v_add_co_u32_e32 v6, vcc, v36, v18
	v_addc_co_u32_e32 v7, vcc, v37, v19, vcc
	v_cmp_lt_i32_e32 vcc, 0, v17
	v_mov_b32_e32 v5, 0
	s_and_saveexec_b64 s[28:29], vcc
	s_cbranch_execz .LBB8_2768
; %bb.2631:                             ;   in Loop: Header=BB8_1939 Depth=2
	buffer_store_dword v36, off, s[0:3], s33 offset:388 ; 4-byte Folded Spill
	s_nop 0
	buffer_store_dword v37, off, s[0:3], s33 offset:392 ; 4-byte Folded Spill
	s_trap 2
	ds_read_b64 v[0:1], v0
	buffer_load_dword v10, off, s[0:3], s33 offset:320 ; 4-byte Folded Reload
	buffer_load_dword v11, off, s[0:3], s33 offset:324 ; 4-byte Folded Reload
	s_mov_b64 s[92:93], 0
	s_mov_b64 s[90:91], 0
                                        ; implicit-def: $sgpr40_sgpr41
                                        ; implicit-def: $vgpr45
                                        ; implicit-def: $vgpr43
                                        ; implicit-def: $vgpr50
                                        ; implicit-def: $vgpr48
                                        ; implicit-def: $vgpr38
                                        ; implicit-def: $vgpr36
                                        ; implicit-def: $vgpr34
                                        ; implicit-def: $vgpr32
                                        ; implicit-def: $vgpr20
                                        ; implicit-def: $vgpr21
                                        ; implicit-def: $vgpr22
                                        ; implicit-def: $vgpr23
                                        ; implicit-def: $vgpr24
                                        ; implicit-def: $vgpr25
	s_waitcnt vmcnt(1)
	v_add_co_u32_e32 v10, vcc, v18, v10
	s_waitcnt vmcnt(0)
	v_addc_co_u32_e32 v11, vcc, v19, v11, vcc
	s_waitcnt lgkmcnt(0)
	v_add_co_u32_e32 v12, vcc, v0, v18
	v_addc_co_u32_e32 v13, vcc, v1, v19, vcc
                                        ; implicit-def: $vgpr18
                                        ; implicit-def: $vgpr19
	s_branch .LBB8_2633
.LBB8_2632:                             ;   in Loop: Header=BB8_2633 Depth=3
	s_or_b64 exec, exec, s[94:95]
	v_cmp_gt_i32_e32 vcc, 1, v17
	s_or_b64 s[90:91], vcc, s[90:91]
	s_andn2_b64 s[40:41], s[40:41], exec
	s_and_b64 s[44:45], s[92:93], exec
	s_or_b64 s[40:41], s[40:41], s[44:45]
	s_andn2_b64 exec, exec, s[90:91]
	s_cbranch_execz .LBB8_2767
.LBB8_2633:                             ;   Parent Loop BB8_47 Depth=1
                                        ;     Parent Loop BB8_1939 Depth=2
                                        ; =>    This Inner Loop Header: Depth=3
	flat_load_ushort v16, v[10:11] glc slc
	flat_load_ushort v5, v[10:11] offset:128 glc slc
	flat_load_ushort v61, v[10:11] offset:256 glc slc
	;; [unrolled: 1-line block ×7, first 2 shown]
	flat_load_ushort v39, v[12:13] glc slc
	flat_load_ushort v37, v[12:13] offset:128 glc slc
	flat_load_ushort v35, v[12:13] offset:256 glc slc
	;; [unrolled: 1-line block ×7, first 2 shown]
	s_and_saveexec_b64 s[94:95], s[92:93]
	s_cbranch_execz .LBB8_2699
; %bb.2634:                             ;   in Loop: Header=BB8_2633 Depth=3
	s_trap 2
	ds_read_b32 v0, v0
	s_waitcnt lgkmcnt(0)
	v_lshlrev_b32_e32 v1, 16, v0
	s_waitcnt vmcnt(0)
	v_lshlrev_b32_e32 v0, 16, v45
	v_mul_f32_e32 v3, v0, v1
	v_and_b32_e32 v0, 0x7f800000, v3
	v_cmp_ne_u32_e32 vcc, s87, v0
                                        ; implicit-def: $vgpr0
	s_and_saveexec_b64 s[44:45], vcc
	s_xor_b64 s[92:93], exec, s[44:45]
; %bb.2635:                             ;   in Loop: Header=BB8_2633 Depth=3
	v_bfe_u32 v0, v3, 16, 1
	v_add3_u32 v0, v3, v0, s96
                                        ; implicit-def: $vgpr3
; %bb.2636:                             ;   in Loop: Header=BB8_2633 Depth=3
	s_andn2_saveexec_b64 s[92:93], s[92:93]
; %bb.2637:                             ;   in Loop: Header=BB8_2633 Depth=3
	v_or_b32_e32 v0, 0x10000, v3
	v_cmp_eq_u32_sdwa vcc, v3, v2 src0_sel:WORD_0 src1_sel:DWORD
	v_cndmask_b32_e32 v0, v0, v3, vcc
; %bb.2638:                             ;   in Loop: Header=BB8_2633 Depth=3
	s_or_b64 exec, exec, s[92:93]
	v_lshlrev_b32_e32 v3, 16, v43
	v_mul_f32_e32 v3, v3, v1
	v_and_b32_e32 v30, 0x7f800000, v3
	v_cmp_ne_u32_e32 vcc, s87, v30
                                        ; implicit-def: $vgpr42
	s_and_saveexec_b64 s[44:45], vcc
	s_xor_b64 s[92:93], exec, s[44:45]
; %bb.2639:                             ;   in Loop: Header=BB8_2633 Depth=3
	v_bfe_u32 v30, v3, 16, 1
	v_add3_u32 v42, v3, v30, s96
                                        ; implicit-def: $vgpr3
; %bb.2640:                             ;   in Loop: Header=BB8_2633 Depth=3
	s_andn2_saveexec_b64 s[92:93], s[92:93]
; %bb.2641:                             ;   in Loop: Header=BB8_2633 Depth=3
	v_or_b32_e32 v30, 0x10000, v3
	v_cmp_eq_u32_sdwa vcc, v3, v2 src0_sel:WORD_0 src1_sel:DWORD
	v_cndmask_b32_e32 v42, v30, v3, vcc
; %bb.2642:                             ;   in Loop: Header=BB8_2633 Depth=3
	s_or_b64 exec, exec, s[92:93]
	v_lshlrev_b32_e32 v3, 16, v50
	v_mul_f32_e32 v3, v3, v1
	v_and_b32_e32 v30, 0x7f800000, v3
	v_cmp_ne_u32_e32 vcc, s87, v30
                                        ; implicit-def: $vgpr50
	s_and_saveexec_b64 s[44:45], vcc
	s_xor_b64 s[92:93], exec, s[44:45]
; %bb.2643:                             ;   in Loop: Header=BB8_2633 Depth=3
	v_bfe_u32 v30, v3, 16, 1
	v_add3_u32 v50, v3, v30, s96
                                        ; implicit-def: $vgpr3
; %bb.2644:                             ;   in Loop: Header=BB8_2633 Depth=3
	s_andn2_saveexec_b64 s[92:93], s[92:93]
; %bb.2645:                             ;   in Loop: Header=BB8_2633 Depth=3
	v_or_b32_e32 v30, 0x10000, v3
	v_cmp_eq_u32_sdwa vcc, v3, v2 src0_sel:WORD_0 src1_sel:DWORD
	v_cndmask_b32_e32 v50, v30, v3, vcc
; %bb.2646:                             ;   in Loop: Header=BB8_2633 Depth=3
	s_or_b64 exec, exec, s[92:93]
	v_lshlrev_b32_e32 v3, 16, v48
	v_mul_f32_e32 v3, v3, v1
	v_and_b32_e32 v30, 0x7f800000, v3
	v_cmp_ne_u32_e32 vcc, s87, v30
                                        ; implicit-def: $vgpr48
	s_and_saveexec_b64 s[44:45], vcc
	s_xor_b64 s[92:93], exec, s[44:45]
; %bb.2647:                             ;   in Loop: Header=BB8_2633 Depth=3
	v_bfe_u32 v30, v3, 16, 1
	v_add3_u32 v48, v3, v30, s96
                                        ; implicit-def: $vgpr3
; %bb.2648:                             ;   in Loop: Header=BB8_2633 Depth=3
	s_andn2_saveexec_b64 s[92:93], s[92:93]
; %bb.2649:                             ;   in Loop: Header=BB8_2633 Depth=3
	v_or_b32_e32 v30, 0x10000, v3
	v_cmp_eq_u32_sdwa vcc, v3, v2 src0_sel:WORD_0 src1_sel:DWORD
	v_cndmask_b32_e32 v48, v30, v3, vcc
; %bb.2650:                             ;   in Loop: Header=BB8_2633 Depth=3
	s_or_b64 exec, exec, s[92:93]
	v_lshlrev_b32_e32 v3, 16, v38
	v_mul_f32_e32 v3, v3, v1
	v_and_b32_e32 v30, 0x7f800000, v3
	v_cmp_ne_u32_e32 vcc, s87, v30
                                        ; implicit-def: $vgpr31
	s_and_saveexec_b64 s[44:45], vcc
	s_xor_b64 s[92:93], exec, s[44:45]
; %bb.2651:                             ;   in Loop: Header=BB8_2633 Depth=3
	v_bfe_u32 v30, v3, 16, 1
	v_add3_u32 v31, v3, v30, s96
                                        ; implicit-def: $vgpr3
; %bb.2652:                             ;   in Loop: Header=BB8_2633 Depth=3
	s_andn2_saveexec_b64 s[92:93], s[92:93]
; %bb.2653:                             ;   in Loop: Header=BB8_2633 Depth=3
	v_or_b32_e32 v30, 0x10000, v3
	v_cmp_eq_u32_sdwa vcc, v3, v2 src0_sel:WORD_0 src1_sel:DWORD
	v_cndmask_b32_e32 v31, v30, v3, vcc
; %bb.2654:                             ;   in Loop: Header=BB8_2633 Depth=3
	s_or_b64 exec, exec, s[92:93]
	v_lshlrev_b32_e32 v3, 16, v36
	v_mul_f32_e32 v3, v3, v1
	v_and_b32_e32 v30, 0x7f800000, v3
	v_cmp_ne_u32_e32 vcc, s87, v30
                                        ; implicit-def: $vgpr30
	s_and_saveexec_b64 s[44:45], vcc
	s_xor_b64 s[92:93], exec, s[44:45]
; %bb.2655:                             ;   in Loop: Header=BB8_2633 Depth=3
	v_bfe_u32 v30, v3, 16, 1
	v_add3_u32 v30, v3, v30, s96
                                        ; implicit-def: $vgpr3
; %bb.2656:                             ;   in Loop: Header=BB8_2633 Depth=3
	s_andn2_saveexec_b64 s[92:93], s[92:93]
; %bb.2657:                             ;   in Loop: Header=BB8_2633 Depth=3
	v_or_b32_e32 v30, 0x10000, v3
	v_cmp_eq_u32_sdwa vcc, v3, v2 src0_sel:WORD_0 src1_sel:DWORD
	v_cndmask_b32_e32 v30, v30, v3, vcc
; %bb.2658:                             ;   in Loop: Header=BB8_2633 Depth=3
	s_or_b64 exec, exec, s[92:93]
	v_lshlrev_b32_e32 v3, 16, v34
	v_mul_f32_e32 v34, v3, v1
	v_and_b32_e32 v3, 0x7f800000, v34
	v_cmp_ne_u32_e32 vcc, s87, v3
                                        ; implicit-def: $vgpr3
	s_and_saveexec_b64 s[44:45], vcc
	s_xor_b64 s[92:93], exec, s[44:45]
; %bb.2659:                             ;   in Loop: Header=BB8_2633 Depth=3
	v_bfe_u32 v3, v34, 16, 1
	v_add3_u32 v3, v34, v3, s96
                                        ; implicit-def: $vgpr34
; %bb.2660:                             ;   in Loop: Header=BB8_2633 Depth=3
	s_andn2_saveexec_b64 s[92:93], s[92:93]
; %bb.2661:                             ;   in Loop: Header=BB8_2633 Depth=3
	v_or_b32_e32 v3, 0x10000, v34
	v_cmp_eq_u32_sdwa vcc, v34, v2 src0_sel:WORD_0 src1_sel:DWORD
	v_cndmask_b32_e32 v3, v3, v34, vcc
; %bb.2662:                             ;   in Loop: Header=BB8_2633 Depth=3
	s_or_b64 exec, exec, s[92:93]
	v_lshlrev_b32_e32 v32, 16, v32
	v_mul_f32_e32 v32, v32, v1
	v_and_b32_e32 v1, 0x7f800000, v32
	v_cmp_ne_u32_e32 vcc, s87, v1
                                        ; implicit-def: $vgpr1
	s_and_saveexec_b64 s[44:45], vcc
	s_xor_b64 s[92:93], exec, s[44:45]
; %bb.2663:                             ;   in Loop: Header=BB8_2633 Depth=3
	v_bfe_u32 v1, v32, 16, 1
	v_add3_u32 v1, v32, v1, s96
                                        ; implicit-def: $vgpr32
; %bb.2664:                             ;   in Loop: Header=BB8_2633 Depth=3
	s_andn2_saveexec_b64 s[92:93], s[92:93]
; %bb.2665:                             ;   in Loop: Header=BB8_2633 Depth=3
	v_or_b32_e32 v1, 0x10000, v32
	v_cmp_eq_u32_sdwa vcc, v32, v2 src0_sel:WORD_0 src1_sel:DWORD
	v_cndmask_b32_e32 v1, v1, v32, vcc
; %bb.2666:                             ;   in Loop: Header=BB8_2633 Depth=3
	s_or_b64 exec, exec, s[92:93]
	v_and_b32_e32 v0, 0xffff0000, v0
	v_lshlrev_b32_e32 v32, 16, v18
	v_add_f32_e32 v32, v32, v0
	v_and_b32_e32 v0, 0x7f800000, v32
	v_cmp_ne_u32_e32 vcc, s87, v0
                                        ; implicit-def: $vgpr0
	s_and_saveexec_b64 s[44:45], vcc
	s_xor_b64 s[92:93], exec, s[44:45]
; %bb.2667:                             ;   in Loop: Header=BB8_2633 Depth=3
	v_bfe_u32 v0, v32, 16, 1
	v_add3_u32 v0, v32, v0, s96
                                        ; implicit-def: $vgpr32
; %bb.2668:                             ;   in Loop: Header=BB8_2633 Depth=3
	s_andn2_saveexec_b64 s[92:93], s[92:93]
; %bb.2669:                             ;   in Loop: Header=BB8_2633 Depth=3
	v_or_b32_e32 v0, 0x10000, v32
	v_cmp_eq_u32_sdwa vcc, v32, v2 src0_sel:WORD_0 src1_sel:DWORD
	v_cndmask_b32_e32 v0, v0, v32, vcc
; %bb.2670:                             ;   in Loop: Header=BB8_2633 Depth=3
	s_or_b64 exec, exec, s[92:93]
	v_and_b32_e32 v32, 0xffff0000, v42
	v_lshlrev_b32_e32 v34, 16, v19
	v_add_f32_e32 v34, v34, v32
	v_and_b32_e32 v32, 0x7f800000, v34
	v_cmp_ne_u32_e32 vcc, s87, v32
                                        ; implicit-def: $vgpr32
	s_and_saveexec_b64 s[44:45], vcc
	s_xor_b64 s[92:93], exec, s[44:45]
; %bb.2671:                             ;   in Loop: Header=BB8_2633 Depth=3
	v_bfe_u32 v32, v34, 16, 1
	v_add3_u32 v32, v34, v32, s96
                                        ; implicit-def: $vgpr34
; %bb.2672:                             ;   in Loop: Header=BB8_2633 Depth=3
	s_andn2_saveexec_b64 s[92:93], s[92:93]
; %bb.2673:                             ;   in Loop: Header=BB8_2633 Depth=3
	v_or_b32_e32 v32, 0x10000, v34
	v_cmp_eq_u32_sdwa vcc, v34, v2 src0_sel:WORD_0 src1_sel:DWORD
	v_cndmask_b32_e32 v32, v32, v34, vcc
; %bb.2674:                             ;   in Loop: Header=BB8_2633 Depth=3
	s_or_b64 exec, exec, s[92:93]
	v_and_b32_e32 v34, 0xffff0000, v50
	v_lshlrev_b32_e32 v36, 16, v20
	v_add_f32_e32 v34, v36, v34
	v_and_b32_e32 v36, 0x7f800000, v34
	v_cmp_ne_u32_e32 vcc, s87, v36
                                        ; implicit-def: $vgpr50
	s_and_saveexec_b64 s[44:45], vcc
	s_xor_b64 s[92:93], exec, s[44:45]
; %bb.2675:                             ;   in Loop: Header=BB8_2633 Depth=3
	v_bfe_u32 v36, v34, 16, 1
	v_add3_u32 v50, v34, v36, s96
                                        ; implicit-def: $vgpr34
; %bb.2676:                             ;   in Loop: Header=BB8_2633 Depth=3
	s_andn2_saveexec_b64 s[92:93], s[92:93]
; %bb.2677:                             ;   in Loop: Header=BB8_2633 Depth=3
	v_or_b32_e32 v36, 0x10000, v34
	v_cmp_eq_u32_sdwa vcc, v34, v2 src0_sel:WORD_0 src1_sel:DWORD
	v_cndmask_b32_e32 v50, v36, v34, vcc
; %bb.2678:                             ;   in Loop: Header=BB8_2633 Depth=3
	s_or_b64 exec, exec, s[92:93]
	v_and_b32_e32 v34, 0xffff0000, v48
	v_lshlrev_b32_e32 v36, 16, v21
	v_add_f32_e32 v34, v36, v34
	v_and_b32_e32 v36, 0x7f800000, v34
	v_cmp_ne_u32_e32 vcc, s87, v36
                                        ; implicit-def: $vgpr48
	s_and_saveexec_b64 s[44:45], vcc
	s_xor_b64 s[92:93], exec, s[44:45]
; %bb.2679:                             ;   in Loop: Header=BB8_2633 Depth=3
	v_bfe_u32 v36, v34, 16, 1
	v_add3_u32 v48, v34, v36, s96
                                        ; implicit-def: $vgpr34
; %bb.2680:                             ;   in Loop: Header=BB8_2633 Depth=3
	s_andn2_saveexec_b64 s[92:93], s[92:93]
; %bb.2681:                             ;   in Loop: Header=BB8_2633 Depth=3
	v_or_b32_e32 v36, 0x10000, v34
	v_cmp_eq_u32_sdwa vcc, v34, v2 src0_sel:WORD_0 src1_sel:DWORD
	v_cndmask_b32_e32 v48, v36, v34, vcc
; %bb.2682:                             ;   in Loop: Header=BB8_2633 Depth=3
	s_or_b64 exec, exec, s[92:93]
	v_and_b32_e32 v31, 0xffff0000, v31
	v_lshlrev_b32_e32 v34, 16, v22
	v_add_f32_e32 v34, v34, v31
	v_and_b32_e32 v31, 0x7f800000, v34
	v_cmp_ne_u32_e32 vcc, s87, v31
                                        ; implicit-def: $vgpr31
	s_and_saveexec_b64 s[44:45], vcc
	s_xor_b64 s[92:93], exec, s[44:45]
; %bb.2683:                             ;   in Loop: Header=BB8_2633 Depth=3
	v_bfe_u32 v31, v34, 16, 1
	v_add3_u32 v31, v34, v31, s96
                                        ; implicit-def: $vgpr34
; %bb.2684:                             ;   in Loop: Header=BB8_2633 Depth=3
	s_andn2_saveexec_b64 s[92:93], s[92:93]
; %bb.2685:                             ;   in Loop: Header=BB8_2633 Depth=3
	v_or_b32_e32 v31, 0x10000, v34
	v_cmp_eq_u32_sdwa vcc, v34, v2 src0_sel:WORD_0 src1_sel:DWORD
	v_cndmask_b32_e32 v31, v31, v34, vcc
; %bb.2686:                             ;   in Loop: Header=BB8_2633 Depth=3
	s_or_b64 exec, exec, s[92:93]
	v_and_b32_e32 v30, 0xffff0000, v30
	v_lshlrev_b32_e32 v34, 16, v23
	v_add_f32_e32 v34, v34, v30
	v_and_b32_e32 v30, 0x7f800000, v34
	v_cmp_ne_u32_e32 vcc, s87, v30
                                        ; implicit-def: $vgpr30
	s_and_saveexec_b64 s[44:45], vcc
	s_xor_b64 s[92:93], exec, s[44:45]
; %bb.2687:                             ;   in Loop: Header=BB8_2633 Depth=3
	v_bfe_u32 v30, v34, 16, 1
	v_add3_u32 v30, v34, v30, s96
                                        ; implicit-def: $vgpr34
; %bb.2688:                             ;   in Loop: Header=BB8_2633 Depth=3
	s_andn2_saveexec_b64 s[92:93], s[92:93]
; %bb.2689:                             ;   in Loop: Header=BB8_2633 Depth=3
	v_or_b32_e32 v30, 0x10000, v34
	v_cmp_eq_u32_sdwa vcc, v34, v2 src0_sel:WORD_0 src1_sel:DWORD
	v_cndmask_b32_e32 v30, v30, v34, vcc
; %bb.2690:                             ;   in Loop: Header=BB8_2633 Depth=3
	s_or_b64 exec, exec, s[92:93]
	v_and_b32_e32 v3, 0xffff0000, v3
	v_lshlrev_b32_e32 v34, 16, v24
	v_add_f32_e32 v34, v34, v3
	v_and_b32_e32 v3, 0x7f800000, v34
	v_cmp_ne_u32_e32 vcc, s87, v3
                                        ; implicit-def: $vgpr3
	s_and_saveexec_b64 s[44:45], vcc
	s_xor_b64 s[92:93], exec, s[44:45]
; %bb.2691:                             ;   in Loop: Header=BB8_2633 Depth=3
	v_bfe_u32 v3, v34, 16, 1
	v_add3_u32 v3, v34, v3, s96
                                        ; implicit-def: $vgpr34
; %bb.2692:                             ;   in Loop: Header=BB8_2633 Depth=3
	s_andn2_saveexec_b64 s[92:93], s[92:93]
; %bb.2693:                             ;   in Loop: Header=BB8_2633 Depth=3
	v_or_b32_e32 v3, 0x10000, v34
	v_cmp_eq_u32_sdwa vcc, v34, v2 src0_sel:WORD_0 src1_sel:DWORD
	v_cndmask_b32_e32 v3, v3, v34, vcc
; %bb.2694:                             ;   in Loop: Header=BB8_2633 Depth=3
	s_or_b64 exec, exec, s[92:93]
	v_and_b32_e32 v1, 0xffff0000, v1
	v_lshlrev_b32_e32 v34, 16, v25
	v_add_f32_e32 v34, v34, v1
	v_and_b32_e32 v1, 0x7f800000, v34
	v_cmp_ne_u32_e32 vcc, s87, v1
                                        ; implicit-def: $vgpr1
	s_and_saveexec_b64 s[44:45], vcc
	s_xor_b64 s[92:93], exec, s[44:45]
; %bb.2695:                             ;   in Loop: Header=BB8_2633 Depth=3
	v_bfe_u32 v1, v34, 16, 1
	v_add3_u32 v1, v34, v1, s96
                                        ; implicit-def: $vgpr34
; %bb.2696:                             ;   in Loop: Header=BB8_2633 Depth=3
	s_andn2_saveexec_b64 s[92:93], s[92:93]
; %bb.2697:                             ;   in Loop: Header=BB8_2633 Depth=3
	v_or_b32_e32 v1, 0x10000, v34
	v_cmp_eq_u32_sdwa vcc, v34, v2 src0_sel:WORD_0 src1_sel:DWORD
	v_cndmask_b32_e32 v1, v1, v34, vcc
; %bb.2698:                             ;   in Loop: Header=BB8_2633 Depth=3
	s_or_b64 exec, exec, s[92:93]
	v_lshrrev_b32_e32 v45, 16, v0
	v_lshrrev_b32_e32 v34, 16, v3
	;; [unrolled: 1-line block ×8, first 2 shown]
	flat_store_short v[8:9], v45 glc slc
	flat_store_short v[8:9], v43 offset:128 glc slc
	flat_store_short v[8:9], v50 offset:256 glc slc
	;; [unrolled: 1-line block ×7, first 2 shown]
	flat_store_short v[6:7], v45 glc slc
	flat_store_short v[6:7], v43 offset:128 glc slc
	flat_store_short v[6:7], v50 offset:256 glc slc
	;; [unrolled: 1-line block ×7, first 2 shown]
	buffer_load_dword v0, off, s[0:3], s33 offset:136 ; 4-byte Folded Reload
	buffer_load_dword v1, off, s[0:3], s33 offset:140 ; 4-byte Folded Reload
	s_waitcnt vmcnt(0)
	v_add_co_u32_e32 v8, vcc, v8, v0
	v_addc_co_u32_e32 v9, vcc, v9, v1, vcc
	v_add_co_u32_e32 v6, vcc, v6, v0
	v_addc_co_u32_e32 v7, vcc, v7, v1, vcc
.LBB8_2699:                             ;   in Loop: Header=BB8_2633 Depth=3
	s_or_b64 exec, exec, s[94:95]
	buffer_load_dword v0, off, s[0:3], s33 offset:136 ; 4-byte Folded Reload
	buffer_load_dword v1, off, s[0:3], s33 offset:140 ; 4-byte Folded Reload
	s_waitcnt vmcnt(0)
	v_add_co_u32_e32 v10, vcc, v10, v0
	v_addc_co_u32_e32 v11, vcc, v11, v1, vcc
	v_add_co_u32_e32 v12, vcc, v12, v0
	buffer_load_dword v0, off, s[0:3], s33 offset:128 ; 4-byte Folded Reload
	v_addc_co_u32_e32 v13, vcc, v13, v1, vcc
	s_waitcnt vmcnt(0)
	v_sub_u32_e32 v17, v17, v0
	v_cmp_lt_i32_e64 s[92:93], 0, v17
	s_and_saveexec_b64 s[94:95], s[92:93]
	s_cbranch_execz .LBB8_2701
; %bb.2700:                             ;   in Loop: Header=BB8_2633 Depth=3
	flat_load_ushort v45, v[10:11] glc slc
	flat_load_ushort v43, v[10:11] offset:128 glc slc
	flat_load_ushort v50, v[10:11] offset:256 glc slc
	;; [unrolled: 1-line block ×7, first 2 shown]
	flat_load_ushort v18, v[12:13] glc slc
	flat_load_ushort v19, v[12:13] offset:128 glc slc
	flat_load_ushort v20, v[12:13] offset:256 glc slc
	;; [unrolled: 1-line block ×7, first 2 shown]
	v_add_co_u32_e32 v10, vcc, 0x400, v10
	v_addc_co_u32_e32 v11, vcc, 0, v11, vcc
	v_add_co_u32_e32 v12, vcc, 0x400, v12
	v_addc_co_u32_e32 v13, vcc, 0, v13, vcc
.LBB8_2701:                             ;   in Loop: Header=BB8_2633 Depth=3
	s_or_b64 exec, exec, s[94:95]
	s_trap 2
	ds_read_b32 v0, v0
	s_waitcnt lgkmcnt(0)
	v_lshlrev_b32_e32 v1, 16, v0
	v_lshlrev_b32_e32 v0, 16, v16
	v_mul_f32_e32 v3, v0, v1
	v_and_b32_e32 v0, 0x7f800000, v3
	v_cmp_ne_u32_e32 vcc, s87, v0
                                        ; implicit-def: $vgpr0
	s_and_saveexec_b64 s[44:45], vcc
	s_xor_b64 s[94:95], exec, s[44:45]
; %bb.2702:                             ;   in Loop: Header=BB8_2633 Depth=3
	v_bfe_u32 v0, v3, 16, 1
	v_add3_u32 v0, v3, v0, s96
                                        ; implicit-def: $vgpr3
; %bb.2703:                             ;   in Loop: Header=BB8_2633 Depth=3
	s_andn2_saveexec_b64 s[94:95], s[94:95]
; %bb.2704:                             ;   in Loop: Header=BB8_2633 Depth=3
	v_or_b32_e32 v0, 0x10000, v3
	v_cmp_eq_u32_sdwa vcc, v3, v2 src0_sel:WORD_0 src1_sel:DWORD
	v_cndmask_b32_e32 v0, v0, v3, vcc
; %bb.2705:                             ;   in Loop: Header=BB8_2633 Depth=3
	s_or_b64 exec, exec, s[94:95]
	v_lshlrev_b32_e32 v3, 16, v5
	v_mul_f32_e32 v3, v3, v1
	v_and_b32_e32 v5, 0x7f800000, v3
	v_cmp_ne_u32_e32 vcc, s87, v5
                                        ; implicit-def: $vgpr42
	s_and_saveexec_b64 s[44:45], vcc
	s_xor_b64 s[94:95], exec, s[44:45]
; %bb.2706:                             ;   in Loop: Header=BB8_2633 Depth=3
	v_bfe_u32 v5, v3, 16, 1
	v_add3_u32 v42, v3, v5, s96
                                        ; implicit-def: $vgpr3
; %bb.2707:                             ;   in Loop: Header=BB8_2633 Depth=3
	s_andn2_saveexec_b64 s[94:95], s[94:95]
; %bb.2708:                             ;   in Loop: Header=BB8_2633 Depth=3
	v_or_b32_e32 v5, 0x10000, v3
	v_cmp_eq_u32_sdwa vcc, v3, v2 src0_sel:WORD_0 src1_sel:DWORD
	v_cndmask_b32_e32 v42, v5, v3, vcc
; %bb.2709:                             ;   in Loop: Header=BB8_2633 Depth=3
	s_or_b64 exec, exec, s[94:95]
	v_lshlrev_b32_e32 v3, 16, v61
	v_mul_f32_e32 v3, v3, v1
	v_and_b32_e32 v5, 0x7f800000, v3
	v_cmp_ne_u32_e32 vcc, s87, v5
                                        ; implicit-def: $vgpr31
	s_and_saveexec_b64 s[44:45], vcc
	s_xor_b64 s[94:95], exec, s[44:45]
; %bb.2710:                             ;   in Loop: Header=BB8_2633 Depth=3
	v_bfe_u32 v5, v3, 16, 1
	v_add3_u32 v31, v3, v5, s96
                                        ; implicit-def: $vgpr3
; %bb.2711:                             ;   in Loop: Header=BB8_2633 Depth=3
	s_andn2_saveexec_b64 s[94:95], s[94:95]
; %bb.2712:                             ;   in Loop: Header=BB8_2633 Depth=3
	v_or_b32_e32 v5, 0x10000, v3
	v_cmp_eq_u32_sdwa vcc, v3, v2 src0_sel:WORD_0 src1_sel:DWORD
	v_cndmask_b32_e32 v31, v5, v3, vcc
; %bb.2713:                             ;   in Loop: Header=BB8_2633 Depth=3
	s_or_b64 exec, exec, s[94:95]
	v_lshlrev_b32_e32 v3, 16, v60
	v_mul_f32_e32 v3, v3, v1
	v_and_b32_e32 v5, 0x7f800000, v3
	v_cmp_ne_u32_e32 vcc, s87, v5
                                        ; implicit-def: $vgpr30
	s_and_saveexec_b64 s[44:45], vcc
	s_xor_b64 s[94:95], exec, s[44:45]
; %bb.2714:                             ;   in Loop: Header=BB8_2633 Depth=3
	v_bfe_u32 v5, v3, 16, 1
	v_add3_u32 v30, v3, v5, s96
                                        ; implicit-def: $vgpr3
; %bb.2715:                             ;   in Loop: Header=BB8_2633 Depth=3
	s_andn2_saveexec_b64 s[94:95], s[94:95]
; %bb.2716:                             ;   in Loop: Header=BB8_2633 Depth=3
	v_or_b32_e32 v5, 0x10000, v3
	v_cmp_eq_u32_sdwa vcc, v3, v2 src0_sel:WORD_0 src1_sel:DWORD
	v_cndmask_b32_e32 v30, v5, v3, vcc
; %bb.2717:                             ;   in Loop: Header=BB8_2633 Depth=3
	s_or_b64 exec, exec, s[94:95]
	v_lshlrev_b32_e32 v3, 16, v59
	v_mul_f32_e32 v3, v3, v1
	v_and_b32_e32 v5, 0x7f800000, v3
	v_cmp_ne_u32_e32 vcc, s87, v5
                                        ; implicit-def: $vgpr16
	s_and_saveexec_b64 s[44:45], vcc
	s_xor_b64 s[94:95], exec, s[44:45]
; %bb.2718:                             ;   in Loop: Header=BB8_2633 Depth=3
	v_bfe_u32 v5, v3, 16, 1
	v_add3_u32 v16, v3, v5, s96
                                        ; implicit-def: $vgpr3
; %bb.2719:                             ;   in Loop: Header=BB8_2633 Depth=3
	s_andn2_saveexec_b64 s[94:95], s[94:95]
; %bb.2720:                             ;   in Loop: Header=BB8_2633 Depth=3
	v_or_b32_e32 v5, 0x10000, v3
	v_cmp_eq_u32_sdwa vcc, v3, v2 src0_sel:WORD_0 src1_sel:DWORD
	v_cndmask_b32_e32 v16, v5, v3, vcc
; %bb.2721:                             ;   in Loop: Header=BB8_2633 Depth=3
	s_or_b64 exec, exec, s[94:95]
	v_lshlrev_b32_e32 v3, 16, v44
	v_mul_f32_e32 v3, v3, v1
	v_and_b32_e32 v5, 0x7f800000, v3
	v_cmp_ne_u32_e32 vcc, s87, v5
                                        ; implicit-def: $vgpr5
	s_and_saveexec_b64 s[44:45], vcc
	s_xor_b64 s[94:95], exec, s[44:45]
; %bb.2722:                             ;   in Loop: Header=BB8_2633 Depth=3
	v_bfe_u32 v5, v3, 16, 1
	v_add3_u32 v5, v3, v5, s96
                                        ; implicit-def: $vgpr3
; %bb.2723:                             ;   in Loop: Header=BB8_2633 Depth=3
	s_andn2_saveexec_b64 s[94:95], s[94:95]
; %bb.2724:                             ;   in Loop: Header=BB8_2633 Depth=3
	v_or_b32_e32 v5, 0x10000, v3
	v_cmp_eq_u32_sdwa vcc, v3, v2 src0_sel:WORD_0 src1_sel:DWORD
	v_cndmask_b32_e32 v5, v5, v3, vcc
; %bb.2725:                             ;   in Loop: Header=BB8_2633 Depth=3
	s_or_b64 exec, exec, s[94:95]
	v_lshlrev_b32_e32 v3, 16, v51
	v_mul_f32_e32 v51, v3, v1
	v_and_b32_e32 v3, 0x7f800000, v51
	v_cmp_ne_u32_e32 vcc, s87, v3
                                        ; implicit-def: $vgpr3
	s_and_saveexec_b64 s[44:45], vcc
	s_xor_b64 s[94:95], exec, s[44:45]
; %bb.2726:                             ;   in Loop: Header=BB8_2633 Depth=3
	v_bfe_u32 v3, v51, 16, 1
	v_add3_u32 v3, v51, v3, s96
                                        ; implicit-def: $vgpr51
; %bb.2727:                             ;   in Loop: Header=BB8_2633 Depth=3
	s_andn2_saveexec_b64 s[94:95], s[94:95]
; %bb.2728:                             ;   in Loop: Header=BB8_2633 Depth=3
	v_or_b32_e32 v3, 0x10000, v51
	v_cmp_eq_u32_sdwa vcc, v51, v2 src0_sel:WORD_0 src1_sel:DWORD
	v_cndmask_b32_e32 v3, v3, v51, vcc
; %bb.2729:                             ;   in Loop: Header=BB8_2633 Depth=3
	s_or_b64 exec, exec, s[94:95]
	v_lshlrev_b32_e32 v49, 16, v49
	v_mul_f32_e32 v49, v49, v1
	v_and_b32_e32 v1, 0x7f800000, v49
	v_cmp_ne_u32_e32 vcc, s87, v1
                                        ; implicit-def: $vgpr1
	s_and_saveexec_b64 s[44:45], vcc
	s_xor_b64 s[94:95], exec, s[44:45]
; %bb.2730:                             ;   in Loop: Header=BB8_2633 Depth=3
	v_bfe_u32 v1, v49, 16, 1
	v_add3_u32 v1, v49, v1, s96
                                        ; implicit-def: $vgpr49
; %bb.2731:                             ;   in Loop: Header=BB8_2633 Depth=3
	s_andn2_saveexec_b64 s[94:95], s[94:95]
; %bb.2732:                             ;   in Loop: Header=BB8_2633 Depth=3
	v_or_b32_e32 v1, 0x10000, v49
	v_cmp_eq_u32_sdwa vcc, v49, v2 src0_sel:WORD_0 src1_sel:DWORD
	v_cndmask_b32_e32 v1, v1, v49, vcc
; %bb.2733:                             ;   in Loop: Header=BB8_2633 Depth=3
	s_or_b64 exec, exec, s[94:95]
	v_and_b32_e32 v0, 0xffff0000, v0
	v_lshlrev_b32_e32 v39, 16, v39
	v_add_f32_e32 v39, v39, v0
	v_and_b32_e32 v0, 0x7f800000, v39
	v_cmp_ne_u32_e32 vcc, s87, v0
                                        ; implicit-def: $vgpr0
	s_and_saveexec_b64 s[44:45], vcc
	s_xor_b64 s[94:95], exec, s[44:45]
; %bb.2734:                             ;   in Loop: Header=BB8_2633 Depth=3
	v_bfe_u32 v0, v39, 16, 1
	v_add3_u32 v0, v39, v0, s96
                                        ; implicit-def: $vgpr39
; %bb.2735:                             ;   in Loop: Header=BB8_2633 Depth=3
	s_andn2_saveexec_b64 s[94:95], s[94:95]
; %bb.2736:                             ;   in Loop: Header=BB8_2633 Depth=3
	v_or_b32_e32 v0, 0x10000, v39
	v_cmp_eq_u32_sdwa vcc, v39, v2 src0_sel:WORD_0 src1_sel:DWORD
	v_cndmask_b32_e32 v0, v0, v39, vcc
; %bb.2737:                             ;   in Loop: Header=BB8_2633 Depth=3
	s_or_b64 exec, exec, s[94:95]
	v_and_b32_e32 v39, 0xffff0000, v42
	v_lshlrev_b32_e32 v37, 16, v37
	v_add_f32_e32 v39, v37, v39
	v_and_b32_e32 v37, 0x7f800000, v39
	v_cmp_ne_u32_e32 vcc, s87, v37
                                        ; implicit-def: $vgpr37
	s_and_saveexec_b64 s[44:45], vcc
	s_xor_b64 s[94:95], exec, s[44:45]
; %bb.2738:                             ;   in Loop: Header=BB8_2633 Depth=3
	v_bfe_u32 v37, v39, 16, 1
	v_add3_u32 v37, v39, v37, s96
                                        ; implicit-def: $vgpr39
; %bb.2739:                             ;   in Loop: Header=BB8_2633 Depth=3
	s_andn2_saveexec_b64 s[94:95], s[94:95]
; %bb.2740:                             ;   in Loop: Header=BB8_2633 Depth=3
	v_or_b32_e32 v37, 0x10000, v39
	v_cmp_eq_u32_sdwa vcc, v39, v2 src0_sel:WORD_0 src1_sel:DWORD
	v_cndmask_b32_e32 v37, v37, v39, vcc
; %bb.2741:                             ;   in Loop: Header=BB8_2633 Depth=3
	s_or_b64 exec, exec, s[94:95]
	v_and_b32_e32 v31, 0xffff0000, v31
	v_lshlrev_b32_e32 v35, 16, v35
	v_add_f32_e32 v35, v35, v31
	v_and_b32_e32 v31, 0x7f800000, v35
	v_cmp_ne_u32_e32 vcc, s87, v31
                                        ; implicit-def: $vgpr31
	s_and_saveexec_b64 s[44:45], vcc
	s_xor_b64 s[94:95], exec, s[44:45]
; %bb.2742:                             ;   in Loop: Header=BB8_2633 Depth=3
	v_bfe_u32 v31, v35, 16, 1
	v_add3_u32 v31, v35, v31, s96
                                        ; implicit-def: $vgpr35
; %bb.2743:                             ;   in Loop: Header=BB8_2633 Depth=3
	s_andn2_saveexec_b64 s[94:95], s[94:95]
; %bb.2744:                             ;   in Loop: Header=BB8_2633 Depth=3
	v_or_b32_e32 v31, 0x10000, v35
	v_cmp_eq_u32_sdwa vcc, v35, v2 src0_sel:WORD_0 src1_sel:DWORD
	v_cndmask_b32_e32 v31, v31, v35, vcc
; %bb.2745:                             ;   in Loop: Header=BB8_2633 Depth=3
	s_or_b64 exec, exec, s[94:95]
	v_and_b32_e32 v30, 0xffff0000, v30
	v_lshlrev_b32_e32 v33, 16, v33
	v_add_f32_e32 v33, v33, v30
	v_and_b32_e32 v30, 0x7f800000, v33
	v_cmp_ne_u32_e32 vcc, s87, v30
                                        ; implicit-def: $vgpr30
	s_and_saveexec_b64 s[44:45], vcc
	s_xor_b64 s[94:95], exec, s[44:45]
; %bb.2746:                             ;   in Loop: Header=BB8_2633 Depth=3
	v_bfe_u32 v30, v33, 16, 1
	v_add3_u32 v30, v33, v30, s96
                                        ; implicit-def: $vgpr33
; %bb.2747:                             ;   in Loop: Header=BB8_2633 Depth=3
	s_andn2_saveexec_b64 s[94:95], s[94:95]
; %bb.2748:                             ;   in Loop: Header=BB8_2633 Depth=3
	v_or_b32_e32 v30, 0x10000, v33
	v_cmp_eq_u32_sdwa vcc, v33, v2 src0_sel:WORD_0 src1_sel:DWORD
	v_cndmask_b32_e32 v30, v30, v33, vcc
; %bb.2749:                             ;   in Loop: Header=BB8_2633 Depth=3
	s_or_b64 exec, exec, s[94:95]
	v_and_b32_e32 v16, 0xffff0000, v16
	v_lshlrev_b32_e32 v29, 16, v29
	v_add_f32_e32 v29, v29, v16
	v_and_b32_e32 v16, 0x7f800000, v29
	v_cmp_ne_u32_e32 vcc, s87, v16
                                        ; implicit-def: $vgpr16
	s_and_saveexec_b64 s[44:45], vcc
	s_xor_b64 s[94:95], exec, s[44:45]
; %bb.2750:                             ;   in Loop: Header=BB8_2633 Depth=3
	v_bfe_u32 v16, v29, 16, 1
	v_add3_u32 v16, v29, v16, s96
                                        ; implicit-def: $vgpr29
; %bb.2751:                             ;   in Loop: Header=BB8_2633 Depth=3
	s_andn2_saveexec_b64 s[94:95], s[94:95]
; %bb.2752:                             ;   in Loop: Header=BB8_2633 Depth=3
	v_or_b32_e32 v16, 0x10000, v29
	v_cmp_eq_u32_sdwa vcc, v29, v2 src0_sel:WORD_0 src1_sel:DWORD
	v_cndmask_b32_e32 v16, v16, v29, vcc
; %bb.2753:                             ;   in Loop: Header=BB8_2633 Depth=3
	s_or_b64 exec, exec, s[94:95]
	v_and_b32_e32 v5, 0xffff0000, v5
	v_lshlrev_b32_e32 v28, 16, v28
	v_add_f32_e32 v28, v28, v5
	v_and_b32_e32 v5, 0x7f800000, v28
	v_cmp_ne_u32_e32 vcc, s87, v5
                                        ; implicit-def: $vgpr5
	s_and_saveexec_b64 s[44:45], vcc
	s_xor_b64 s[94:95], exec, s[44:45]
; %bb.2754:                             ;   in Loop: Header=BB8_2633 Depth=3
	v_bfe_u32 v5, v28, 16, 1
	v_add3_u32 v5, v28, v5, s96
                                        ; implicit-def: $vgpr28
; %bb.2755:                             ;   in Loop: Header=BB8_2633 Depth=3
	s_andn2_saveexec_b64 s[94:95], s[94:95]
; %bb.2756:                             ;   in Loop: Header=BB8_2633 Depth=3
	v_or_b32_e32 v5, 0x10000, v28
	v_cmp_eq_u32_sdwa vcc, v28, v2 src0_sel:WORD_0 src1_sel:DWORD
	v_cndmask_b32_e32 v5, v5, v28, vcc
; %bb.2757:                             ;   in Loop: Header=BB8_2633 Depth=3
	s_or_b64 exec, exec, s[94:95]
	v_and_b32_e32 v3, 0xffff0000, v3
	v_lshlrev_b32_e32 v27, 16, v27
	v_add_f32_e32 v27, v27, v3
	v_and_b32_e32 v3, 0x7f800000, v27
	v_cmp_ne_u32_e32 vcc, s87, v3
                                        ; implicit-def: $vgpr3
	s_and_saveexec_b64 s[44:45], vcc
	s_xor_b64 s[94:95], exec, s[44:45]
; %bb.2758:                             ;   in Loop: Header=BB8_2633 Depth=3
	v_bfe_u32 v3, v27, 16, 1
	v_add3_u32 v3, v27, v3, s96
                                        ; implicit-def: $vgpr27
; %bb.2759:                             ;   in Loop: Header=BB8_2633 Depth=3
	s_andn2_saveexec_b64 s[94:95], s[94:95]
; %bb.2760:                             ;   in Loop: Header=BB8_2633 Depth=3
	v_or_b32_e32 v3, 0x10000, v27
	v_cmp_eq_u32_sdwa vcc, v27, v2 src0_sel:WORD_0 src1_sel:DWORD
	v_cndmask_b32_e32 v3, v3, v27, vcc
; %bb.2761:                             ;   in Loop: Header=BB8_2633 Depth=3
	s_or_b64 exec, exec, s[94:95]
	v_and_b32_e32 v1, 0xffff0000, v1
	v_lshlrev_b32_e32 v26, 16, v26
	v_add_f32_e32 v26, v26, v1
	v_and_b32_e32 v1, 0x7f800000, v26
	v_cmp_ne_u32_e32 vcc, s87, v1
                                        ; implicit-def: $vgpr1
	s_and_saveexec_b64 s[44:45], vcc
	s_xor_b64 s[94:95], exec, s[44:45]
; %bb.2762:                             ;   in Loop: Header=BB8_2633 Depth=3
	v_bfe_u32 v1, v26, 16, 1
	v_add3_u32 v1, v26, v1, s96
                                        ; implicit-def: $vgpr26
; %bb.2763:                             ;   in Loop: Header=BB8_2633 Depth=3
	s_andn2_saveexec_b64 s[94:95], s[94:95]
; %bb.2764:                             ;   in Loop: Header=BB8_2633 Depth=3
	v_or_b32_e32 v1, 0x10000, v26
	v_cmp_eq_u32_sdwa vcc, v26, v2 src0_sel:WORD_0 src1_sel:DWORD
	v_cndmask_b32_e32 v1, v1, v26, vcc
; %bb.2765:                             ;   in Loop: Header=BB8_2633 Depth=3
	s_or_b64 exec, exec, s[94:95]
	v_lshrrev_b32_e32 v0, 16, v0
	v_lshrrev_b32_e32 v3, 16, v3
	;; [unrolled: 1-line block ×8, first 2 shown]
	flat_store_short v[8:9], v0 glc slc
	flat_store_short v[8:9], v28 offset:128 glc slc
	flat_store_short v[8:9], v27 offset:256 glc slc
	;; [unrolled: 1-line block ×7, first 2 shown]
	v_add_co_u32_e32 v8, vcc, s55, v8
	v_addc_co_u32_e32 v9, vcc, 0, v9, vcc
	flat_store_short v[6:7], v0 glc slc
	flat_store_short v[6:7], v28 offset:128 glc slc
	flat_store_short v[6:7], v27 offset:256 glc slc
	;; [unrolled: 1-line block ×7, first 2 shown]
	v_add_co_u32_e32 v6, vcc, 0x400, v6
	v_addc_co_u32_e32 v7, vcc, 0, v7, vcc
	s_and_saveexec_b64 s[94:95], s[92:93]
	s_cbranch_execz .LBB8_2632
; %bb.2766:                             ;   in Loop: Header=BB8_2633 Depth=3
	buffer_load_dword v0, off, s[0:3], s33 offset:128 ; 4-byte Folded Reload
	v_add_co_u32_e32 v8, vcc, v8, v54
	v_addc_co_u32_e32 v9, vcc, v9, v55, vcc
	v_add_co_u32_e32 v6, vcc, v6, v54
	v_addc_co_u32_e32 v7, vcc, v7, v55, vcc
	;; [unrolled: 2-line block ×4, first 2 shown]
	s_waitcnt vmcnt(0)
	v_sub_u32_e32 v17, v17, v0
	s_branch .LBB8_2632
.LBB8_2767:                             ;   in Loop: Header=BB8_1939 Depth=2
	s_or_b64 exec, exec, s[90:91]
	s_waitcnt vmcnt(0)
	v_lshlrev_b32_e32 v27, 16, v36
	buffer_load_dword v36, off, s[0:3], s33 offset:388 ; 4-byte Folded Reload
	buffer_load_dword v37, off, s[0:3], s33 offset:392 ; 4-byte Folded Reload
	v_lshlrev_b32_e32 v33, 16, v45
	v_lshlrev_b32_e32 v31, 16, v43
	;; [unrolled: 1-line block ×15, first 2 shown]
	s_and_b64 s[40:41], s[40:41], exec
.LBB8_2768:                             ;   in Loop: Header=BB8_1939 Depth=2
	s_or_b64 exec, exec, s[28:29]
	s_and_saveexec_b64 s[28:29], s[40:41]
	s_cbranch_execz .LBB8_2834
; %bb.2769:                             ;   in Loop: Header=BB8_1939 Depth=2
	s_trap 2
	ds_read_b32 v18, v0
                                        ; implicit-def: $vgpr23
	s_waitcnt lgkmcnt(0)
	v_lshlrev_b32_e32 v25, 16, v18
	v_mul_f32_e32 v18, v33, v25
	v_and_b32_e32 v19, 0x7f800000, v18
	v_cmp_ne_u32_e32 vcc, s87, v19
	s_and_saveexec_b64 s[40:41], vcc
	s_xor_b64 s[40:41], exec, s[40:41]
; %bb.2770:                             ;   in Loop: Header=BB8_1939 Depth=2
	v_bfe_u32 v19, v18, 16, 1
	v_add3_u32 v23, v18, v19, s96
                                        ; implicit-def: $vgpr18
; %bb.2771:                             ;   in Loop: Header=BB8_1939 Depth=2
	s_andn2_saveexec_b64 s[40:41], s[40:41]
; %bb.2772:                             ;   in Loop: Header=BB8_1939 Depth=2
	v_or_b32_e32 v19, 0x10000, v18
	v_cmp_eq_u32_sdwa vcc, v18, v2 src0_sel:WORD_0 src1_sel:DWORD
	v_cndmask_b32_e32 v23, v19, v18, vcc
; %bb.2773:                             ;   in Loop: Header=BB8_1939 Depth=2
	s_or_b64 exec, exec, s[40:41]
	v_mul_f32_e32 v18, v31, v25
	v_and_b32_e32 v19, 0x7f800000, v18
	v_cmp_ne_u32_e32 vcc, s87, v19
                                        ; implicit-def: $vgpr24
	s_and_saveexec_b64 s[40:41], vcc
	s_xor_b64 s[40:41], exec, s[40:41]
; %bb.2774:                             ;   in Loop: Header=BB8_1939 Depth=2
	v_bfe_u32 v19, v18, 16, 1
	v_add3_u32 v24, v18, v19, s96
                                        ; implicit-def: $vgpr18
; %bb.2775:                             ;   in Loop: Header=BB8_1939 Depth=2
	s_andn2_saveexec_b64 s[40:41], s[40:41]
; %bb.2776:                             ;   in Loop: Header=BB8_1939 Depth=2
	v_or_b32_e32 v19, 0x10000, v18
	v_cmp_eq_u32_sdwa vcc, v18, v2 src0_sel:WORD_0 src1_sel:DWORD
	v_cndmask_b32_e32 v24, v19, v18, vcc
; %bb.2777:                             ;   in Loop: Header=BB8_1939 Depth=2
	s_or_b64 exec, exec, s[40:41]
	v_mul_f32_e32 v18, v30, v25
	v_and_b32_e32 v19, 0x7f800000, v18
	v_cmp_ne_u32_e32 vcc, s87, v19
                                        ; implicit-def: $vgpr22
	s_and_saveexec_b64 s[40:41], vcc
	s_xor_b64 s[40:41], exec, s[40:41]
; %bb.2778:                             ;   in Loop: Header=BB8_1939 Depth=2
	v_bfe_u32 v19, v18, 16, 1
	v_add3_u32 v22, v18, v19, s96
                                        ; implicit-def: $vgpr18
; %bb.2779:                             ;   in Loop: Header=BB8_1939 Depth=2
	s_andn2_saveexec_b64 s[40:41], s[40:41]
; %bb.2780:                             ;   in Loop: Header=BB8_1939 Depth=2
	v_or_b32_e32 v19, 0x10000, v18
	v_cmp_eq_u32_sdwa vcc, v18, v2 src0_sel:WORD_0 src1_sel:DWORD
	v_cndmask_b32_e32 v22, v19, v18, vcc
; %bb.2781:                             ;   in Loop: Header=BB8_1939 Depth=2
	s_or_b64 exec, exec, s[40:41]
	v_mul_f32_e32 v18, v29, v25
	v_and_b32_e32 v19, 0x7f800000, v18
	v_cmp_ne_u32_e32 vcc, s87, v19
                                        ; implicit-def: $vgpr21
	s_and_saveexec_b64 s[40:41], vcc
	s_xor_b64 s[40:41], exec, s[40:41]
; %bb.2782:                             ;   in Loop: Header=BB8_1939 Depth=2
	v_bfe_u32 v19, v18, 16, 1
	v_add3_u32 v21, v18, v19, s96
                                        ; implicit-def: $vgpr18
; %bb.2783:                             ;   in Loop: Header=BB8_1939 Depth=2
	s_andn2_saveexec_b64 s[40:41], s[40:41]
; %bb.2784:                             ;   in Loop: Header=BB8_1939 Depth=2
	v_or_b32_e32 v19, 0x10000, v18
	v_cmp_eq_u32_sdwa vcc, v18, v2 src0_sel:WORD_0 src1_sel:DWORD
	v_cndmask_b32_e32 v21, v19, v18, vcc
; %bb.2785:                             ;   in Loop: Header=BB8_1939 Depth=2
	s_or_b64 exec, exec, s[40:41]
	v_mul_f32_e32 v18, v28, v25
	v_and_b32_e32 v19, 0x7f800000, v18
	v_cmp_ne_u32_e32 vcc, s87, v19
                                        ; implicit-def: $vgpr20
	s_and_saveexec_b64 s[40:41], vcc
	s_xor_b64 s[40:41], exec, s[40:41]
; %bb.2786:                             ;   in Loop: Header=BB8_1939 Depth=2
	v_bfe_u32 v19, v18, 16, 1
	v_add3_u32 v20, v18, v19, s96
                                        ; implicit-def: $vgpr18
; %bb.2787:                             ;   in Loop: Header=BB8_1939 Depth=2
	s_andn2_saveexec_b64 s[40:41], s[40:41]
; %bb.2788:                             ;   in Loop: Header=BB8_1939 Depth=2
	v_or_b32_e32 v19, 0x10000, v18
	v_cmp_eq_u32_sdwa vcc, v18, v2 src0_sel:WORD_0 src1_sel:DWORD
	v_cndmask_b32_e32 v20, v19, v18, vcc
; %bb.2789:                             ;   in Loop: Header=BB8_1939 Depth=2
	s_or_b64 exec, exec, s[40:41]
	v_mul_f32_e32 v18, v27, v25
	v_and_b32_e32 v19, 0x7f800000, v18
	v_cmp_ne_u32_e32 vcc, s87, v19
                                        ; implicit-def: $vgpr19
	s_and_saveexec_b64 s[40:41], vcc
	s_xor_b64 s[40:41], exec, s[40:41]
; %bb.2790:                             ;   in Loop: Header=BB8_1939 Depth=2
	v_bfe_u32 v19, v18, 16, 1
	v_add3_u32 v19, v18, v19, s96
                                        ; implicit-def: $vgpr18
; %bb.2791:                             ;   in Loop: Header=BB8_1939 Depth=2
	s_andn2_saveexec_b64 s[40:41], s[40:41]
; %bb.2792:                             ;   in Loop: Header=BB8_1939 Depth=2
	v_or_b32_e32 v19, 0x10000, v18
	v_cmp_eq_u32_sdwa vcc, v18, v2 src0_sel:WORD_0 src1_sel:DWORD
	v_cndmask_b32_e32 v19, v19, v18, vcc
; %bb.2793:                             ;   in Loop: Header=BB8_1939 Depth=2
	s_or_b64 exec, exec, s[40:41]
	v_mul_f32_e32 v26, v26, v25
	v_and_b32_e32 v18, 0x7f800000, v26
	v_cmp_ne_u32_e32 vcc, s87, v18
                                        ; implicit-def: $vgpr18
	s_and_saveexec_b64 s[40:41], vcc
	s_xor_b64 s[40:41], exec, s[40:41]
; %bb.2794:                             ;   in Loop: Header=BB8_1939 Depth=2
	v_bfe_u32 v18, v26, 16, 1
	v_add3_u32 v18, v26, v18, s96
                                        ; implicit-def: $vgpr26
; %bb.2795:                             ;   in Loop: Header=BB8_1939 Depth=2
	s_andn2_saveexec_b64 s[40:41], s[40:41]
; %bb.2796:                             ;   in Loop: Header=BB8_1939 Depth=2
	v_or_b32_e32 v18, 0x10000, v26
	v_cmp_eq_u32_sdwa vcc, v26, v2 src0_sel:WORD_0 src1_sel:DWORD
	v_cndmask_b32_e32 v18, v18, v26, vcc
; %bb.2797:                             ;   in Loop: Header=BB8_1939 Depth=2
	s_or_b64 exec, exec, s[40:41]
	v_mul_f32_e32 v25, v16, v25
	v_and_b32_e32 v16, 0x7f800000, v25
	v_cmp_ne_u32_e32 vcc, s87, v16
                                        ; implicit-def: $vgpr16
	s_and_saveexec_b64 s[40:41], vcc
	s_xor_b64 s[40:41], exec, s[40:41]
; %bb.2798:                             ;   in Loop: Header=BB8_1939 Depth=2
	v_bfe_u32 v16, v25, 16, 1
	v_add3_u32 v16, v25, v16, s96
                                        ; implicit-def: $vgpr25
; %bb.2799:                             ;   in Loop: Header=BB8_1939 Depth=2
	s_andn2_saveexec_b64 s[40:41], s[40:41]
; %bb.2800:                             ;   in Loop: Header=BB8_1939 Depth=2
	v_or_b32_e32 v16, 0x10000, v25
	v_cmp_eq_u32_sdwa vcc, v25, v2 src0_sel:WORD_0 src1_sel:DWORD
	v_cndmask_b32_e32 v16, v16, v25, vcc
; %bb.2801:                             ;   in Loop: Header=BB8_1939 Depth=2
	s_or_b64 exec, exec, s[40:41]
	v_and_b32_e32 v23, 0xffff0000, v23
	v_add_f32_e32 v23, v13, v23
	v_and_b32_e32 v13, 0x7f800000, v23
	v_cmp_ne_u32_e32 vcc, s87, v13
                                        ; implicit-def: $vgpr13
	s_and_saveexec_b64 s[40:41], vcc
	s_xor_b64 s[40:41], exec, s[40:41]
; %bb.2802:                             ;   in Loop: Header=BB8_1939 Depth=2
	v_bfe_u32 v13, v23, 16, 1
	v_add3_u32 v13, v23, v13, s96
                                        ; implicit-def: $vgpr23
; %bb.2803:                             ;   in Loop: Header=BB8_1939 Depth=2
	s_andn2_saveexec_b64 s[40:41], s[40:41]
; %bb.2804:                             ;   in Loop: Header=BB8_1939 Depth=2
	v_or_b32_e32 v13, 0x10000, v23
	v_cmp_eq_u32_sdwa vcc, v23, v2 src0_sel:WORD_0 src1_sel:DWORD
	v_cndmask_b32_e32 v13, v13, v23, vcc
; %bb.2805:                             ;   in Loop: Header=BB8_1939 Depth=2
	s_or_b64 exec, exec, s[40:41]
	v_and_b32_e32 v23, 0xffff0000, v24
	v_add_f32_e32 v23, v12, v23
	v_and_b32_e32 v12, 0x7f800000, v23
	v_cmp_ne_u32_e32 vcc, s87, v12
                                        ; implicit-def: $vgpr12
	s_and_saveexec_b64 s[40:41], vcc
	s_xor_b64 s[40:41], exec, s[40:41]
; %bb.2806:                             ;   in Loop: Header=BB8_1939 Depth=2
	v_bfe_u32 v12, v23, 16, 1
	v_add3_u32 v12, v23, v12, s96
                                        ; implicit-def: $vgpr23
; %bb.2807:                             ;   in Loop: Header=BB8_1939 Depth=2
	s_andn2_saveexec_b64 s[40:41], s[40:41]
; %bb.2808:                             ;   in Loop: Header=BB8_1939 Depth=2
	v_or_b32_e32 v12, 0x10000, v23
	v_cmp_eq_u32_sdwa vcc, v23, v2 src0_sel:WORD_0 src1_sel:DWORD
	v_cndmask_b32_e32 v12, v12, v23, vcc
; %bb.2809:                             ;   in Loop: Header=BB8_1939 Depth=2
	s_or_b64 exec, exec, s[40:41]
	v_and_b32_e32 v22, 0xffff0000, v22
	v_add_f32_e32 v22, v11, v22
	v_and_b32_e32 v11, 0x7f800000, v22
	v_cmp_ne_u32_e32 vcc, s87, v11
                                        ; implicit-def: $vgpr11
	s_and_saveexec_b64 s[40:41], vcc
	s_xor_b64 s[40:41], exec, s[40:41]
; %bb.2810:                             ;   in Loop: Header=BB8_1939 Depth=2
	v_bfe_u32 v11, v22, 16, 1
	v_add3_u32 v11, v22, v11, s96
                                        ; implicit-def: $vgpr22
; %bb.2811:                             ;   in Loop: Header=BB8_1939 Depth=2
	s_andn2_saveexec_b64 s[40:41], s[40:41]
; %bb.2812:                             ;   in Loop: Header=BB8_1939 Depth=2
	v_or_b32_e32 v11, 0x10000, v22
	v_cmp_eq_u32_sdwa vcc, v22, v2 src0_sel:WORD_0 src1_sel:DWORD
	v_cndmask_b32_e32 v11, v11, v22, vcc
; %bb.2813:                             ;   in Loop: Header=BB8_1939 Depth=2
	s_or_b64 exec, exec, s[40:41]
	v_and_b32_e32 v21, 0xffff0000, v21
	v_add_f32_e32 v21, v10, v21
	v_and_b32_e32 v10, 0x7f800000, v21
	v_cmp_ne_u32_e32 vcc, s87, v10
                                        ; implicit-def: $vgpr10
	s_and_saveexec_b64 s[40:41], vcc
	s_xor_b64 s[40:41], exec, s[40:41]
; %bb.2814:                             ;   in Loop: Header=BB8_1939 Depth=2
	v_bfe_u32 v10, v21, 16, 1
	v_add3_u32 v10, v21, v10, s96
                                        ; implicit-def: $vgpr21
; %bb.2815:                             ;   in Loop: Header=BB8_1939 Depth=2
	s_andn2_saveexec_b64 s[40:41], s[40:41]
; %bb.2816:                             ;   in Loop: Header=BB8_1939 Depth=2
	v_or_b32_e32 v10, 0x10000, v21
	v_cmp_eq_u32_sdwa vcc, v21, v2 src0_sel:WORD_0 src1_sel:DWORD
	v_cndmask_b32_e32 v10, v10, v21, vcc
; %bb.2817:                             ;   in Loop: Header=BB8_1939 Depth=2
	s_or_b64 exec, exec, s[40:41]
	v_and_b32_e32 v20, 0xffff0000, v20
	v_add_f32_e32 v20, v3, v20
	v_and_b32_e32 v3, 0x7f800000, v20
	v_cmp_ne_u32_e32 vcc, s87, v3
                                        ; implicit-def: $vgpr3
	s_and_saveexec_b64 s[40:41], vcc
	s_xor_b64 s[40:41], exec, s[40:41]
; %bb.2818:                             ;   in Loop: Header=BB8_1939 Depth=2
	v_bfe_u32 v3, v20, 16, 1
	v_add3_u32 v3, v20, v3, s96
                                        ; implicit-def: $vgpr20
; %bb.2819:                             ;   in Loop: Header=BB8_1939 Depth=2
	s_andn2_saveexec_b64 s[40:41], s[40:41]
; %bb.2820:                             ;   in Loop: Header=BB8_1939 Depth=2
	v_or_b32_e32 v3, 0x10000, v20
	v_cmp_eq_u32_sdwa vcc, v20, v2 src0_sel:WORD_0 src1_sel:DWORD
	v_cndmask_b32_e32 v3, v3, v20, vcc
; %bb.2821:                             ;   in Loop: Header=BB8_1939 Depth=2
	s_or_b64 exec, exec, s[40:41]
	v_and_b32_e32 v19, 0xffff0000, v19
	v_add_f32_e32 v19, v1, v19
	v_and_b32_e32 v1, 0x7f800000, v19
	v_cmp_ne_u32_e32 vcc, s87, v1
                                        ; implicit-def: $vgpr1
	s_and_saveexec_b64 s[40:41], vcc
	s_xor_b64 s[40:41], exec, s[40:41]
; %bb.2822:                             ;   in Loop: Header=BB8_1939 Depth=2
	v_bfe_u32 v1, v19, 16, 1
	v_add3_u32 v1, v19, v1, s96
                                        ; implicit-def: $vgpr19
; %bb.2823:                             ;   in Loop: Header=BB8_1939 Depth=2
	s_andn2_saveexec_b64 s[40:41], s[40:41]
; %bb.2824:                             ;   in Loop: Header=BB8_1939 Depth=2
	v_or_b32_e32 v1, 0x10000, v19
	v_cmp_eq_u32_sdwa vcc, v19, v2 src0_sel:WORD_0 src1_sel:DWORD
	v_cndmask_b32_e32 v1, v1, v19, vcc
; %bb.2825:                             ;   in Loop: Header=BB8_1939 Depth=2
	s_or_b64 exec, exec, s[40:41]
	v_and_b32_e32 v18, 0xffff0000, v18
	v_add_f32_e32 v18, v0, v18
	v_and_b32_e32 v0, 0x7f800000, v18
	v_cmp_ne_u32_e32 vcc, s87, v0
                                        ; implicit-def: $vgpr0
	s_and_saveexec_b64 s[40:41], vcc
	s_xor_b64 s[40:41], exec, s[40:41]
; %bb.2826:                             ;   in Loop: Header=BB8_1939 Depth=2
	v_bfe_u32 v0, v18, 16, 1
	v_add3_u32 v0, v18, v0, s96
                                        ; implicit-def: $vgpr18
; %bb.2827:                             ;   in Loop: Header=BB8_1939 Depth=2
	s_andn2_saveexec_b64 s[40:41], s[40:41]
; %bb.2828:                             ;   in Loop: Header=BB8_1939 Depth=2
	v_or_b32_e32 v0, 0x10000, v18
	v_cmp_eq_u32_sdwa vcc, v18, v2 src0_sel:WORD_0 src1_sel:DWORD
	v_cndmask_b32_e32 v0, v0, v18, vcc
; %bb.2829:                             ;   in Loop: Header=BB8_1939 Depth=2
	s_or_b64 exec, exec, s[40:41]
	v_and_b32_e32 v16, 0xffff0000, v16
	v_add_f32_e32 v16, v5, v16
	v_and_b32_e32 v5, 0x7f800000, v16
	v_cmp_ne_u32_e32 vcc, s87, v5
                                        ; implicit-def: $vgpr5
	s_and_saveexec_b64 s[40:41], vcc
	s_xor_b64 s[40:41], exec, s[40:41]
; %bb.2830:                             ;   in Loop: Header=BB8_1939 Depth=2
	v_bfe_u32 v5, v16, 16, 1
	v_add3_u32 v5, v16, v5, s96
                                        ; implicit-def: $vgpr16
; %bb.2831:                             ;   in Loop: Header=BB8_1939 Depth=2
	s_andn2_saveexec_b64 s[40:41], s[40:41]
; %bb.2832:                             ;   in Loop: Header=BB8_1939 Depth=2
	v_or_b32_e32 v5, 0x10000, v16
	v_cmp_eq_u32_sdwa vcc, v16, v2 src0_sel:WORD_0 src1_sel:DWORD
	v_cndmask_b32_e32 v5, v5, v16, vcc
; %bb.2833:                             ;   in Loop: Header=BB8_1939 Depth=2
	s_or_b64 exec, exec, s[40:41]
	v_lshrrev_b32_e32 v13, 16, v13
	v_lshrrev_b32_e32 v0, 16, v0
	;; [unrolled: 1-line block ×8, first 2 shown]
	flat_store_short v[8:9], v13 glc slc
	flat_store_short v[8:9], v12 offset:128 glc slc
	flat_store_short v[8:9], v11 offset:256 glc slc
	;; [unrolled: 1-line block ×7, first 2 shown]
	flat_store_short v[6:7], v13 glc slc
	flat_store_short v[6:7], v12 offset:128 glc slc
	flat_store_short v[6:7], v11 offset:256 glc slc
	;; [unrolled: 1-line block ×7, first 2 shown]
.LBB8_2834:                             ;   in Loop: Header=BB8_1939 Depth=2
	s_or_b64 exec, exec, s[28:29]
	v_lshlrev_b32_e32 v0, 10, v4
	v_cmp_ne_u32_e32 vcc, v15, v0
	s_and_b64 s[28:29], exec, vcc
	v_mov_b32_e32 v29, v52
	v_mov_b32_e32 v31, v53
	s_mov_b64 exec, s[28:29]
	s_cbranch_execz .LBB8_2878
; %bb.2835:                             ;   in Loop: Header=BB8_1939 Depth=2
	v_lshlrev_b32_e32 v1, 6, v17
	v_sub_u32_e32 v1, v57, v1
	v_ashrrev_i32_e32 v3, 31, v1
	v_lshrrev_b32_e32 v3, 26, v3
	v_add_u32_e32 v3, v1, v3
	v_and_b32_e32 v4, 0x7fffffc0, v3
	v_sub_u32_e32 v1, v1, v4
	v_lshlrev_b32_e32 v3, 1, v3
	v_and_b32_e32 v3, 0xffffff80, v3
	v_lshlrev_b32_e32 v1, 1, v1
	v_add3_u32 v0, v3, v1, v0
	v_sub_u32_e32 v5, v15, v0
	v_cmp_lt_i32_e32 vcc, 1, v5
	s_and_b64 exec, exec, vcc
	s_cbranch_execz .LBB8_2878
; %bb.2836:                             ;   in Loop: Header=BB8_1939 Depth=2
	s_trap 2
	ds_read_b64 v[9:10], v0
	v_add_u32_e32 v3, v0, v14
	buffer_load_dword v0, off, s[0:3], s33 offset:328 ; 4-byte Folded Reload
	buffer_load_dword v1, off, s[0:3], s33 offset:332 ; 4-byte Folded Reload
	;; [unrolled: 1-line block ×4, first 2 shown]
	v_ashrrev_i32_e32 v11, 31, v3
	s_mov_b64 s[94:95], 0
	s_mov_b64 s[90:91], 0
                                        ; implicit-def: $sgpr92_sgpr93
	s_waitcnt vmcnt(0)
	v_add_co_u32_e32 v4, vcc, v0, v3
	v_addc_co_u32_e32 v6, vcc, v1, v11, vcc
	v_add_co_u32_e32 v0, vcc, v36, v3
	v_addc_co_u32_e32 v1, vcc, v37, v11, vcc
	;; [unrolled: 2-line block ×3, first 2 shown]
	s_waitcnt lgkmcnt(0)
	v_add_co_u32_e32 v9, vcc, v9, v3
	v_addc_co_u32_e32 v10, vcc, v10, v11, vcc
	s_branch .LBB8_2838
.LBB8_2837:                             ;   in Loop: Header=BB8_2838 Depth=3
	s_or_b64 exec, exec, s[28:29]
	v_cmp_gt_i32_e32 vcc, 2, v5
	s_or_b64 s[90:91], vcc, s[90:91]
	s_andn2_b64 s[28:29], s[92:93], exec
	s_and_b64 s[40:41], s[94:95], exec
	s_or_b64 s[92:93], s[28:29], s[40:41]
	s_andn2_b64 exec, exec, s[90:91]
	s_cbranch_execz .LBB8_2867
.LBB8_2838:                             ;   Parent Loop BB8_47 Depth=1
                                        ;     Parent Loop BB8_1939 Depth=2
                                        ; =>    This Loop Header: Depth=3
                                        ;         Child Loop BB8_2839 Depth 4
                                        ;         Child Loop BB8_2850 Depth 4
	;; [unrolled: 1-line block ×4, first 2 shown]
	s_lshr_b32 s44, s33, 6
	s_add_i32 s44, s44, 64
	s_mov_b64 s[40:41], -1
	s_mov_b64 s[30:31], 0
.LBB8_2839:                             ;   Parent Loop BB8_47 Depth=1
                                        ;     Parent Loop BB8_1939 Depth=2
                                        ;       Parent Loop BB8_2838 Depth=3
                                        ; =>      This Inner Loop Header: Depth=4
	s_cmp_eq_u32 s30, 1
	s_cselect_b64 s[28:29], -1, 0
	v_cndmask_b32_e64 v12, v8, v10, s[28:29]
	v_cndmask_b32_e64 v11, v7, v9, s[28:29]
	flat_load_ushort v3, v[11:12] glc slc
	v_mov_b32_e32 v13, s44
	s_cmp_eq_u32 s30, 0
	s_mov_b64 s[30:31], 1
	s_waitcnt vmcnt(0) lgkmcnt(0)
	buffer_store_short v3, v13, s[0:3], 0 offen
	v_add_co_u32_e32 v3, vcc, 0x80, v11
	v_addc_co_u32_e32 v11, vcc, 0, v12, vcc
	s_cselect_b64 vcc, -1, 0
	s_lshr_b32 s44, s33, 6
	s_addk_i32 s44, 0x60
	v_cndmask_b32_e32 v8, v8, v11, vcc
	v_cndmask_b32_e32 v7, v7, v3, vcc
	v_cndmask_b32_e64 v10, v10, v11, s[28:29]
	v_cndmask_b32_e64 v9, v9, v3, s[28:29]
	s_and_b64 vcc, exec, s[40:41]
	s_mov_b64 s[40:41], 0
	s_cbranch_vccnz .LBB8_2839
; %bb.2840:                             ;   in Loop: Header=BB8_2838 Depth=3
	s_and_saveexec_b64 s[30:31], s[94:95]
	s_cbranch_execz .LBB8_2852
; %bb.2841:                             ;   in Loop: Header=BB8_2838 Depth=3
	s_trap 2
	buffer_load_ushort v3, off, s[0:3], s33 offset:56
	ds_read_b32 v11, v0
	s_waitcnt lgkmcnt(0)
	v_lshlrev_b32_e32 v11, 16, v11
	s_waitcnt vmcnt(0)
	v_lshlrev_b32_e32 v3, 16, v3
	v_mul_f32_e32 v11, v11, v3
	v_and_b32_e32 v3, 0x7f800000, v11
	v_cmp_ne_u32_e32 vcc, s87, v3
                                        ; implicit-def: $vgpr3
	s_and_saveexec_b64 s[28:29], vcc
	s_xor_b64 s[28:29], exec, s[28:29]
; %bb.2842:                             ;   in Loop: Header=BB8_2838 Depth=3
	v_bfe_u32 v3, v11, 16, 1
	v_add3_u32 v3, v11, v3, s96
                                        ; implicit-def: $vgpr11
; %bb.2843:                             ;   in Loop: Header=BB8_2838 Depth=3
	s_andn2_saveexec_b64 s[28:29], s[28:29]
; %bb.2844:                             ;   in Loop: Header=BB8_2838 Depth=3
	v_or_b32_e32 v3, 0x10000, v11
	v_cmp_eq_u32_sdwa vcc, v11, v2 src0_sel:WORD_0 src1_sel:DWORD
	v_cndmask_b32_e32 v3, v3, v11, vcc
; %bb.2845:                             ;   in Loop: Header=BB8_2838 Depth=3
	s_or_b64 exec, exec, s[28:29]
	buffer_load_ushort v11, off, s[0:3], s33 offset:58
	v_and_b32_e32 v3, 0xffff0000, v3
	s_waitcnt vmcnt(0)
	v_lshlrev_b32_e32 v11, 16, v11
	v_add_f32_e32 v3, v3, v11
	v_and_b32_e32 v11, 0x7f800000, v3
	v_cmp_ne_u32_e32 vcc, s87, v11
                                        ; implicit-def: $vgpr11
	s_and_saveexec_b64 s[28:29], vcc
	s_xor_b64 s[28:29], exec, s[28:29]
; %bb.2846:                             ;   in Loop: Header=BB8_2838 Depth=3
	v_bfe_u32 v11, v3, 16, 1
	v_add3_u32 v11, v3, v11, s96
                                        ; implicit-def: $vgpr3
; %bb.2847:                             ;   in Loop: Header=BB8_2838 Depth=3
	s_andn2_saveexec_b64 s[28:29], s[28:29]
; %bb.2848:                             ;   in Loop: Header=BB8_2838 Depth=3
	v_or_b32_e32 v11, 0x10000, v3
	v_cmp_eq_u32_sdwa vcc, v3, v2 src0_sel:WORD_0 src1_sel:DWORD
	v_cndmask_b32_e32 v11, v11, v3, vcc
; %bb.2849:                             ;   in Loop: Header=BB8_2838 Depth=3
	s_or_b64 exec, exec, s[28:29]
	v_lshrrev_b32_e32 v3, 16, v11
	s_mov_b64 s[34:35], 0
	s_mov_b64 s[94:95], -1
	buffer_store_short v3, off, s[0:3], s33 offset:56
.LBB8_2850:                             ;   Parent Loop BB8_47 Depth=1
                                        ;     Parent Loop BB8_1939 Depth=2
                                        ;       Parent Loop BB8_2838 Depth=3
                                        ; =>      This Inner Loop Header: Depth=4
	s_cmp_eq_u32 s34, 1
	s_cselect_b64 s[28:29], -1, 0
	v_cndmask_b32_e64 v12, v6, v1, s[28:29]
	v_cndmask_b32_e64 v11, v4, v0, s[28:29]
	flat_store_short v[11:12], v3 glc slc
	v_add_co_u32_e32 v11, vcc, 0x80, v11
	s_cmp_eq_u32 s34, 0
	v_addc_co_u32_e32 v12, vcc, 0, v12, vcc
	s_cselect_b64 vcc, -1, 0
	s_and_b64 s[40:41], exec, s[94:95]
	s_mov_b64 s[34:35], 1
	v_cndmask_b32_e64 v0, v0, v11, s[28:29]
	s_mov_b64 s[94:95], 0
	v_cndmask_b32_e64 v1, v1, v12, s[28:29]
	v_cndmask_b32_e32 v6, v6, v12, vcc
	v_cndmask_b32_e32 v4, v4, v11, vcc
	s_mov_b64 vcc, s[40:41]
	s_cbranch_vccnz .LBB8_2850
; %bb.2851:                             ;   in Loop: Header=BB8_2838 Depth=3
	buffer_load_dword v11, off, s[0:3], s33 offset:184 ; 4-byte Folded Reload
	buffer_load_dword v12, off, s[0:3], s33 offset:188 ; 4-byte Folded Reload
	s_waitcnt vmcnt(0)
	v_add_co_u32_e32 v4, vcc, v4, v11
	v_addc_co_u32_e32 v6, vcc, v6, v12, vcc
	v_add_co_u32_e32 v0, vcc, v0, v11
	v_addc_co_u32_e32 v1, vcc, v1, v12, vcc
.LBB8_2852:                             ;   in Loop: Header=BB8_2838 Depth=3
	s_or_b64 exec, exec, s[30:31]
	buffer_load_dword v11, off, s[0:3], s33 offset:184 ; 4-byte Folded Reload
	buffer_load_dword v12, off, s[0:3], s33 offset:188 ; 4-byte Folded Reload
	;; [unrolled: 1-line block ×3, first 2 shown]
	s_waitcnt vmcnt(0)
	v_add_co_u32_e32 v7, vcc, v7, v11
	v_addc_co_u32_e32 v8, vcc, v8, v12, vcc
	v_add_co_u32_e32 v9, vcc, v9, v11
	v_sub_u32_e32 v5, v5, v3
	v_addc_co_u32_e32 v10, vcc, v10, v12, vcc
	v_cmp_lt_i32_e64 s[94:95], 1, v5
	s_and_saveexec_b64 s[40:41], s[94:95]
	s_cbranch_execz .LBB8_2855
; %bb.2853:                             ;   in Loop: Header=BB8_2838 Depth=3
	s_lshr_b32 s44, s33, 6
	s_add_i32 s44, s44, 56
	s_mov_b64 s[34:35], 0
	s_mov_b64 s[30:31], -1
.LBB8_2854:                             ;   Parent Loop BB8_47 Depth=1
                                        ;     Parent Loop BB8_1939 Depth=2
                                        ;       Parent Loop BB8_2838 Depth=3
                                        ; =>      This Inner Loop Header: Depth=4
	s_cmp_eq_u32 s34, 1
	s_cselect_b64 s[28:29], -1, 0
	v_cndmask_b32_e64 v12, v8, v10, s[28:29]
	v_cndmask_b32_e64 v11, v7, v9, s[28:29]
	flat_load_ushort v3, v[11:12] glc slc
	v_mov_b32_e32 v13, s44
	s_cmp_eq_u32 s34, 0
	s_mov_b64 s[34:35], 1
	s_waitcnt vmcnt(0) lgkmcnt(0)
	buffer_store_short v3, v13, s[0:3], 0 offen
	v_add_co_u32_e32 v3, vcc, 0x80, v11
	v_addc_co_u32_e32 v11, vcc, 0, v12, vcc
	s_cselect_b64 vcc, -1, 0
	s_lshr_b32 s44, s33, 6
	s_add_i32 s44, s44, 58
	v_cndmask_b32_e32 v8, v8, v11, vcc
	v_cndmask_b32_e32 v7, v7, v3, vcc
	v_cndmask_b32_e64 v10, v10, v11, s[28:29]
	v_cndmask_b32_e64 v9, v9, v3, s[28:29]
	s_and_b64 vcc, exec, s[30:31]
	s_mov_b64 s[30:31], 0
	s_cbranch_vccnz .LBB8_2854
.LBB8_2855:                             ;   in Loop: Header=BB8_2838 Depth=3
	s_or_b64 exec, exec, s[40:41]
	s_trap 2
	buffer_load_ushort v3, off, s[0:3], s33 offset:64
	ds_read_b32 v11, v0
	s_waitcnt lgkmcnt(0)
	v_lshlrev_b32_e32 v11, 16, v11
	s_waitcnt vmcnt(0)
	v_lshlrev_b32_e32 v3, 16, v3
	v_mul_f32_e32 v3, v11, v3
	v_and_b32_e32 v11, 0x7f800000, v3
	v_cmp_ne_u32_e32 vcc, s87, v11
                                        ; implicit-def: $vgpr11
	s_and_saveexec_b64 s[28:29], vcc
	s_xor_b64 s[28:29], exec, s[28:29]
; %bb.2856:                             ;   in Loop: Header=BB8_2838 Depth=3
	v_bfe_u32 v11, v3, 16, 1
	v_add3_u32 v11, v3, v11, s96
                                        ; implicit-def: $vgpr3
; %bb.2857:                             ;   in Loop: Header=BB8_2838 Depth=3
	s_andn2_saveexec_b64 s[28:29], s[28:29]
; %bb.2858:                             ;   in Loop: Header=BB8_2838 Depth=3
	v_or_b32_e32 v11, 0x10000, v3
	v_cmp_eq_u32_sdwa vcc, v3, v2 src0_sel:WORD_0 src1_sel:DWORD
	v_cndmask_b32_e32 v11, v11, v3, vcc
; %bb.2859:                             ;   in Loop: Header=BB8_2838 Depth=3
	s_or_b64 exec, exec, s[28:29]
	buffer_load_ushort v3, off, s[0:3], s33 offset:96
	v_and_b32_e32 v11, 0xffff0000, v11
	s_waitcnt vmcnt(0)
	v_lshlrev_b32_e32 v3, 16, v3
	v_add_f32_e32 v3, v11, v3
	v_and_b32_e32 v11, 0x7f800000, v3
	v_cmp_ne_u32_e32 vcc, s87, v11
                                        ; implicit-def: $vgpr11
	s_and_saveexec_b64 s[28:29], vcc
	s_xor_b64 s[28:29], exec, s[28:29]
; %bb.2860:                             ;   in Loop: Header=BB8_2838 Depth=3
	v_bfe_u32 v11, v3, 16, 1
	v_add3_u32 v11, v3, v11, s96
                                        ; implicit-def: $vgpr3
; %bb.2861:                             ;   in Loop: Header=BB8_2838 Depth=3
	s_andn2_saveexec_b64 s[28:29], s[28:29]
; %bb.2862:                             ;   in Loop: Header=BB8_2838 Depth=3
	v_or_b32_e32 v11, 0x10000, v3
	v_cmp_eq_u32_sdwa vcc, v3, v2 src0_sel:WORD_0 src1_sel:DWORD
	v_cndmask_b32_e32 v11, v11, v3, vcc
; %bb.2863:                             ;   in Loop: Header=BB8_2838 Depth=3
	s_or_b64 exec, exec, s[28:29]
	v_lshrrev_b32_e32 v3, 16, v11
	s_mov_b64 s[34:35], 0
	s_mov_b64 s[30:31], -1
	buffer_store_short v3, off, s[0:3], s33 offset:64
.LBB8_2864:                             ;   Parent Loop BB8_47 Depth=1
                                        ;     Parent Loop BB8_1939 Depth=2
                                        ;       Parent Loop BB8_2838 Depth=3
                                        ; =>      This Inner Loop Header: Depth=4
	s_cmp_eq_u32 s34, 1
	s_cselect_b64 s[28:29], -1, 0
	v_cndmask_b32_e64 v12, v6, v1, s[28:29]
	v_cndmask_b32_e64 v11, v4, v0, s[28:29]
	flat_store_short v[11:12], v3 glc slc
	v_add_co_u32_e32 v11, vcc, 0x80, v11
	s_cmp_eq_u32 s34, 0
	v_addc_co_u32_e32 v12, vcc, 0, v12, vcc
	s_cselect_b64 vcc, -1, 0
	s_and_b64 s[40:41], exec, s[30:31]
	s_mov_b64 s[34:35], 1
	v_cndmask_b32_e64 v0, v0, v11, s[28:29]
	s_mov_b64 s[30:31], 0
	v_cndmask_b32_e64 v1, v1, v12, s[28:29]
	v_cndmask_b32_e32 v6, v6, v12, vcc
	v_cndmask_b32_e32 v4, v4, v11, vcc
	s_mov_b64 vcc, s[40:41]
	s_cbranch_vccnz .LBB8_2864
; %bb.2865:                             ;   in Loop: Header=BB8_2838 Depth=3
	s_and_saveexec_b64 s[28:29], s[94:95]
	s_cbranch_execz .LBB8_2837
; %bb.2866:                             ;   in Loop: Header=BB8_2838 Depth=3
	buffer_load_dword v11, off, s[0:3], s33 offset:184 ; 4-byte Folded Reload
	buffer_load_dword v12, off, s[0:3], s33 offset:188 ; 4-byte Folded Reload
	;; [unrolled: 1-line block ×3, first 2 shown]
	s_waitcnt vmcnt(0)
	v_add_co_u32_e32 v4, vcc, v4, v11
	v_addc_co_u32_e32 v6, vcc, v6, v12, vcc
	v_add_co_u32_e32 v0, vcc, v0, v11
	v_addc_co_u32_e32 v1, vcc, v1, v12, vcc
	;; [unrolled: 2-line block ×4, first 2 shown]
	v_sub_u32_e32 v5, v5, v3
	s_branch .LBB8_2837
.LBB8_2867:                             ;   in Loop: Header=BB8_1939 Depth=2
	s_or_b64 exec, exec, s[90:91]
	s_and_b64 exec, exec, s[92:93]
	s_cbranch_execz .LBB8_2878
; %bb.2868:                             ;   in Loop: Header=BB8_1939 Depth=2
	s_trap 2
	buffer_load_ushort v3, off, s[0:3], s33 offset:56
	ds_read_b32 v5, v0
	s_waitcnt lgkmcnt(0)
	v_lshlrev_b32_e32 v5, 16, v5
	s_waitcnt vmcnt(0)
	v_lshlrev_b32_e32 v3, 16, v3
	v_mul_f32_e32 v5, v5, v3
	v_and_b32_e32 v3, 0x7f800000, v5
	v_cmp_ne_u32_e32 vcc, s87, v3
                                        ; implicit-def: $vgpr3
	s_and_saveexec_b64 s[28:29], vcc
	s_xor_b64 s[28:29], exec, s[28:29]
; %bb.2869:                             ;   in Loop: Header=BB8_1939 Depth=2
	v_bfe_u32 v3, v5, 16, 1
	v_add3_u32 v3, v5, v3, s96
                                        ; implicit-def: $vgpr5
; %bb.2870:                             ;   in Loop: Header=BB8_1939 Depth=2
	s_andn2_saveexec_b64 s[28:29], s[28:29]
; %bb.2871:                             ;   in Loop: Header=BB8_1939 Depth=2
	v_or_b32_e32 v3, 0x10000, v5
	v_cmp_eq_u32_sdwa vcc, v5, v2 src0_sel:WORD_0 src1_sel:DWORD
	v_cndmask_b32_e32 v3, v3, v5, vcc
; %bb.2872:                             ;   in Loop: Header=BB8_1939 Depth=2
	s_or_b64 exec, exec, s[28:29]
	buffer_load_ushort v5, off, s[0:3], s33 offset:58
	v_and_b32_e32 v3, 0xffff0000, v3
	s_waitcnt vmcnt(0)
	v_lshlrev_b32_e32 v5, 16, v5
	v_add_f32_e32 v3, v3, v5
	v_and_b32_e32 v5, 0x7f800000, v3
	v_cmp_ne_u32_e32 vcc, s87, v5
                                        ; implicit-def: $vgpr5
	s_and_saveexec_b64 s[28:29], vcc
	s_xor_b64 s[28:29], exec, s[28:29]
; %bb.2873:                             ;   in Loop: Header=BB8_1939 Depth=2
	v_bfe_u32 v5, v3, 16, 1
	v_add3_u32 v5, v3, v5, s96
                                        ; implicit-def: $vgpr3
; %bb.2874:                             ;   in Loop: Header=BB8_1939 Depth=2
	s_andn2_saveexec_b64 s[28:29], s[28:29]
; %bb.2875:                             ;   in Loop: Header=BB8_1939 Depth=2
	v_or_b32_e32 v5, 0x10000, v3
	v_cmp_eq_u32_sdwa vcc, v3, v2 src0_sel:WORD_0 src1_sel:DWORD
	v_cndmask_b32_e32 v5, v5, v3, vcc
; %bb.2876:                             ;   in Loop: Header=BB8_1939 Depth=2
	s_or_b64 exec, exec, s[28:29]
	v_lshrrev_b32_e32 v3, 16, v5
	s_mov_b64 s[92:93], 0
	s_mov_b64 s[90:91], -1
.LBB8_2877:                             ;   Parent Loop BB8_47 Depth=1
                                        ;     Parent Loop BB8_1939 Depth=2
                                        ; =>    This Inner Loop Header: Depth=3
	s_cmp_eq_u32 s92, 1
	s_cselect_b64 s[28:29], -1, 0
	v_cndmask_b32_e64 v7, v4, v0, s[28:29]
	v_cndmask_b32_e64 v8, v6, v1, s[28:29]
	v_add_co_u32_e32 v5, vcc, 0x80, v7
	s_cmp_eq_u32 s92, 0
	flat_store_short v[7:8], v3 glc slc
	v_addc_co_u32_e32 v7, vcc, 0, v8, vcc
	s_cselect_b64 vcc, -1, 0
	s_and_b64 s[40:41], exec, s[90:91]
	s_mov_b64 s[92:93], 1
	v_cndmask_b32_e64 v0, v0, v5, s[28:29]
	s_mov_b64 s[90:91], 0
	v_cndmask_b32_e64 v1, v1, v7, s[28:29]
	v_cndmask_b32_e32 v6, v6, v7, vcc
	v_cndmask_b32_e32 v4, v4, v5, vcc
	s_mov_b64 vcc, s[40:41]
	s_cbranch_vccnz .LBB8_2877
.LBB8_2878:                             ;   in Loop: Header=BB8_1939 Depth=2
	s_or_b64 exec, exec, s[42:43]
	s_mov_b64 s[28:29], 0
.LBB8_2879:                             ;   in Loop: Header=BB8_1939 Depth=2
	s_and_b64 vcc, exec, s[28:29]
	s_cbranch_vccz .LBB8_3734
; %bb.2880:                             ;   in Loop: Header=BB8_1939 Depth=2
	s_mov_b64 s[28:29], -1
	s_and_saveexec_b64 s[40:41], s[22:23]
	s_cbranch_execz .LBB8_2882
; %bb.2881:                             ;   in Loop: Header=BB8_1939 Depth=2
	s_waitcnt vmcnt(0)
	ds_read_b32 v0, v0 offset:720
	s_waitcnt lgkmcnt(0)
	v_and_b32_e32 v0, 15, v0
	v_cmp_eq_u32_e32 vcc, 0, v0
	s_orn2_b64 s[28:29], vcc, exec
.LBB8_2882:                             ;   in Loop: Header=BB8_1939 Depth=2
	s_or_b64 exec, exec, s[40:41]
	s_and_saveexec_b64 s[40:41], s[18:19]
	s_cbranch_execz .LBB8_2884
; %bb.2883:                             ;   in Loop: Header=BB8_1939 Depth=2
	s_waitcnt vmcnt(0)
	ds_read_b32 v0, v0 offset:784
	s_waitcnt lgkmcnt(0)
	v_and_b32_e32 v0, 15, v0
	v_cmp_eq_u32_e32 vcc, 0, v0
	s_and_b64 s[42:43], s[28:29], vcc
	s_andn2_b64 s[28:29], s[28:29], exec
	s_and_b64 s[42:43], s[42:43], exec
	s_or_b64 s[28:29], s[28:29], s[42:43]
.LBB8_2884:                             ;   in Loop: Header=BB8_1939 Depth=2
	s_or_b64 exec, exec, s[40:41]
	s_xor_b64 s[28:29], s[28:29], -1
	s_waitcnt vmcnt(0)
	v_cndmask_b32_e64 v0, 0, 1, s[28:29]
	s_mov_b64 s[40:41], -1
	v_cmp_ne_u32_e32 vcc, 0, v0
	s_cbranch_vccz .LBB8_3149
; %bb.2885:                             ;   in Loop: Header=BB8_1939 Depth=2
	s_mov_b64 s[42:43], -1
	v_mov_b32_e32 v10, 0
	s_cbranch_execnz .LBB8_3150
.LBB8_2886:                             ;   in Loop: Header=BB8_1939 Depth=2
	buffer_store_dword v31, off, s[0:3], s33 offset:380 ; 4-byte Folded Spill
	s_nop 0
	buffer_store_dword v32, off, s[0:3], s33 offset:384 ; 4-byte Folded Spill
	buffer_store_dword v29, off, s[0:3], s33 offset:372 ; 4-byte Folded Spill
	s_nop 0
	buffer_store_dword v30, off, s[0:3], s33 offset:376 ; 4-byte Folded Spill
	buffer_load_dword v1, off, s[0:3], s33 offset:312 ; 4-byte Folded Reload
	s_mov_b64 s[40:41], 0
                                        ; implicit-def: $vgpr32_vgpr33
                                        ; implicit-def: $vgpr16_vgpr17
	s_waitcnt vmcnt(0)
	v_ashrrev_i32_e32 v0, 31, v1
	v_lshrrev_b32_e32 v0, 21, v0
	v_add_u32_e32 v0, v1, v0
	v_ashrrev_i32_e32 v29, 11, v0
	buffer_load_dword v0, off, s[0:3], s33 offset:308 ; 4-byte Folded Reload
	s_waitcnt vmcnt(0)
	v_sub_u32_e32 v44, v29, v0
	buffer_load_dword v0, off, s[0:3], s33 offset:300 ; 4-byte Folded Reload
	buffer_load_dword v3, off, s[0:3], s33 offset:328 ; 4-byte Folded Reload
	;; [unrolled: 1-line block ×3, first 2 shown]
	s_waitcnt vmcnt(0)
	v_add_co_u32_e32 v0, vcc, v3, v0
	v_addc_co_u32_e32 v1, vcc, 0, v4, vcc
	v_cmp_lt_i32_e32 vcc, 0, v44
                                        ; implicit-def: $vgpr3_vgpr4
	buffer_store_dword v3, off, s[0:3], s33 offset:276 ; 4-byte Folded Spill
	s_nop 0
	buffer_store_dword v4, off, s[0:3], s33 offset:280 ; 4-byte Folded Spill
	buffer_store_dword v5, off, s[0:3], s33 offset:284 ; 4-byte Folded Spill
	;; [unrolled: 1-line block ×3, first 2 shown]
                                        ; implicit-def: $vgpr3_vgpr4
	buffer_store_dword v3, off, s[0:3], s33 offset:240 ; 4-byte Folded Spill
	s_nop 0
	buffer_store_dword v4, off, s[0:3], s33 offset:244 ; 4-byte Folded Spill
	buffer_store_dword v5, off, s[0:3], s33 offset:248 ; 4-byte Folded Spill
	;; [unrolled: 1-line block ×3, first 2 shown]
	s_and_saveexec_b64 s[28:29], vcc
	s_cbranch_execz .LBB8_3152
; %bb.2887:                             ;   in Loop: Header=BB8_1939 Depth=2
	buffer_store_dword v29, off, s[0:3], s33 offset:388 ; 4-byte Folded Spill
	s_trap 2
	ds_read_b64 v[3:4], v0
	buffer_load_dword v8, off, s[0:3], s33 offset:300 ; 4-byte Folded Reload
	buffer_load_dword v6, off, s[0:3], s33 offset:320 ; 4-byte Folded Reload
	;; [unrolled: 1-line block ×3, first 2 shown]
	ds_read_b32 v5, v0
	s_mov_b64 s[92:93], 0
                                        ; implicit-def: $sgpr90_sgpr91
                                        ; implicit-def: $vgpr32_vgpr33
                                        ; implicit-def: $vgpr16_vgpr17
	s_waitcnt vmcnt(0)
	v_add_co_u32_e32 v6, vcc, v6, v8
	v_addc_co_u32_e32 v7, vcc, 0, v7, vcc
	s_waitcnt lgkmcnt(0)
	v_add_co_u32_e32 v28, vcc, v3, v8
	v_addc_co_u32_e32 v29, vcc, 0, v4, vcc
	v_lshlrev_b32_e32 v4, 16, v5
                                        ; implicit-def: $vgpr8_vgpr9
	buffer_store_dword v8, off, s[0:3], s33 offset:276 ; 4-byte Folded Spill
	s_nop 0
	buffer_store_dword v9, off, s[0:3], s33 offset:280 ; 4-byte Folded Spill
	buffer_store_dword v10, off, s[0:3], s33 offset:284 ; 4-byte Folded Spill
	;; [unrolled: 1-line block ×3, first 2 shown]
                                        ; implicit-def: $vgpr8_vgpr9
	buffer_store_dword v8, off, s[0:3], s33 offset:240 ; 4-byte Folded Spill
	s_nop 0
	buffer_store_dword v9, off, s[0:3], s33 offset:244 ; 4-byte Folded Spill
	buffer_store_dword v10, off, s[0:3], s33 offset:248 ; 4-byte Folded Spill
	;; [unrolled: 1-line block ×3, first 2 shown]
	s_branch .LBB8_2889
.LBB8_2888:                             ;   in Loop: Header=BB8_2889 Depth=3
	s_or_b64 exec, exec, s[94:95]
	v_lshrrev_b32_e32 v5, 16, v5
	v_lshrrev_b32_e32 v9, 16, v24
	v_and_or_b32 v23, v3, s97, v5
	v_lshrrev_b32_e32 v3, 16, v30
	v_and_or_b32 v24, v25, s97, v9
	v_and_or_b32 v25, v26, s97, v3
	v_lshrrev_b32_e32 v3, 16, v31
	v_and_or_b32 v26, v27, s97, v3
	v_lshrrev_b32_e32 v3, 16, v50
	;; [unrolled: 2-line block ×5, first 2 shown]
	v_and_or_b32 v52, v8, s97, v3
	global_store_dwordx4 v[0:1], v[23:26], off glc slc
	global_store_dwordx4 v[0:1], v[49:52], off offset:1024 glc slc
	buffer_load_dword v8, off, s[0:3], s33 offset:172 ; 4-byte Folded Reload
	buffer_load_dword v9, off, s[0:3], s33 offset:176 ; 4-byte Folded Reload
	;; [unrolled: 1-line block ×4, first 2 shown]
	v_mov_b32_e32 v20, 0x800
	s_waitcnt vmcnt(3)
	v_add_co_u32_e32 v3, vcc, v6, v8
	v_cndmask_b32_e64 v6, v6, v3, s[92:93]
	buffer_load_dword v3, off, s[0:3], s33 offset:128 ; 4-byte Folded Reload
	s_waitcnt vmcnt(3)
	v_addc_co_u32_e32 v5, vcc, v7, v9, vcc
	v_add_co_u32_e32 v8, vcc, v28, v8
	v_addc_co_u32_e32 v9, vcc, v29, v9, vcc
	s_waitcnt vmcnt(1)
	v_cndmask_b32_e64 v11, v20, v11, s[92:93]
	v_cndmask_b32_e64 v10, 0, v10, s[92:93]
	v_add_co_u32_e32 v0, vcc, v0, v11
	v_addc_co_u32_e32 v1, vcc, v1, v10, vcc
	v_cndmask_b32_e64 v7, v7, v5, s[92:93]
	v_cndmask_b32_e64 v29, v29, v9, s[92:93]
	;; [unrolled: 1-line block ×3, first 2 shown]
	s_waitcnt vmcnt(0)
	v_cndmask_b32_e64 v3, 0, v3, s[92:93]
	v_sub_u32_e32 v44, v44, v3
	v_cmp_gt_i32_e32 vcc, 1, v44
	s_or_b64 s[40:41], vcc, s[40:41]
	s_andn2_b64 s[44:45], s[90:91], exec
	s_and_b64 s[90:91], s[92:93], exec
	s_or_b64 s[90:91], s[44:45], s[90:91]
	s_andn2_b64 exec, exec, s[40:41]
	s_cbranch_execz .LBB8_3151
.LBB8_2889:                             ;   Parent Loop BB8_47 Depth=1
                                        ;     Parent Loop BB8_1939 Depth=2
                                        ; =>    This Inner Loop Header: Depth=3
	global_load_dwordx4 v[48:51], v[6:7], off glc slc
	global_load_dwordx4 v[36:39], v[6:7], off offset:1024 glc slc
	global_load_dwordx4 v[24:27], v[28:29], off glc slc
	global_load_dwordx4 v[20:23], v[28:29], off offset:1024 glc slc
	s_and_saveexec_b64 s[94:95], s[92:93]
	s_cbranch_execz .LBB8_3019
; %bb.2890:                             ;   in Loop: Header=BB8_2889 Depth=3
	v_lshlrev_b32_e32 v3, 16, v32
	v_mul_f32_e32 v3, v4, v3
	v_and_b32_e32 v5, 0x7f800000, v3
	v_cmp_ne_u32_e32 vcc, s87, v5
                                        ; implicit-def: $vgpr5
	s_and_saveexec_b64 s[44:45], vcc
	s_xor_b64 s[92:93], exec, s[44:45]
; %bb.2891:                             ;   in Loop: Header=BB8_2889 Depth=3
	v_bfe_u32 v5, v3, 16, 1
	v_add3_u32 v5, v3, v5, s96
                                        ; implicit-def: $vgpr3
; %bb.2892:                             ;   in Loop: Header=BB8_2889 Depth=3
	s_andn2_saveexec_b64 s[92:93], s[92:93]
; %bb.2893:                             ;   in Loop: Header=BB8_2889 Depth=3
	v_or_b32_e32 v5, 0x10000, v3
	v_cmp_eq_u32_sdwa vcc, v3, v2 src0_sel:WORD_0 src1_sel:DWORD
	v_cndmask_b32_e32 v5, v5, v3, vcc
; %bb.2894:                             ;   in Loop: Header=BB8_2889 Depth=3
	s_or_b64 exec, exec, s[92:93]
	v_and_b32_e32 v3, 0xffff0000, v32
	v_mul_f32_e32 v8, v4, v3
	v_and_b32_e32 v3, 0x7f800000, v8
	v_cmp_ne_u32_e32 vcc, s87, v3
                                        ; implicit-def: $vgpr3
	s_and_saveexec_b64 s[44:45], vcc
	s_xor_b64 s[92:93], exec, s[44:45]
; %bb.2895:                             ;   in Loop: Header=BB8_2889 Depth=3
	v_bfe_u32 v3, v8, 16, 1
	v_add3_u32 v3, v8, v3, s96
                                        ; implicit-def: $vgpr8
; %bb.2896:                             ;   in Loop: Header=BB8_2889 Depth=3
	s_andn2_saveexec_b64 s[92:93], s[92:93]
; %bb.2897:                             ;   in Loop: Header=BB8_2889 Depth=3
	v_or_b32_e32 v3, 0x10000, v8
	v_cmp_eq_u32_sdwa vcc, v8, v2 src0_sel:WORD_0 src1_sel:DWORD
	v_cndmask_b32_e32 v3, v3, v8, vcc
; %bb.2898:                             ;   in Loop: Header=BB8_2889 Depth=3
	s_or_b64 exec, exec, s[92:93]
	v_lshlrev_b32_e32 v8, 16, v33
	v_mul_f32_e32 v8, v4, v8
	v_and_b32_e32 v9, 0x7f800000, v8
	v_cmp_ne_u32_e32 vcc, s87, v9
                                        ; implicit-def: $vgpr58
	s_and_saveexec_b64 s[44:45], vcc
	s_xor_b64 s[92:93], exec, s[44:45]
; %bb.2899:                             ;   in Loop: Header=BB8_2889 Depth=3
	v_bfe_u32 v9, v8, 16, 1
	v_add3_u32 v58, v8, v9, s96
                                        ; implicit-def: $vgpr8
; %bb.2900:                             ;   in Loop: Header=BB8_2889 Depth=3
	s_andn2_saveexec_b64 s[92:93], s[92:93]
; %bb.2901:                             ;   in Loop: Header=BB8_2889 Depth=3
	v_or_b32_e32 v9, 0x10000, v8
	v_cmp_eq_u32_sdwa vcc, v8, v2 src0_sel:WORD_0 src1_sel:DWORD
	v_cndmask_b32_e32 v58, v9, v8, vcc
; %bb.2902:                             ;   in Loop: Header=BB8_2889 Depth=3
	s_or_b64 exec, exec, s[92:93]
	v_and_b32_e32 v8, 0xffff0000, v33
	v_mul_f32_e32 v8, v4, v8
	v_and_b32_e32 v9, 0x7f800000, v8
	v_cmp_ne_u32_e32 vcc, s87, v9
                                        ; implicit-def: $vgpr61
	s_and_saveexec_b64 s[44:45], vcc
	s_xor_b64 s[92:93], exec, s[44:45]
; %bb.2903:                             ;   in Loop: Header=BB8_2889 Depth=3
	v_bfe_u32 v9, v8, 16, 1
	v_add3_u32 v61, v8, v9, s96
                                        ; implicit-def: $vgpr8
; %bb.2904:                             ;   in Loop: Header=BB8_2889 Depth=3
	s_andn2_saveexec_b64 s[92:93], s[92:93]
; %bb.2905:                             ;   in Loop: Header=BB8_2889 Depth=3
	v_or_b32_e32 v9, 0x10000, v8
	v_cmp_eq_u32_sdwa vcc, v8, v2 src0_sel:WORD_0 src1_sel:DWORD
	v_cndmask_b32_e32 v61, v9, v8, vcc
; %bb.2906:                             ;   in Loop: Header=BB8_2889 Depth=3
	s_or_b64 exec, exec, s[92:93]
	v_lshlrev_b32_e32 v8, 16, v34
	v_mul_f32_e32 v8, v4, v8
	v_and_b32_e32 v9, 0x7f800000, v8
	v_cmp_ne_u32_e32 vcc, s87, v9
                                        ; implicit-def: $vgpr43
	s_and_saveexec_b64 s[44:45], vcc
	s_xor_b64 s[92:93], exec, s[44:45]
; %bb.2907:                             ;   in Loop: Header=BB8_2889 Depth=3
	v_bfe_u32 v9, v8, 16, 1
	v_add3_u32 v43, v8, v9, s96
                                        ; implicit-def: $vgpr8
; %bb.2908:                             ;   in Loop: Header=BB8_2889 Depth=3
	s_andn2_saveexec_b64 s[92:93], s[92:93]
; %bb.2909:                             ;   in Loop: Header=BB8_2889 Depth=3
	v_or_b32_e32 v9, 0x10000, v8
	v_cmp_eq_u32_sdwa vcc, v8, v2 src0_sel:WORD_0 src1_sel:DWORD
	v_cndmask_b32_e32 v43, v9, v8, vcc
; %bb.2910:                             ;   in Loop: Header=BB8_2889 Depth=3
	s_or_b64 exec, exec, s[92:93]
	v_and_b32_e32 v8, 0xffff0000, v34
	v_mul_f32_e32 v8, v4, v8
	v_and_b32_e32 v9, 0x7f800000, v8
	v_cmp_ne_u32_e32 vcc, s87, v9
                                        ; implicit-def: $vgpr42
	s_and_saveexec_b64 s[44:45], vcc
	s_xor_b64 s[92:93], exec, s[44:45]
; %bb.2911:                             ;   in Loop: Header=BB8_2889 Depth=3
	v_bfe_u32 v9, v8, 16, 1
	v_add3_u32 v42, v8, v9, s96
                                        ; implicit-def: $vgpr8
; %bb.2912:                             ;   in Loop: Header=BB8_2889 Depth=3
	s_andn2_saveexec_b64 s[92:93], s[92:93]
; %bb.2913:                             ;   in Loop: Header=BB8_2889 Depth=3
	v_or_b32_e32 v9, 0x10000, v8
	v_cmp_eq_u32_sdwa vcc, v8, v2 src0_sel:WORD_0 src1_sel:DWORD
	v_cndmask_b32_e32 v42, v9, v8, vcc
; %bb.2914:                             ;   in Loop: Header=BB8_2889 Depth=3
	s_or_b64 exec, exec, s[92:93]
	v_lshlrev_b32_e32 v8, 16, v35
	v_mul_f32_e32 v8, v4, v8
	v_and_b32_e32 v9, 0x7f800000, v8
	v_cmp_ne_u32_e32 vcc, s87, v9
                                        ; implicit-def: $vgpr60
	s_and_saveexec_b64 s[44:45], vcc
	s_xor_b64 s[92:93], exec, s[44:45]
; %bb.2915:                             ;   in Loop: Header=BB8_2889 Depth=3
	v_bfe_u32 v9, v8, 16, 1
	v_add3_u32 v60, v8, v9, s96
                                        ; implicit-def: $vgpr8
; %bb.2916:                             ;   in Loop: Header=BB8_2889 Depth=3
	s_andn2_saveexec_b64 s[92:93], s[92:93]
; %bb.2917:                             ;   in Loop: Header=BB8_2889 Depth=3
	v_or_b32_e32 v9, 0x10000, v8
	v_cmp_eq_u32_sdwa vcc, v8, v2 src0_sel:WORD_0 src1_sel:DWORD
	v_cndmask_b32_e32 v60, v9, v8, vcc
; %bb.2918:                             ;   in Loop: Header=BB8_2889 Depth=3
	s_or_b64 exec, exec, s[92:93]
	v_and_b32_e32 v8, 0xffff0000, v35
	v_mul_f32_e32 v8, v4, v8
	v_and_b32_e32 v9, 0x7f800000, v8
	v_cmp_ne_u32_e32 vcc, s87, v9
                                        ; implicit-def: $vgpr45
	s_and_saveexec_b64 s[44:45], vcc
	s_xor_b64 s[92:93], exec, s[44:45]
; %bb.2919:                             ;   in Loop: Header=BB8_2889 Depth=3
	v_bfe_u32 v9, v8, 16, 1
	v_add3_u32 v45, v8, v9, s96
                                        ; implicit-def: $vgpr8
; %bb.2920:                             ;   in Loop: Header=BB8_2889 Depth=3
	s_andn2_saveexec_b64 s[92:93], s[92:93]
; %bb.2921:                             ;   in Loop: Header=BB8_2889 Depth=3
	v_or_b32_e32 v9, 0x10000, v8
	v_cmp_eq_u32_sdwa vcc, v8, v2 src0_sel:WORD_0 src1_sel:DWORD
	v_cndmask_b32_e32 v45, v9, v8, vcc
; %bb.2922:                             ;   in Loop: Header=BB8_2889 Depth=3
	s_or_b64 exec, exec, s[92:93]
	v_lshlrev_b32_e32 v8, 16, v16
	v_mul_f32_e32 v8, v4, v8
	v_and_b32_e32 v9, 0x7f800000, v8
	v_cmp_ne_u32_e32 vcc, s87, v9
                                        ; implicit-def: $vgpr59
	s_and_saveexec_b64 s[44:45], vcc
	s_xor_b64 s[92:93], exec, s[44:45]
; %bb.2923:                             ;   in Loop: Header=BB8_2889 Depth=3
	v_bfe_u32 v9, v8, 16, 1
	v_add3_u32 v59, v8, v9, s96
                                        ; implicit-def: $vgpr8
; %bb.2924:                             ;   in Loop: Header=BB8_2889 Depth=3
	s_andn2_saveexec_b64 s[92:93], s[92:93]
; %bb.2925:                             ;   in Loop: Header=BB8_2889 Depth=3
	v_or_b32_e32 v9, 0x10000, v8
	v_cmp_eq_u32_sdwa vcc, v8, v2 src0_sel:WORD_0 src1_sel:DWORD
	v_cndmask_b32_e32 v59, v9, v8, vcc
; %bb.2926:                             ;   in Loop: Header=BB8_2889 Depth=3
	s_or_b64 exec, exec, s[92:93]
	v_and_b32_e32 v8, 0xffff0000, v16
	v_mul_f32_e32 v8, v4, v8
	v_and_b32_e32 v9, 0x7f800000, v8
	v_cmp_ne_u32_e32 vcc, s87, v9
                                        ; implicit-def: $vgpr34
	s_and_saveexec_b64 s[44:45], vcc
	s_xor_b64 s[92:93], exec, s[44:45]
; %bb.2927:                             ;   in Loop: Header=BB8_2889 Depth=3
	v_bfe_u32 v9, v8, 16, 1
	v_add3_u32 v34, v8, v9, s96
                                        ; implicit-def: $vgpr8
; %bb.2928:                             ;   in Loop: Header=BB8_2889 Depth=3
	s_andn2_saveexec_b64 s[92:93], s[92:93]
; %bb.2929:                             ;   in Loop: Header=BB8_2889 Depth=3
	v_or_b32_e32 v9, 0x10000, v8
	v_cmp_eq_u32_sdwa vcc, v8, v2 src0_sel:WORD_0 src1_sel:DWORD
	v_cndmask_b32_e32 v34, v9, v8, vcc
; %bb.2930:                             ;   in Loop: Header=BB8_2889 Depth=3
	s_or_b64 exec, exec, s[92:93]
	v_lshlrev_b32_e32 v8, 16, v17
	v_mul_f32_e32 v8, v4, v8
	v_and_b32_e32 v9, 0x7f800000, v8
	v_cmp_ne_u32_e32 vcc, s87, v9
                                        ; implicit-def: $vgpr35
	s_and_saveexec_b64 s[44:45], vcc
	s_xor_b64 s[92:93], exec, s[44:45]
; %bb.2931:                             ;   in Loop: Header=BB8_2889 Depth=3
	v_bfe_u32 v9, v8, 16, 1
	v_add3_u32 v35, v8, v9, s96
                                        ; implicit-def: $vgpr8
; %bb.2932:                             ;   in Loop: Header=BB8_2889 Depth=3
	s_andn2_saveexec_b64 s[92:93], s[92:93]
; %bb.2933:                             ;   in Loop: Header=BB8_2889 Depth=3
	v_or_b32_e32 v9, 0x10000, v8
	v_cmp_eq_u32_sdwa vcc, v8, v2 src0_sel:WORD_0 src1_sel:DWORD
	v_cndmask_b32_e32 v35, v9, v8, vcc
; %bb.2934:                             ;   in Loop: Header=BB8_2889 Depth=3
	s_or_b64 exec, exec, s[92:93]
	v_and_b32_e32 v8, 0xffff0000, v17
	v_mul_f32_e32 v8, v4, v8
	v_and_b32_e32 v9, 0x7f800000, v8
	v_cmp_ne_u32_e32 vcc, s87, v9
                                        ; implicit-def: $vgpr32
	s_and_saveexec_b64 s[44:45], vcc
	s_xor_b64 s[92:93], exec, s[44:45]
; %bb.2935:                             ;   in Loop: Header=BB8_2889 Depth=3
	v_bfe_u32 v9, v8, 16, 1
	v_add3_u32 v32, v8, v9, s96
                                        ; implicit-def: $vgpr8
; %bb.2936:                             ;   in Loop: Header=BB8_2889 Depth=3
	s_andn2_saveexec_b64 s[92:93], s[92:93]
; %bb.2937:                             ;   in Loop: Header=BB8_2889 Depth=3
	v_or_b32_e32 v9, 0x10000, v8
	v_cmp_eq_u32_sdwa vcc, v8, v2 src0_sel:WORD_0 src1_sel:DWORD
	v_cndmask_b32_e32 v32, v9, v8, vcc
; %bb.2938:                             ;   in Loop: Header=BB8_2889 Depth=3
	s_or_b64 exec, exec, s[92:93]
	v_lshlrev_b32_e32 v8, 16, v18
	v_mul_f32_e32 v8, v4, v8
	v_and_b32_e32 v9, 0x7f800000, v8
	v_cmp_ne_u32_e32 vcc, s87, v9
                                        ; implicit-def: $vgpr33
	s_and_saveexec_b64 s[44:45], vcc
	s_xor_b64 s[92:93], exec, s[44:45]
; %bb.2939:                             ;   in Loop: Header=BB8_2889 Depth=3
	v_bfe_u32 v9, v8, 16, 1
	v_add3_u32 v33, v8, v9, s96
                                        ; implicit-def: $vgpr8
; %bb.2940:                             ;   in Loop: Header=BB8_2889 Depth=3
	s_andn2_saveexec_b64 s[92:93], s[92:93]
; %bb.2941:                             ;   in Loop: Header=BB8_2889 Depth=3
	v_or_b32_e32 v9, 0x10000, v8
	v_cmp_eq_u32_sdwa vcc, v8, v2 src0_sel:WORD_0 src1_sel:DWORD
	v_cndmask_b32_e32 v33, v9, v8, vcc
; %bb.2942:                             ;   in Loop: Header=BB8_2889 Depth=3
	s_or_b64 exec, exec, s[92:93]
	v_and_b32_e32 v8, 0xffff0000, v18
	v_mul_f32_e32 v8, v4, v8
	v_and_b32_e32 v9, 0x7f800000, v8
	v_cmp_ne_u32_e32 vcc, s87, v9
                                        ; implicit-def: $vgpr17
	s_and_saveexec_b64 s[44:45], vcc
	s_xor_b64 s[92:93], exec, s[44:45]
; %bb.2943:                             ;   in Loop: Header=BB8_2889 Depth=3
	v_bfe_u32 v9, v8, 16, 1
	v_add3_u32 v17, v8, v9, s96
                                        ; implicit-def: $vgpr8
; %bb.2944:                             ;   in Loop: Header=BB8_2889 Depth=3
	s_andn2_saveexec_b64 s[92:93], s[92:93]
; %bb.2945:                             ;   in Loop: Header=BB8_2889 Depth=3
	v_or_b32_e32 v9, 0x10000, v8
	v_cmp_eq_u32_sdwa vcc, v8, v2 src0_sel:WORD_0 src1_sel:DWORD
	v_cndmask_b32_e32 v17, v9, v8, vcc
; %bb.2946:                             ;   in Loop: Header=BB8_2889 Depth=3
	s_or_b64 exec, exec, s[92:93]
	v_lshlrev_b32_e32 v8, 16, v19
	v_mul_f32_e32 v8, v4, v8
	v_and_b32_e32 v9, 0x7f800000, v8
	v_cmp_ne_u32_e32 vcc, s87, v9
                                        ; implicit-def: $vgpr18
	s_and_saveexec_b64 s[44:45], vcc
	s_xor_b64 s[92:93], exec, s[44:45]
; %bb.2947:                             ;   in Loop: Header=BB8_2889 Depth=3
	v_bfe_u32 v9, v8, 16, 1
	v_add3_u32 v18, v8, v9, s96
                                        ; implicit-def: $vgpr8
; %bb.2948:                             ;   in Loop: Header=BB8_2889 Depth=3
	s_andn2_saveexec_b64 s[92:93], s[92:93]
; %bb.2949:                             ;   in Loop: Header=BB8_2889 Depth=3
	v_or_b32_e32 v9, 0x10000, v8
	v_cmp_eq_u32_sdwa vcc, v8, v2 src0_sel:WORD_0 src1_sel:DWORD
	v_cndmask_b32_e32 v18, v9, v8, vcc
; %bb.2950:                             ;   in Loop: Header=BB8_2889 Depth=3
	s_or_b64 exec, exec, s[92:93]
	v_and_b32_e32 v8, 0xffff0000, v19
	v_mul_f32_e32 v8, v4, v8
	v_and_b32_e32 v9, 0x7f800000, v8
	v_cmp_ne_u32_e32 vcc, s87, v9
                                        ; implicit-def: $vgpr16
	s_and_saveexec_b64 s[44:45], vcc
	s_xor_b64 s[92:93], exec, s[44:45]
; %bb.2951:                             ;   in Loop: Header=BB8_2889 Depth=3
	v_bfe_u32 v9, v8, 16, 1
	v_add3_u32 v16, v8, v9, s96
                                        ; implicit-def: $vgpr8
; %bb.2952:                             ;   in Loop: Header=BB8_2889 Depth=3
	s_andn2_saveexec_b64 s[92:93], s[92:93]
; %bb.2953:                             ;   in Loop: Header=BB8_2889 Depth=3
	v_or_b32_e32 v9, 0x10000, v8
	v_cmp_eq_u32_sdwa vcc, v8, v2 src0_sel:WORD_0 src1_sel:DWORD
	v_cndmask_b32_e32 v16, v9, v8, vcc
; %bb.2954:                             ;   in Loop: Header=BB8_2889 Depth=3
	s_or_b64 exec, exec, s[92:93]
	buffer_load_dword v8, off, s[0:3], s33 offset:276 ; 4-byte Folded Reload
	buffer_load_dword v9, off, s[0:3], s33 offset:280 ; 4-byte Folded Reload
	;; [unrolled: 1-line block ×4, first 2 shown]
	v_and_b32_e32 v5, 0xffff0000, v5
	s_waitcnt vmcnt(3)
	v_lshlrev_b32_e32 v8, 16, v8
	v_add_f32_e32 v8, v8, v5
	v_and_b32_e32 v5, 0x7f800000, v8
	v_cmp_ne_u32_e32 vcc, s87, v5
                                        ; implicit-def: $vgpr5
	s_and_saveexec_b64 s[44:45], vcc
	s_xor_b64 s[92:93], exec, s[44:45]
; %bb.2955:                             ;   in Loop: Header=BB8_2889 Depth=3
	v_bfe_u32 v5, v8, 16, 1
	v_add3_u32 v5, v8, v5, s96
                                        ; implicit-def: $vgpr8
; %bb.2956:                             ;   in Loop: Header=BB8_2889 Depth=3
	s_andn2_saveexec_b64 s[92:93], s[92:93]
; %bb.2957:                             ;   in Loop: Header=BB8_2889 Depth=3
	v_or_b32_e32 v5, 0x10000, v8
	v_cmp_eq_u32_sdwa vcc, v8, v2 src0_sel:WORD_0 src1_sel:DWORD
	v_cndmask_b32_e32 v5, v5, v8, vcc
; %bb.2958:                             ;   in Loop: Header=BB8_2889 Depth=3
	s_or_b64 exec, exec, s[92:93]
	buffer_load_dword v8, off, s[0:3], s33 offset:276 ; 4-byte Folded Reload
	buffer_load_dword v9, off, s[0:3], s33 offset:280 ; 4-byte Folded Reload
	;; [unrolled: 1-line block ×4, first 2 shown]
	v_and_b32_e32 v3, 0xffff0000, v3
	s_waitcnt vmcnt(3)
	v_and_b32_e32 v8, 0xffff0000, v8
	v_add_f32_e32 v8, v8, v3
	v_and_b32_e32 v3, 0x7f800000, v8
	v_cmp_ne_u32_e32 vcc, s87, v3
                                        ; implicit-def: $vgpr3
	s_and_saveexec_b64 s[44:45], vcc
	s_xor_b64 s[92:93], exec, s[44:45]
; %bb.2959:                             ;   in Loop: Header=BB8_2889 Depth=3
	v_bfe_u32 v3, v8, 16, 1
	v_add3_u32 v3, v8, v3, s96
                                        ; implicit-def: $vgpr8
; %bb.2960:                             ;   in Loop: Header=BB8_2889 Depth=3
	s_andn2_saveexec_b64 s[92:93], s[92:93]
; %bb.2961:                             ;   in Loop: Header=BB8_2889 Depth=3
	v_or_b32_e32 v3, 0x10000, v8
	v_cmp_eq_u32_sdwa vcc, v8, v2 src0_sel:WORD_0 src1_sel:DWORD
	v_cndmask_b32_e32 v3, v3, v8, vcc
; %bb.2962:                             ;   in Loop: Header=BB8_2889 Depth=3
	s_or_b64 exec, exec, s[92:93]
	buffer_load_dword v9, off, s[0:3], s33 offset:276 ; 4-byte Folded Reload
	buffer_load_dword v10, off, s[0:3], s33 offset:280 ; 4-byte Folded Reload
	;; [unrolled: 1-line block ×4, first 2 shown]
	v_and_b32_e32 v8, 0xffff0000, v58
                                        ; implicit-def: $vgpr19
	s_waitcnt vmcnt(2)
	v_lshlrev_b32_e32 v9, 16, v10
	v_add_f32_e32 v8, v9, v8
	v_and_b32_e32 v9, 0x7f800000, v8
	v_cmp_ne_u32_e32 vcc, s87, v9
	s_and_saveexec_b64 s[44:45], vcc
	s_xor_b64 s[92:93], exec, s[44:45]
; %bb.2963:                             ;   in Loop: Header=BB8_2889 Depth=3
	v_bfe_u32 v9, v8, 16, 1
	v_add3_u32 v19, v8, v9, s96
                                        ; implicit-def: $vgpr8
; %bb.2964:                             ;   in Loop: Header=BB8_2889 Depth=3
	s_andn2_saveexec_b64 s[92:93], s[92:93]
; %bb.2965:                             ;   in Loop: Header=BB8_2889 Depth=3
	v_or_b32_e32 v9, 0x10000, v8
	v_cmp_eq_u32_sdwa vcc, v8, v2 src0_sel:WORD_0 src1_sel:DWORD
	v_cndmask_b32_e32 v19, v9, v8, vcc
; %bb.2966:                             ;   in Loop: Header=BB8_2889 Depth=3
	s_or_b64 exec, exec, s[92:93]
	buffer_load_dword v8, off, s[0:3], s33 offset:276 ; 4-byte Folded Reload
	buffer_load_dword v9, off, s[0:3], s33 offset:280 ; 4-byte Folded Reload
	;; [unrolled: 1-line block ×4, first 2 shown]
                                        ; implicit-def: $vgpr30
	s_waitcnt vmcnt(2)
	v_and_b32_e32 v8, 0xffff0000, v9
	v_and_b32_e32 v9, 0xffff0000, v61
	v_add_f32_e32 v8, v8, v9
	v_and_b32_e32 v9, 0x7f800000, v8
	v_cmp_ne_u32_e32 vcc, s87, v9
	s_and_saveexec_b64 s[44:45], vcc
	s_xor_b64 s[92:93], exec, s[44:45]
; %bb.2967:                             ;   in Loop: Header=BB8_2889 Depth=3
	v_bfe_u32 v9, v8, 16, 1
	v_add3_u32 v30, v8, v9, s96
                                        ; implicit-def: $vgpr8
; %bb.2968:                             ;   in Loop: Header=BB8_2889 Depth=3
	s_andn2_saveexec_b64 s[92:93], s[92:93]
; %bb.2969:                             ;   in Loop: Header=BB8_2889 Depth=3
	v_or_b32_e32 v9, 0x10000, v8
	v_cmp_eq_u32_sdwa vcc, v8, v2 src0_sel:WORD_0 src1_sel:DWORD
	v_cndmask_b32_e32 v30, v9, v8, vcc
; %bb.2970:                             ;   in Loop: Header=BB8_2889 Depth=3
	s_or_b64 exec, exec, s[92:93]
	buffer_load_dword v9, off, s[0:3], s33 offset:276 ; 4-byte Folded Reload
	buffer_load_dword v10, off, s[0:3], s33 offset:280 ; 4-byte Folded Reload
	;; [unrolled: 1-line block ×4, first 2 shown]
	v_and_b32_e32 v8, 0xffff0000, v43
                                        ; implicit-def: $vgpr31
	s_waitcnt vmcnt(1)
	v_lshlrev_b32_e32 v9, 16, v11
	v_add_f32_e32 v8, v9, v8
	v_and_b32_e32 v9, 0x7f800000, v8
	v_cmp_ne_u32_e32 vcc, s87, v9
	s_and_saveexec_b64 s[44:45], vcc
	s_xor_b64 s[92:93], exec, s[44:45]
; %bb.2971:                             ;   in Loop: Header=BB8_2889 Depth=3
	v_bfe_u32 v9, v8, 16, 1
	v_add3_u32 v31, v8, v9, s96
                                        ; implicit-def: $vgpr8
; %bb.2972:                             ;   in Loop: Header=BB8_2889 Depth=3
	s_andn2_saveexec_b64 s[92:93], s[92:93]
; %bb.2973:                             ;   in Loop: Header=BB8_2889 Depth=3
	v_or_b32_e32 v9, 0x10000, v8
	v_cmp_eq_u32_sdwa vcc, v8, v2 src0_sel:WORD_0 src1_sel:DWORD
	v_cndmask_b32_e32 v31, v9, v8, vcc
; %bb.2974:                             ;   in Loop: Header=BB8_2889 Depth=3
	s_or_b64 exec, exec, s[92:93]
	buffer_load_dword v8, off, s[0:3], s33 offset:276 ; 4-byte Folded Reload
	buffer_load_dword v9, off, s[0:3], s33 offset:280 ; 4-byte Folded Reload
	buffer_load_dword v10, off, s[0:3], s33 offset:284 ; 4-byte Folded Reload
	buffer_load_dword v11, off, s[0:3], s33 offset:288 ; 4-byte Folded Reload
	s_waitcnt vmcnt(2)
	v_and_b32_e32 v9, 0xffff0000, v42
                                        ; implicit-def: $vgpr42
	s_waitcnt vmcnt(1)
	v_and_b32_e32 v8, 0xffff0000, v10
	v_add_f32_e32 v8, v8, v9
	v_and_b32_e32 v9, 0x7f800000, v8
	v_cmp_ne_u32_e32 vcc, s87, v9
	s_and_saveexec_b64 s[44:45], vcc
	s_xor_b64 s[92:93], exec, s[44:45]
; %bb.2975:                             ;   in Loop: Header=BB8_2889 Depth=3
	v_bfe_u32 v9, v8, 16, 1
	v_add3_u32 v42, v8, v9, s96
                                        ; implicit-def: $vgpr8
; %bb.2976:                             ;   in Loop: Header=BB8_2889 Depth=3
	s_andn2_saveexec_b64 s[92:93], s[92:93]
; %bb.2977:                             ;   in Loop: Header=BB8_2889 Depth=3
	v_or_b32_e32 v9, 0x10000, v8
	v_cmp_eq_u32_sdwa vcc, v8, v2 src0_sel:WORD_0 src1_sel:DWORD
	v_cndmask_b32_e32 v42, v9, v8, vcc
; %bb.2978:                             ;   in Loop: Header=BB8_2889 Depth=3
	s_or_b64 exec, exec, s[92:93]
	buffer_load_dword v9, off, s[0:3], s33 offset:276 ; 4-byte Folded Reload
	buffer_load_dword v10, off, s[0:3], s33 offset:280 ; 4-byte Folded Reload
	;; [unrolled: 1-line block ×4, first 2 shown]
	v_and_b32_e32 v8, 0xffff0000, v60
                                        ; implicit-def: $vgpr43
	s_waitcnt vmcnt(0)
	v_lshlrev_b32_e32 v9, 16, v12
	v_add_f32_e32 v8, v9, v8
	v_and_b32_e32 v9, 0x7f800000, v8
	v_cmp_ne_u32_e32 vcc, s87, v9
	s_and_saveexec_b64 s[44:45], vcc
	s_xor_b64 s[92:93], exec, s[44:45]
; %bb.2979:                             ;   in Loop: Header=BB8_2889 Depth=3
	v_bfe_u32 v9, v8, 16, 1
	v_add3_u32 v43, v8, v9, s96
                                        ; implicit-def: $vgpr8
; %bb.2980:                             ;   in Loop: Header=BB8_2889 Depth=3
	s_andn2_saveexec_b64 s[92:93], s[92:93]
; %bb.2981:                             ;   in Loop: Header=BB8_2889 Depth=3
	v_or_b32_e32 v9, 0x10000, v8
	v_cmp_eq_u32_sdwa vcc, v8, v2 src0_sel:WORD_0 src1_sel:DWORD
	v_cndmask_b32_e32 v43, v9, v8, vcc
; %bb.2982:                             ;   in Loop: Header=BB8_2889 Depth=3
	s_or_b64 exec, exec, s[92:93]
	buffer_load_dword v8, off, s[0:3], s33 offset:276 ; 4-byte Folded Reload
	buffer_load_dword v9, off, s[0:3], s33 offset:280 ; 4-byte Folded Reload
	;; [unrolled: 1-line block ×4, first 2 shown]
	s_waitcnt vmcnt(2)
	v_and_b32_e32 v9, 0xffff0000, v45
                                        ; implicit-def: $vgpr45
	s_waitcnt vmcnt(0)
	v_and_b32_e32 v8, 0xffff0000, v11
	v_add_f32_e32 v8, v8, v9
	v_and_b32_e32 v9, 0x7f800000, v8
	v_cmp_ne_u32_e32 vcc, s87, v9
	s_and_saveexec_b64 s[44:45], vcc
	s_xor_b64 s[92:93], exec, s[44:45]
; %bb.2983:                             ;   in Loop: Header=BB8_2889 Depth=3
	v_bfe_u32 v9, v8, 16, 1
	v_add3_u32 v45, v8, v9, s96
                                        ; implicit-def: $vgpr8
; %bb.2984:                             ;   in Loop: Header=BB8_2889 Depth=3
	s_andn2_saveexec_b64 s[92:93], s[92:93]
; %bb.2985:                             ;   in Loop: Header=BB8_2889 Depth=3
	v_or_b32_e32 v9, 0x10000, v8
	v_cmp_eq_u32_sdwa vcc, v8, v2 src0_sel:WORD_0 src1_sel:DWORD
	v_cndmask_b32_e32 v45, v9, v8, vcc
; %bb.2986:                             ;   in Loop: Header=BB8_2889 Depth=3
	s_or_b64 exec, exec, s[92:93]
	v_and_b32_e32 v8, 0xffff0000, v59
	buffer_load_dword v57, off, s[0:3], s33 offset:240 ; 4-byte Folded Reload
	buffer_load_dword v58, off, s[0:3], s33 offset:244 ; 4-byte Folded Reload
	;; [unrolled: 1-line block ×4, first 2 shown]
	s_waitcnt vmcnt(3)
	v_lshlrev_b32_e32 v9, 16, v57
	v_add_f32_e32 v8, v9, v8
	v_and_b32_e32 v9, 0x7f800000, v8
	v_cmp_ne_u32_e32 vcc, s87, v9
                                        ; implicit-def: $vgpr57
	s_and_saveexec_b64 s[44:45], vcc
	s_xor_b64 s[92:93], exec, s[44:45]
; %bb.2987:                             ;   in Loop: Header=BB8_2889 Depth=3
	v_bfe_u32 v9, v8, 16, 1
	v_add3_u32 v57, v8, v9, s96
                                        ; implicit-def: $vgpr8
; %bb.2988:                             ;   in Loop: Header=BB8_2889 Depth=3
	s_andn2_saveexec_b64 s[92:93], s[92:93]
; %bb.2989:                             ;   in Loop: Header=BB8_2889 Depth=3
	v_or_b32_e32 v9, 0x10000, v8
	v_cmp_eq_u32_sdwa vcc, v8, v2 src0_sel:WORD_0 src1_sel:DWORD
	v_cndmask_b32_e32 v57, v9, v8, vcc
; %bb.2990:                             ;   in Loop: Header=BB8_2889 Depth=3
	s_or_b64 exec, exec, s[92:93]
	buffer_load_dword v8, off, s[0:3], s33 offset:240 ; 4-byte Folded Reload
	buffer_load_dword v9, off, s[0:3], s33 offset:244 ; 4-byte Folded Reload
	;; [unrolled: 1-line block ×4, first 2 shown]
	s_waitcnt vmcnt(2)
	v_and_b32_e32 v9, 0xffff0000, v34
                                        ; implicit-def: $vgpr58
	v_and_b32_e32 v8, 0xffff0000, v8
	v_add_f32_e32 v8, v8, v9
	v_and_b32_e32 v9, 0x7f800000, v8
	v_cmp_ne_u32_e32 vcc, s87, v9
	s_and_saveexec_b64 s[44:45], vcc
	s_xor_b64 s[92:93], exec, s[44:45]
; %bb.2991:                             ;   in Loop: Header=BB8_2889 Depth=3
	v_bfe_u32 v9, v8, 16, 1
	v_add3_u32 v58, v8, v9, s96
                                        ; implicit-def: $vgpr8
; %bb.2992:                             ;   in Loop: Header=BB8_2889 Depth=3
	s_andn2_saveexec_b64 s[92:93], s[92:93]
; %bb.2993:                             ;   in Loop: Header=BB8_2889 Depth=3
	v_or_b32_e32 v9, 0x10000, v8
	v_cmp_eq_u32_sdwa vcc, v8, v2 src0_sel:WORD_0 src1_sel:DWORD
	v_cndmask_b32_e32 v58, v9, v8, vcc
; %bb.2994:                             ;   in Loop: Header=BB8_2889 Depth=3
	s_or_b64 exec, exec, s[92:93]
	buffer_load_dword v9, off, s[0:3], s33 offset:240 ; 4-byte Folded Reload
	buffer_load_dword v10, off, s[0:3], s33 offset:244 ; 4-byte Folded Reload
	;; [unrolled: 1-line block ×4, first 2 shown]
	v_and_b32_e32 v8, 0xffff0000, v35
                                        ; implicit-def: $vgpr59
	s_waitcnt vmcnt(2)
	v_lshlrev_b32_e32 v9, 16, v10
	v_add_f32_e32 v8, v9, v8
	v_and_b32_e32 v9, 0x7f800000, v8
	v_cmp_ne_u32_e32 vcc, s87, v9
	s_and_saveexec_b64 s[44:45], vcc
	s_xor_b64 s[92:93], exec, s[44:45]
; %bb.2995:                             ;   in Loop: Header=BB8_2889 Depth=3
	v_bfe_u32 v9, v8, 16, 1
	v_add3_u32 v59, v8, v9, s96
                                        ; implicit-def: $vgpr8
; %bb.2996:                             ;   in Loop: Header=BB8_2889 Depth=3
	s_andn2_saveexec_b64 s[92:93], s[92:93]
; %bb.2997:                             ;   in Loop: Header=BB8_2889 Depth=3
	v_or_b32_e32 v9, 0x10000, v8
	v_cmp_eq_u32_sdwa vcc, v8, v2 src0_sel:WORD_0 src1_sel:DWORD
	v_cndmask_b32_e32 v59, v9, v8, vcc
; %bb.2998:                             ;   in Loop: Header=BB8_2889 Depth=3
	s_or_b64 exec, exec, s[92:93]
	buffer_load_dword v8, off, s[0:3], s33 offset:240 ; 4-byte Folded Reload
	buffer_load_dword v9, off, s[0:3], s33 offset:244 ; 4-byte Folded Reload
	;; [unrolled: 1-line block ×4, first 2 shown]
                                        ; implicit-def: $vgpr60
	s_waitcnt vmcnt(2)
	v_and_b32_e32 v8, 0xffff0000, v9
	v_and_b32_e32 v9, 0xffff0000, v32
	v_add_f32_e32 v8, v8, v9
	v_and_b32_e32 v9, 0x7f800000, v8
	v_cmp_ne_u32_e32 vcc, s87, v9
	s_and_saveexec_b64 s[44:45], vcc
	s_xor_b64 s[92:93], exec, s[44:45]
; %bb.2999:                             ;   in Loop: Header=BB8_2889 Depth=3
	v_bfe_u32 v9, v8, 16, 1
	v_add3_u32 v60, v8, v9, s96
                                        ; implicit-def: $vgpr8
; %bb.3000:                             ;   in Loop: Header=BB8_2889 Depth=3
	s_andn2_saveexec_b64 s[92:93], s[92:93]
; %bb.3001:                             ;   in Loop: Header=BB8_2889 Depth=3
	v_or_b32_e32 v9, 0x10000, v8
	v_cmp_eq_u32_sdwa vcc, v8, v2 src0_sel:WORD_0 src1_sel:DWORD
	v_cndmask_b32_e32 v60, v9, v8, vcc
; %bb.3002:                             ;   in Loop: Header=BB8_2889 Depth=3
	s_or_b64 exec, exec, s[92:93]
	v_and_b32_e32 v8, 0xffff0000, v33
	buffer_load_dword v32, off, s[0:3], s33 offset:240 ; 4-byte Folded Reload
	buffer_load_dword v33, off, s[0:3], s33 offset:244 ; 4-byte Folded Reload
	;; [unrolled: 1-line block ×4, first 2 shown]
                                        ; implicit-def: $vgpr61
	s_waitcnt vmcnt(1)
	v_lshlrev_b32_e32 v9, 16, v34
	v_add_f32_e32 v8, v9, v8
	v_and_b32_e32 v9, 0x7f800000, v8
	v_cmp_ne_u32_e32 vcc, s87, v9
	s_and_saveexec_b64 s[44:45], vcc
	s_xor_b64 s[92:93], exec, s[44:45]
; %bb.3003:                             ;   in Loop: Header=BB8_2889 Depth=3
	v_bfe_u32 v9, v8, 16, 1
	v_add3_u32 v61, v8, v9, s96
                                        ; implicit-def: $vgpr8
; %bb.3004:                             ;   in Loop: Header=BB8_2889 Depth=3
	s_andn2_saveexec_b64 s[92:93], s[92:93]
; %bb.3005:                             ;   in Loop: Header=BB8_2889 Depth=3
	v_or_b32_e32 v9, 0x10000, v8
	v_cmp_eq_u32_sdwa vcc, v8, v2 src0_sel:WORD_0 src1_sel:DWORD
	v_cndmask_b32_e32 v61, v9, v8, vcc
; %bb.3006:                             ;   in Loop: Header=BB8_2889 Depth=3
	s_or_b64 exec, exec, s[92:93]
	buffer_load_dword v8, off, s[0:3], s33 offset:240 ; 4-byte Folded Reload
	buffer_load_dword v9, off, s[0:3], s33 offset:244 ; 4-byte Folded Reload
	;; [unrolled: 1-line block ×4, first 2 shown]
	s_waitcnt vmcnt(2)
	v_and_b32_e32 v9, 0xffff0000, v17
                                        ; implicit-def: $vgpr52
	s_waitcnt vmcnt(1)
	v_and_b32_e32 v8, 0xffff0000, v10
	v_add_f32_e32 v8, v8, v9
	v_and_b32_e32 v9, 0x7f800000, v8
	v_cmp_ne_u32_e32 vcc, s87, v9
	s_and_saveexec_b64 s[44:45], vcc
	s_xor_b64 s[92:93], exec, s[44:45]
; %bb.3007:                             ;   in Loop: Header=BB8_2889 Depth=3
	v_bfe_u32 v9, v8, 16, 1
	v_add3_u32 v52, v8, v9, s96
                                        ; implicit-def: $vgpr8
; %bb.3008:                             ;   in Loop: Header=BB8_2889 Depth=3
	s_andn2_saveexec_b64 s[92:93], s[92:93]
; %bb.3009:                             ;   in Loop: Header=BB8_2889 Depth=3
	v_or_b32_e32 v9, 0x10000, v8
	v_cmp_eq_u32_sdwa vcc, v8, v2 src0_sel:WORD_0 src1_sel:DWORD
	v_cndmask_b32_e32 v52, v9, v8, vcc
; %bb.3010:                             ;   in Loop: Header=BB8_2889 Depth=3
	s_or_b64 exec, exec, s[92:93]
	buffer_load_dword v32, off, s[0:3], s33 offset:240 ; 4-byte Folded Reload
	buffer_load_dword v33, off, s[0:3], s33 offset:244 ; 4-byte Folded Reload
	;; [unrolled: 1-line block ×4, first 2 shown]
	v_and_b32_e32 v8, 0xffff0000, v18
                                        ; implicit-def: $vgpr53
	s_waitcnt vmcnt(0)
	v_lshlrev_b32_e32 v9, 16, v35
	v_add_f32_e32 v8, v9, v8
	v_and_b32_e32 v9, 0x7f800000, v8
	v_cmp_ne_u32_e32 vcc, s87, v9
	s_and_saveexec_b64 s[44:45], vcc
	s_xor_b64 s[92:93], exec, s[44:45]
; %bb.3011:                             ;   in Loop: Header=BB8_2889 Depth=3
	v_bfe_u32 v9, v8, 16, 1
	v_add3_u32 v53, v8, v9, s96
                                        ; implicit-def: $vgpr8
; %bb.3012:                             ;   in Loop: Header=BB8_2889 Depth=3
	s_andn2_saveexec_b64 s[92:93], s[92:93]
; %bb.3013:                             ;   in Loop: Header=BB8_2889 Depth=3
	v_or_b32_e32 v9, 0x10000, v8
	v_cmp_eq_u32_sdwa vcc, v8, v2 src0_sel:WORD_0 src1_sel:DWORD
	v_cndmask_b32_e32 v53, v9, v8, vcc
; %bb.3014:                             ;   in Loop: Header=BB8_2889 Depth=3
	s_or_b64 exec, exec, s[92:93]
	buffer_load_dword v8, off, s[0:3], s33 offset:240 ; 4-byte Folded Reload
	buffer_load_dword v9, off, s[0:3], s33 offset:244 ; 4-byte Folded Reload
	;; [unrolled: 1-line block ×4, first 2 shown]
	s_waitcnt vmcnt(2)
	v_and_b32_e32 v9, 0xffff0000, v16
	s_waitcnt vmcnt(0)
	v_and_b32_e32 v8, 0xffff0000, v11
	v_add_f32_e32 v9, v8, v9
	v_and_b32_e32 v8, 0x7f800000, v9
	v_cmp_ne_u32_e32 vcc, s87, v8
                                        ; implicit-def: $vgpr8
	s_and_saveexec_b64 s[44:45], vcc
	s_xor_b64 s[92:93], exec, s[44:45]
; %bb.3015:                             ;   in Loop: Header=BB8_2889 Depth=3
	v_bfe_u32 v8, v9, 16, 1
	v_add3_u32 v8, v9, v8, s96
                                        ; implicit-def: $vgpr9
; %bb.3016:                             ;   in Loop: Header=BB8_2889 Depth=3
	s_andn2_saveexec_b64 s[92:93], s[92:93]
; %bb.3017:                             ;   in Loop: Header=BB8_2889 Depth=3
	v_or_b32_e32 v8, 0x10000, v9
	v_cmp_eq_u32_sdwa vcc, v9, v2 src0_sel:WORD_0 src1_sel:DWORD
	v_cndmask_b32_e32 v8, v8, v9, vcc
; %bb.3018:                             ;   in Loop: Header=BB8_2889 Depth=3
	s_or_b64 exec, exec, s[92:93]
	v_lshrrev_b32_e32 v5, 16, v5
	v_and_or_b32 v32, v3, s97, v5
	v_lshrrev_b32_e32 v3, 16, v31
	v_and_or_b32 v34, v42, s97, v3
	;; [unrolled: 2-line block ×4, first 2 shown]
	v_lshrrev_b32_e32 v3, 16, v57
	v_lshrrev_b32_e32 v9, 16, v19
	v_and_or_b32 v16, v58, s97, v3
	v_lshrrev_b32_e32 v3, 16, v61
	v_and_or_b32 v33, v30, s97, v9
	v_and_or_b32 v18, v52, s97, v3
	v_lshrrev_b32_e32 v3, 16, v53
	v_and_or_b32 v19, v8, s97, v3
	global_store_dwordx4 v[0:1], v[32:35], off glc slc
	global_store_dwordx4 v[0:1], v[16:19], off offset:1024 glc slc
	buffer_load_dword v3, off, s[0:3], s33 offset:152 ; 4-byte Folded Reload
	s_waitcnt vmcnt(0)
	v_add_co_u32_e32 v0, vcc, v0, v3
	buffer_load_dword v3, off, s[0:3], s33 offset:156 ; 4-byte Folded Reload
	s_waitcnt vmcnt(0)
	v_addc_co_u32_e32 v1, vcc, v1, v3, vcc
.LBB8_3019:                             ;   in Loop: Header=BB8_2889 Depth=3
	s_or_b64 exec, exec, s[94:95]
	buffer_load_dword v3, off, s[0:3], s33 offset:152 ; 4-byte Folded Reload
	buffer_load_dword v5, off, s[0:3], s33 offset:156 ; 4-byte Folded Reload
	s_waitcnt vmcnt(1)
	v_add_co_u32_e32 v6, vcc, v6, v3
	s_waitcnt vmcnt(0)
	v_addc_co_u32_e32 v7, vcc, v7, v5, vcc
	v_add_co_u32_e32 v28, vcc, v28, v3
	buffer_load_dword v3, off, s[0:3], s33 offset:128 ; 4-byte Folded Reload
	v_addc_co_u32_e32 v29, vcc, v29, v5, vcc
	s_waitcnt vmcnt(0)
	v_sub_u32_e32 v44, v44, v3
	v_cmp_lt_i32_e64 s[92:93], 0, v44
	s_and_saveexec_b64 s[94:95], s[92:93]
	s_cbranch_execz .LBB8_3021
; %bb.3020:                             ;   in Loop: Header=BB8_2889 Depth=3
	global_load_dwordx4 v[32:35], v[6:7], off glc slc
	global_load_dwordx4 v[16:19], v[6:7], off offset:1024 glc slc
	global_load_dwordx4 v[8:11], v[28:29], off glc slc
	v_add_co_u32_e32 v6, vcc, 0x800, v6
	v_addc_co_u32_e32 v7, vcc, 0, v7, vcc
	s_waitcnt vmcnt(0)
	buffer_store_dword v8, off, s[0:3], s33 offset:276 ; 4-byte Folded Spill
	s_nop 0
	buffer_store_dword v9, off, s[0:3], s33 offset:280 ; 4-byte Folded Spill
	buffer_store_dword v10, off, s[0:3], s33 offset:284 ; 4-byte Folded Spill
	;; [unrolled: 1-line block ×3, first 2 shown]
	global_load_dwordx4 v[8:11], v[28:29], off offset:1024 glc slc
	v_add_co_u32_e32 v28, vcc, 0x800, v28
	v_addc_co_u32_e32 v29, vcc, 0, v29, vcc
	s_waitcnt vmcnt(0)
	buffer_store_dword v8, off, s[0:3], s33 offset:240 ; 4-byte Folded Spill
	s_nop 0
	buffer_store_dword v9, off, s[0:3], s33 offset:244 ; 4-byte Folded Spill
	buffer_store_dword v10, off, s[0:3], s33 offset:248 ; 4-byte Folded Spill
	;; [unrolled: 1-line block ×3, first 2 shown]
.LBB8_3021:                             ;   in Loop: Header=BB8_2889 Depth=3
	s_or_b64 exec, exec, s[94:95]
	v_lshlrev_b32_e32 v3, 16, v48
	v_mul_f32_e32 v3, v4, v3
	v_and_b32_e32 v5, 0x7f800000, v3
	v_cmp_ne_u32_e32 vcc, s87, v5
                                        ; implicit-def: $vgpr5
	s_and_saveexec_b64 s[44:45], vcc
	s_xor_b64 s[94:95], exec, s[44:45]
; %bb.3022:                             ;   in Loop: Header=BB8_2889 Depth=3
	v_bfe_u32 v5, v3, 16, 1
	v_add3_u32 v5, v3, v5, s96
                                        ; implicit-def: $vgpr3
; %bb.3023:                             ;   in Loop: Header=BB8_2889 Depth=3
	s_andn2_saveexec_b64 s[94:95], s[94:95]
; %bb.3024:                             ;   in Loop: Header=BB8_2889 Depth=3
	v_or_b32_e32 v5, 0x10000, v3
	v_cmp_eq_u32_sdwa vcc, v3, v2 src0_sel:WORD_0 src1_sel:DWORD
	v_cndmask_b32_e32 v5, v5, v3, vcc
; %bb.3025:                             ;   in Loop: Header=BB8_2889 Depth=3
	s_or_b64 exec, exec, s[94:95]
	v_and_b32_e32 v3, 0xffff0000, v48
	v_mul_f32_e32 v8, v4, v3
	v_and_b32_e32 v3, 0x7f800000, v8
	v_cmp_ne_u32_e32 vcc, s87, v3
                                        ; implicit-def: $vgpr3
	s_and_saveexec_b64 s[44:45], vcc
	s_xor_b64 s[94:95], exec, s[44:45]
; %bb.3026:                             ;   in Loop: Header=BB8_2889 Depth=3
	v_bfe_u32 v3, v8, 16, 1
	v_add3_u32 v3, v8, v3, s96
                                        ; implicit-def: $vgpr8
; %bb.3027:                             ;   in Loop: Header=BB8_2889 Depth=3
	s_andn2_saveexec_b64 s[94:95], s[94:95]
; %bb.3028:                             ;   in Loop: Header=BB8_2889 Depth=3
	v_or_b32_e32 v3, 0x10000, v8
	v_cmp_eq_u32_sdwa vcc, v8, v2 src0_sel:WORD_0 src1_sel:DWORD
	v_cndmask_b32_e32 v3, v3, v8, vcc
; %bb.3029:                             ;   in Loop: Header=BB8_2889 Depth=3
	s_or_b64 exec, exec, s[94:95]
	v_lshlrev_b32_e32 v8, 16, v49
	v_mul_f32_e32 v8, v4, v8
	v_and_b32_e32 v9, 0x7f800000, v8
	v_cmp_ne_u32_e32 vcc, s87, v9
                                        ; implicit-def: $vgpr58
	s_and_saveexec_b64 s[44:45], vcc
	s_xor_b64 s[94:95], exec, s[44:45]
; %bb.3030:                             ;   in Loop: Header=BB8_2889 Depth=3
	v_bfe_u32 v9, v8, 16, 1
	v_add3_u32 v58, v8, v9, s96
                                        ; implicit-def: $vgpr8
; %bb.3031:                             ;   in Loop: Header=BB8_2889 Depth=3
	s_andn2_saveexec_b64 s[94:95], s[94:95]
; %bb.3032:                             ;   in Loop: Header=BB8_2889 Depth=3
	v_or_b32_e32 v9, 0x10000, v8
	v_cmp_eq_u32_sdwa vcc, v8, v2 src0_sel:WORD_0 src1_sel:DWORD
	v_cndmask_b32_e32 v58, v9, v8, vcc
; %bb.3033:                             ;   in Loop: Header=BB8_2889 Depth=3
	s_or_b64 exec, exec, s[94:95]
	v_and_b32_e32 v8, 0xffff0000, v49
	v_mul_f32_e32 v8, v4, v8
	v_and_b32_e32 v9, 0x7f800000, v8
	v_cmp_ne_u32_e32 vcc, s87, v9
                                        ; implicit-def: $vgpr43
	s_and_saveexec_b64 s[44:45], vcc
	s_xor_b64 s[94:95], exec, s[44:45]
; %bb.3034:                             ;   in Loop: Header=BB8_2889 Depth=3
	v_bfe_u32 v9, v8, 16, 1
	v_add3_u32 v43, v8, v9, s96
                                        ; implicit-def: $vgpr8
; %bb.3035:                             ;   in Loop: Header=BB8_2889 Depth=3
	s_andn2_saveexec_b64 s[94:95], s[94:95]
; %bb.3036:                             ;   in Loop: Header=BB8_2889 Depth=3
	v_or_b32_e32 v9, 0x10000, v8
	v_cmp_eq_u32_sdwa vcc, v8, v2 src0_sel:WORD_0 src1_sel:DWORD
	v_cndmask_b32_e32 v43, v9, v8, vcc
; %bb.3037:                             ;   in Loop: Header=BB8_2889 Depth=3
	s_or_b64 exec, exec, s[94:95]
	v_lshlrev_b32_e32 v8, 16, v50
	v_mul_f32_e32 v8, v4, v8
	v_and_b32_e32 v9, 0x7f800000, v8
	v_cmp_ne_u32_e32 vcc, s87, v9
                                        ; implicit-def: $vgpr61
	s_and_saveexec_b64 s[44:45], vcc
	s_xor_b64 s[94:95], exec, s[44:45]
; %bb.3038:                             ;   in Loop: Header=BB8_2889 Depth=3
	v_bfe_u32 v9, v8, 16, 1
	v_add3_u32 v61, v8, v9, s96
                                        ; implicit-def: $vgpr8
; %bb.3039:                             ;   in Loop: Header=BB8_2889 Depth=3
	s_andn2_saveexec_b64 s[94:95], s[94:95]
; %bb.3040:                             ;   in Loop: Header=BB8_2889 Depth=3
	v_or_b32_e32 v9, 0x10000, v8
	v_cmp_eq_u32_sdwa vcc, v8, v2 src0_sel:WORD_0 src1_sel:DWORD
	v_cndmask_b32_e32 v61, v9, v8, vcc
; %bb.3041:                             ;   in Loop: Header=BB8_2889 Depth=3
	s_or_b64 exec, exec, s[94:95]
	v_and_b32_e32 v8, 0xffff0000, v50
	v_mul_f32_e32 v8, v4, v8
	v_and_b32_e32 v9, 0x7f800000, v8
	v_cmp_ne_u32_e32 vcc, s87, v9
                                        ; implicit-def: $vgpr42
	s_and_saveexec_b64 s[44:45], vcc
	s_xor_b64 s[94:95], exec, s[44:45]
; %bb.3042:                             ;   in Loop: Header=BB8_2889 Depth=3
	v_bfe_u32 v9, v8, 16, 1
	v_add3_u32 v42, v8, v9, s96
                                        ; implicit-def: $vgpr8
; %bb.3043:                             ;   in Loop: Header=BB8_2889 Depth=3
	s_andn2_saveexec_b64 s[94:95], s[94:95]
; %bb.3044:                             ;   in Loop: Header=BB8_2889 Depth=3
	v_or_b32_e32 v9, 0x10000, v8
	v_cmp_eq_u32_sdwa vcc, v8, v2 src0_sel:WORD_0 src1_sel:DWORD
	v_cndmask_b32_e32 v42, v9, v8, vcc
; %bb.3045:                             ;   in Loop: Header=BB8_2889 Depth=3
	s_or_b64 exec, exec, s[94:95]
	v_lshlrev_b32_e32 v8, 16, v51
	v_mul_f32_e32 v8, v4, v8
	v_and_b32_e32 v9, 0x7f800000, v8
	v_cmp_ne_u32_e32 vcc, s87, v9
                                        ; implicit-def: $vgpr60
	s_and_saveexec_b64 s[44:45], vcc
	s_xor_b64 s[94:95], exec, s[44:45]
; %bb.3046:                             ;   in Loop: Header=BB8_2889 Depth=3
	v_bfe_u32 v9, v8, 16, 1
	v_add3_u32 v60, v8, v9, s96
                                        ; implicit-def: $vgpr8
; %bb.3047:                             ;   in Loop: Header=BB8_2889 Depth=3
	s_andn2_saveexec_b64 s[94:95], s[94:95]
; %bb.3048:                             ;   in Loop: Header=BB8_2889 Depth=3
	v_or_b32_e32 v9, 0x10000, v8
	v_cmp_eq_u32_sdwa vcc, v8, v2 src0_sel:WORD_0 src1_sel:DWORD
	v_cndmask_b32_e32 v60, v9, v8, vcc
; %bb.3049:                             ;   in Loop: Header=BB8_2889 Depth=3
	s_or_b64 exec, exec, s[94:95]
	v_and_b32_e32 v8, 0xffff0000, v51
	v_mul_f32_e32 v8, v4, v8
	v_and_b32_e32 v9, 0x7f800000, v8
	v_cmp_ne_u32_e32 vcc, s87, v9
                                        ; implicit-def: $vgpr45
	s_and_saveexec_b64 s[44:45], vcc
	s_xor_b64 s[94:95], exec, s[44:45]
; %bb.3050:                             ;   in Loop: Header=BB8_2889 Depth=3
	v_bfe_u32 v9, v8, 16, 1
	v_add3_u32 v45, v8, v9, s96
                                        ; implicit-def: $vgpr8
; %bb.3051:                             ;   in Loop: Header=BB8_2889 Depth=3
	s_andn2_saveexec_b64 s[94:95], s[94:95]
; %bb.3052:                             ;   in Loop: Header=BB8_2889 Depth=3
	v_or_b32_e32 v9, 0x10000, v8
	v_cmp_eq_u32_sdwa vcc, v8, v2 src0_sel:WORD_0 src1_sel:DWORD
	v_cndmask_b32_e32 v45, v9, v8, vcc
; %bb.3053:                             ;   in Loop: Header=BB8_2889 Depth=3
	s_or_b64 exec, exec, s[94:95]
	v_lshlrev_b32_e32 v8, 16, v36
	v_mul_f32_e32 v8, v4, v8
	v_and_b32_e32 v9, 0x7f800000, v8
	v_cmp_ne_u32_e32 vcc, s87, v9
                                        ; implicit-def: $vgpr59
	s_and_saveexec_b64 s[44:45], vcc
	s_xor_b64 s[94:95], exec, s[44:45]
; %bb.3054:                             ;   in Loop: Header=BB8_2889 Depth=3
	v_bfe_u32 v9, v8, 16, 1
	v_add3_u32 v59, v8, v9, s96
                                        ; implicit-def: $vgpr8
; %bb.3055:                             ;   in Loop: Header=BB8_2889 Depth=3
	s_andn2_saveexec_b64 s[94:95], s[94:95]
; %bb.3056:                             ;   in Loop: Header=BB8_2889 Depth=3
	v_or_b32_e32 v9, 0x10000, v8
	v_cmp_eq_u32_sdwa vcc, v8, v2 src0_sel:WORD_0 src1_sel:DWORD
	v_cndmask_b32_e32 v59, v9, v8, vcc
; %bb.3057:                             ;   in Loop: Header=BB8_2889 Depth=3
	s_or_b64 exec, exec, s[94:95]
	v_and_b32_e32 v8, 0xffff0000, v36
	v_mul_f32_e32 v8, v4, v8
	v_and_b32_e32 v9, 0x7f800000, v8
	v_cmp_ne_u32_e32 vcc, s87, v9
                                        ; implicit-def: $vgpr50
	s_and_saveexec_b64 s[44:45], vcc
	s_xor_b64 s[94:95], exec, s[44:45]
; %bb.3058:                             ;   in Loop: Header=BB8_2889 Depth=3
	v_bfe_u32 v9, v8, 16, 1
	v_add3_u32 v50, v8, v9, s96
                                        ; implicit-def: $vgpr8
; %bb.3059:                             ;   in Loop: Header=BB8_2889 Depth=3
	s_andn2_saveexec_b64 s[94:95], s[94:95]
; %bb.3060:                             ;   in Loop: Header=BB8_2889 Depth=3
	v_or_b32_e32 v9, 0x10000, v8
	v_cmp_eq_u32_sdwa vcc, v8, v2 src0_sel:WORD_0 src1_sel:DWORD
	v_cndmask_b32_e32 v50, v9, v8, vcc
; %bb.3061:                             ;   in Loop: Header=BB8_2889 Depth=3
	s_or_b64 exec, exec, s[94:95]
	v_lshlrev_b32_e32 v8, 16, v37
	v_mul_f32_e32 v8, v4, v8
	v_and_b32_e32 v9, 0x7f800000, v8
	v_cmp_ne_u32_e32 vcc, s87, v9
                                        ; implicit-def: $vgpr51
	s_and_saveexec_b64 s[44:45], vcc
	s_xor_b64 s[94:95], exec, s[44:45]
; %bb.3062:                             ;   in Loop: Header=BB8_2889 Depth=3
	v_bfe_u32 v9, v8, 16, 1
	v_add3_u32 v51, v8, v9, s96
                                        ; implicit-def: $vgpr8
; %bb.3063:                             ;   in Loop: Header=BB8_2889 Depth=3
	s_andn2_saveexec_b64 s[94:95], s[94:95]
; %bb.3064:                             ;   in Loop: Header=BB8_2889 Depth=3
	v_or_b32_e32 v9, 0x10000, v8
	v_cmp_eq_u32_sdwa vcc, v8, v2 src0_sel:WORD_0 src1_sel:DWORD
	v_cndmask_b32_e32 v51, v9, v8, vcc
; %bb.3065:                             ;   in Loop: Header=BB8_2889 Depth=3
	s_or_b64 exec, exec, s[94:95]
	v_and_b32_e32 v8, 0xffff0000, v37
	v_mul_f32_e32 v8, v4, v8
	v_and_b32_e32 v9, 0x7f800000, v8
	v_cmp_ne_u32_e32 vcc, s87, v9
                                        ; implicit-def: $vgpr48
	s_and_saveexec_b64 s[44:45], vcc
	s_xor_b64 s[94:95], exec, s[44:45]
; %bb.3066:                             ;   in Loop: Header=BB8_2889 Depth=3
	v_bfe_u32 v9, v8, 16, 1
	v_add3_u32 v48, v8, v9, s96
                                        ; implicit-def: $vgpr8
; %bb.3067:                             ;   in Loop: Header=BB8_2889 Depth=3
	s_andn2_saveexec_b64 s[94:95], s[94:95]
; %bb.3068:                             ;   in Loop: Header=BB8_2889 Depth=3
	v_or_b32_e32 v9, 0x10000, v8
	v_cmp_eq_u32_sdwa vcc, v8, v2 src0_sel:WORD_0 src1_sel:DWORD
	v_cndmask_b32_e32 v48, v9, v8, vcc
; %bb.3069:                             ;   in Loop: Header=BB8_2889 Depth=3
	s_or_b64 exec, exec, s[94:95]
	v_lshlrev_b32_e32 v8, 16, v38
	v_mul_f32_e32 v8, v4, v8
	v_and_b32_e32 v9, 0x7f800000, v8
	v_cmp_ne_u32_e32 vcc, s87, v9
                                        ; implicit-def: $vgpr49
	s_and_saveexec_b64 s[44:45], vcc
	s_xor_b64 s[94:95], exec, s[44:45]
; %bb.3070:                             ;   in Loop: Header=BB8_2889 Depth=3
	v_bfe_u32 v9, v8, 16, 1
	v_add3_u32 v49, v8, v9, s96
                                        ; implicit-def: $vgpr8
; %bb.3071:                             ;   in Loop: Header=BB8_2889 Depth=3
	s_andn2_saveexec_b64 s[94:95], s[94:95]
; %bb.3072:                             ;   in Loop: Header=BB8_2889 Depth=3
	v_or_b32_e32 v9, 0x10000, v8
	v_cmp_eq_u32_sdwa vcc, v8, v2 src0_sel:WORD_0 src1_sel:DWORD
	v_cndmask_b32_e32 v49, v9, v8, vcc
; %bb.3073:                             ;   in Loop: Header=BB8_2889 Depth=3
	s_or_b64 exec, exec, s[94:95]
	v_and_b32_e32 v8, 0xffff0000, v38
	v_mul_f32_e32 v8, v4, v8
	v_and_b32_e32 v9, 0x7f800000, v8
	v_cmp_ne_u32_e32 vcc, s87, v9
                                        ; implicit-def: $vgpr37
	s_and_saveexec_b64 s[44:45], vcc
	s_xor_b64 s[94:95], exec, s[44:45]
; %bb.3074:                             ;   in Loop: Header=BB8_2889 Depth=3
	v_bfe_u32 v9, v8, 16, 1
	v_add3_u32 v37, v8, v9, s96
                                        ; implicit-def: $vgpr8
; %bb.3075:                             ;   in Loop: Header=BB8_2889 Depth=3
	s_andn2_saveexec_b64 s[94:95], s[94:95]
; %bb.3076:                             ;   in Loop: Header=BB8_2889 Depth=3
	v_or_b32_e32 v9, 0x10000, v8
	v_cmp_eq_u32_sdwa vcc, v8, v2 src0_sel:WORD_0 src1_sel:DWORD
	v_cndmask_b32_e32 v37, v9, v8, vcc
; %bb.3077:                             ;   in Loop: Header=BB8_2889 Depth=3
	s_or_b64 exec, exec, s[94:95]
	v_lshlrev_b32_e32 v8, 16, v39
	v_mul_f32_e32 v8, v4, v8
	v_and_b32_e32 v9, 0x7f800000, v8
	v_cmp_ne_u32_e32 vcc, s87, v9
                                        ; implicit-def: $vgpr38
	s_and_saveexec_b64 s[44:45], vcc
	s_xor_b64 s[94:95], exec, s[44:45]
; %bb.3078:                             ;   in Loop: Header=BB8_2889 Depth=3
	v_bfe_u32 v9, v8, 16, 1
	v_add3_u32 v38, v8, v9, s96
                                        ; implicit-def: $vgpr8
; %bb.3079:                             ;   in Loop: Header=BB8_2889 Depth=3
	s_andn2_saveexec_b64 s[94:95], s[94:95]
; %bb.3080:                             ;   in Loop: Header=BB8_2889 Depth=3
	v_or_b32_e32 v9, 0x10000, v8
	v_cmp_eq_u32_sdwa vcc, v8, v2 src0_sel:WORD_0 src1_sel:DWORD
	v_cndmask_b32_e32 v38, v9, v8, vcc
; %bb.3081:                             ;   in Loop: Header=BB8_2889 Depth=3
	s_or_b64 exec, exec, s[94:95]
	v_and_b32_e32 v8, 0xffff0000, v39
	v_mul_f32_e32 v8, v4, v8
	v_and_b32_e32 v9, 0x7f800000, v8
	v_cmp_ne_u32_e32 vcc, s87, v9
                                        ; implicit-def: $vgpr36
	s_and_saveexec_b64 s[44:45], vcc
	s_xor_b64 s[94:95], exec, s[44:45]
; %bb.3082:                             ;   in Loop: Header=BB8_2889 Depth=3
	v_bfe_u32 v9, v8, 16, 1
	v_add3_u32 v36, v8, v9, s96
                                        ; implicit-def: $vgpr8
; %bb.3083:                             ;   in Loop: Header=BB8_2889 Depth=3
	s_andn2_saveexec_b64 s[94:95], s[94:95]
; %bb.3084:                             ;   in Loop: Header=BB8_2889 Depth=3
	v_or_b32_e32 v9, 0x10000, v8
	v_cmp_eq_u32_sdwa vcc, v8, v2 src0_sel:WORD_0 src1_sel:DWORD
	v_cndmask_b32_e32 v36, v9, v8, vcc
; %bb.3085:                             ;   in Loop: Header=BB8_2889 Depth=3
	s_or_b64 exec, exec, s[94:95]
	v_and_b32_e32 v5, 0xffff0000, v5
	v_lshlrev_b32_e32 v8, 16, v24
	v_add_f32_e32 v8, v8, v5
	v_and_b32_e32 v5, 0x7f800000, v8
	v_cmp_ne_u32_e32 vcc, s87, v5
                                        ; implicit-def: $vgpr5
	s_and_saveexec_b64 s[44:45], vcc
	s_xor_b64 s[94:95], exec, s[44:45]
; %bb.3086:                             ;   in Loop: Header=BB8_2889 Depth=3
	v_bfe_u32 v5, v8, 16, 1
	v_add3_u32 v5, v8, v5, s96
                                        ; implicit-def: $vgpr8
; %bb.3087:                             ;   in Loop: Header=BB8_2889 Depth=3
	s_andn2_saveexec_b64 s[94:95], s[94:95]
; %bb.3088:                             ;   in Loop: Header=BB8_2889 Depth=3
	v_or_b32_e32 v5, 0x10000, v8
	v_cmp_eq_u32_sdwa vcc, v8, v2 src0_sel:WORD_0 src1_sel:DWORD
	v_cndmask_b32_e32 v5, v5, v8, vcc
; %bb.3089:                             ;   in Loop: Header=BB8_2889 Depth=3
	s_or_b64 exec, exec, s[94:95]
	v_and_b32_e32 v8, 0xffff0000, v24
	v_and_b32_e32 v3, 0xffff0000, v3
	v_add_f32_e32 v8, v8, v3
	v_and_b32_e32 v3, 0x7f800000, v8
	v_cmp_ne_u32_e32 vcc, s87, v3
                                        ; implicit-def: $vgpr3
	s_and_saveexec_b64 s[44:45], vcc
	s_xor_b64 s[94:95], exec, s[44:45]
; %bb.3090:                             ;   in Loop: Header=BB8_2889 Depth=3
	v_bfe_u32 v3, v8, 16, 1
	v_add3_u32 v3, v8, v3, s96
                                        ; implicit-def: $vgpr8
; %bb.3091:                             ;   in Loop: Header=BB8_2889 Depth=3
	s_andn2_saveexec_b64 s[94:95], s[94:95]
; %bb.3092:                             ;   in Loop: Header=BB8_2889 Depth=3
	v_or_b32_e32 v3, 0x10000, v8
	v_cmp_eq_u32_sdwa vcc, v8, v2 src0_sel:WORD_0 src1_sel:DWORD
	v_cndmask_b32_e32 v3, v3, v8, vcc
; %bb.3093:                             ;   in Loop: Header=BB8_2889 Depth=3
	s_or_b64 exec, exec, s[94:95]
	v_and_b32_e32 v8, 0xffff0000, v58
	v_lshlrev_b32_e32 v9, 16, v25
	v_add_f32_e32 v8, v9, v8
	v_and_b32_e32 v9, 0x7f800000, v8
	v_cmp_ne_u32_e32 vcc, s87, v9
                                        ; implicit-def: $vgpr24
	s_and_saveexec_b64 s[44:45], vcc
	s_xor_b64 s[94:95], exec, s[44:45]
; %bb.3094:                             ;   in Loop: Header=BB8_2889 Depth=3
	v_bfe_u32 v9, v8, 16, 1
	v_add3_u32 v24, v8, v9, s96
                                        ; implicit-def: $vgpr8
; %bb.3095:                             ;   in Loop: Header=BB8_2889 Depth=3
	s_andn2_saveexec_b64 s[94:95], s[94:95]
; %bb.3096:                             ;   in Loop: Header=BB8_2889 Depth=3
	v_or_b32_e32 v9, 0x10000, v8
	v_cmp_eq_u32_sdwa vcc, v8, v2 src0_sel:WORD_0 src1_sel:DWORD
	v_cndmask_b32_e32 v24, v9, v8, vcc
; %bb.3097:                             ;   in Loop: Header=BB8_2889 Depth=3
	s_or_b64 exec, exec, s[94:95]
	v_and_b32_e32 v8, 0xffff0000, v25
	v_and_b32_e32 v9, 0xffff0000, v43
	v_add_f32_e32 v8, v8, v9
	v_and_b32_e32 v9, 0x7f800000, v8
	v_cmp_ne_u32_e32 vcc, s87, v9
                                        ; implicit-def: $vgpr25
	s_and_saveexec_b64 s[44:45], vcc
	s_xor_b64 s[94:95], exec, s[44:45]
; %bb.3098:                             ;   in Loop: Header=BB8_2889 Depth=3
	v_bfe_u32 v9, v8, 16, 1
	v_add3_u32 v25, v8, v9, s96
                                        ; implicit-def: $vgpr8
; %bb.3099:                             ;   in Loop: Header=BB8_2889 Depth=3
	s_andn2_saveexec_b64 s[94:95], s[94:95]
; %bb.3100:                             ;   in Loop: Header=BB8_2889 Depth=3
	v_or_b32_e32 v9, 0x10000, v8
	v_cmp_eq_u32_sdwa vcc, v8, v2 src0_sel:WORD_0 src1_sel:DWORD
	v_cndmask_b32_e32 v25, v9, v8, vcc
; %bb.3101:                             ;   in Loop: Header=BB8_2889 Depth=3
	s_or_b64 exec, exec, s[94:95]
	v_and_b32_e32 v8, 0xffff0000, v61
	v_lshlrev_b32_e32 v9, 16, v26
	v_add_f32_e32 v8, v9, v8
	v_and_b32_e32 v9, 0x7f800000, v8
	v_cmp_ne_u32_e32 vcc, s87, v9
                                        ; implicit-def: $vgpr30
	s_and_saveexec_b64 s[44:45], vcc
	s_xor_b64 s[94:95], exec, s[44:45]
; %bb.3102:                             ;   in Loop: Header=BB8_2889 Depth=3
	v_bfe_u32 v9, v8, 16, 1
	v_add3_u32 v30, v8, v9, s96
                                        ; implicit-def: $vgpr8
; %bb.3103:                             ;   in Loop: Header=BB8_2889 Depth=3
	s_andn2_saveexec_b64 s[94:95], s[94:95]
; %bb.3104:                             ;   in Loop: Header=BB8_2889 Depth=3
	v_or_b32_e32 v9, 0x10000, v8
	v_cmp_eq_u32_sdwa vcc, v8, v2 src0_sel:WORD_0 src1_sel:DWORD
	v_cndmask_b32_e32 v30, v9, v8, vcc
; %bb.3105:                             ;   in Loop: Header=BB8_2889 Depth=3
	s_or_b64 exec, exec, s[94:95]
	v_and_b32_e32 v8, 0xffff0000, v26
	v_and_b32_e32 v9, 0xffff0000, v42
	v_add_f32_e32 v8, v8, v9
	v_and_b32_e32 v9, 0x7f800000, v8
	v_cmp_ne_u32_e32 vcc, s87, v9
                                        ; implicit-def: $vgpr26
	s_and_saveexec_b64 s[44:45], vcc
	s_xor_b64 s[94:95], exec, s[44:45]
; %bb.3106:                             ;   in Loop: Header=BB8_2889 Depth=3
	v_bfe_u32 v9, v8, 16, 1
	v_add3_u32 v26, v8, v9, s96
                                        ; implicit-def: $vgpr8
; %bb.3107:                             ;   in Loop: Header=BB8_2889 Depth=3
	s_andn2_saveexec_b64 s[94:95], s[94:95]
; %bb.3108:                             ;   in Loop: Header=BB8_2889 Depth=3
	v_or_b32_e32 v9, 0x10000, v8
	v_cmp_eq_u32_sdwa vcc, v8, v2 src0_sel:WORD_0 src1_sel:DWORD
	v_cndmask_b32_e32 v26, v9, v8, vcc
; %bb.3109:                             ;   in Loop: Header=BB8_2889 Depth=3
	s_or_b64 exec, exec, s[94:95]
	v_and_b32_e32 v8, 0xffff0000, v60
	v_lshlrev_b32_e32 v9, 16, v27
	v_add_f32_e32 v8, v9, v8
	v_and_b32_e32 v9, 0x7f800000, v8
	v_cmp_ne_u32_e32 vcc, s87, v9
                                        ; implicit-def: $vgpr31
	s_and_saveexec_b64 s[44:45], vcc
	s_xor_b64 s[94:95], exec, s[44:45]
; %bb.3110:                             ;   in Loop: Header=BB8_2889 Depth=3
	v_bfe_u32 v9, v8, 16, 1
	v_add3_u32 v31, v8, v9, s96
                                        ; implicit-def: $vgpr8
; %bb.3111:                             ;   in Loop: Header=BB8_2889 Depth=3
	s_andn2_saveexec_b64 s[94:95], s[94:95]
; %bb.3112:                             ;   in Loop: Header=BB8_2889 Depth=3
	v_or_b32_e32 v9, 0x10000, v8
	v_cmp_eq_u32_sdwa vcc, v8, v2 src0_sel:WORD_0 src1_sel:DWORD
	v_cndmask_b32_e32 v31, v9, v8, vcc
; %bb.3113:                             ;   in Loop: Header=BB8_2889 Depth=3
	s_or_b64 exec, exec, s[94:95]
	v_and_b32_e32 v8, 0xffff0000, v27
	v_and_b32_e32 v9, 0xffff0000, v45
	v_add_f32_e32 v8, v8, v9
	v_and_b32_e32 v9, 0x7f800000, v8
	v_cmp_ne_u32_e32 vcc, s87, v9
                                        ; implicit-def: $vgpr27
	s_and_saveexec_b64 s[44:45], vcc
	s_xor_b64 s[94:95], exec, s[44:45]
; %bb.3114:                             ;   in Loop: Header=BB8_2889 Depth=3
	v_bfe_u32 v9, v8, 16, 1
	v_add3_u32 v27, v8, v9, s96
                                        ; implicit-def: $vgpr8
; %bb.3115:                             ;   in Loop: Header=BB8_2889 Depth=3
	s_andn2_saveexec_b64 s[94:95], s[94:95]
; %bb.3116:                             ;   in Loop: Header=BB8_2889 Depth=3
	v_or_b32_e32 v9, 0x10000, v8
	v_cmp_eq_u32_sdwa vcc, v8, v2 src0_sel:WORD_0 src1_sel:DWORD
	v_cndmask_b32_e32 v27, v9, v8, vcc
; %bb.3117:                             ;   in Loop: Header=BB8_2889 Depth=3
	s_or_b64 exec, exec, s[94:95]
	v_and_b32_e32 v8, 0xffff0000, v59
	v_lshlrev_b32_e32 v9, 16, v20
	v_add_f32_e32 v8, v9, v8
	v_and_b32_e32 v9, 0x7f800000, v8
	v_cmp_ne_u32_e32 vcc, s87, v9
                                        ; implicit-def: $vgpr39
	s_and_saveexec_b64 s[44:45], vcc
	s_xor_b64 s[94:95], exec, s[44:45]
; %bb.3118:                             ;   in Loop: Header=BB8_2889 Depth=3
	v_bfe_u32 v9, v8, 16, 1
	v_add3_u32 v39, v8, v9, s96
                                        ; implicit-def: $vgpr8
; %bb.3119:                             ;   in Loop: Header=BB8_2889 Depth=3
	s_andn2_saveexec_b64 s[94:95], s[94:95]
; %bb.3120:                             ;   in Loop: Header=BB8_2889 Depth=3
	v_or_b32_e32 v9, 0x10000, v8
	v_cmp_eq_u32_sdwa vcc, v8, v2 src0_sel:WORD_0 src1_sel:DWORD
	v_cndmask_b32_e32 v39, v9, v8, vcc
; %bb.3121:                             ;   in Loop: Header=BB8_2889 Depth=3
	s_or_b64 exec, exec, s[94:95]
	v_and_b32_e32 v8, 0xffff0000, v20
	v_and_b32_e32 v9, 0xffff0000, v50
	v_add_f32_e32 v8, v8, v9
	v_and_b32_e32 v9, 0x7f800000, v8
	v_cmp_ne_u32_e32 vcc, s87, v9
                                        ; implicit-def: $vgpr20
	s_and_saveexec_b64 s[44:45], vcc
	s_xor_b64 s[94:95], exec, s[44:45]
; %bb.3122:                             ;   in Loop: Header=BB8_2889 Depth=3
	v_bfe_u32 v9, v8, 16, 1
	v_add3_u32 v20, v8, v9, s96
                                        ; implicit-def: $vgpr8
; %bb.3123:                             ;   in Loop: Header=BB8_2889 Depth=3
	s_andn2_saveexec_b64 s[94:95], s[94:95]
; %bb.3124:                             ;   in Loop: Header=BB8_2889 Depth=3
	v_or_b32_e32 v9, 0x10000, v8
	v_cmp_eq_u32_sdwa vcc, v8, v2 src0_sel:WORD_0 src1_sel:DWORD
	v_cndmask_b32_e32 v20, v9, v8, vcc
; %bb.3125:                             ;   in Loop: Header=BB8_2889 Depth=3
	s_or_b64 exec, exec, s[94:95]
	v_and_b32_e32 v8, 0xffff0000, v51
	v_lshlrev_b32_e32 v9, 16, v21
	v_add_f32_e32 v8, v9, v8
	v_and_b32_e32 v9, 0x7f800000, v8
	v_cmp_ne_u32_e32 vcc, s87, v9
                                        ; implicit-def: $vgpr50
	s_and_saveexec_b64 s[44:45], vcc
	s_xor_b64 s[94:95], exec, s[44:45]
; %bb.3126:                             ;   in Loop: Header=BB8_2889 Depth=3
	v_bfe_u32 v9, v8, 16, 1
	v_add3_u32 v50, v8, v9, s96
                                        ; implicit-def: $vgpr8
; %bb.3127:                             ;   in Loop: Header=BB8_2889 Depth=3
	s_andn2_saveexec_b64 s[94:95], s[94:95]
; %bb.3128:                             ;   in Loop: Header=BB8_2889 Depth=3
	v_or_b32_e32 v9, 0x10000, v8
	v_cmp_eq_u32_sdwa vcc, v8, v2 src0_sel:WORD_0 src1_sel:DWORD
	v_cndmask_b32_e32 v50, v9, v8, vcc
; %bb.3129:                             ;   in Loop: Header=BB8_2889 Depth=3
	s_or_b64 exec, exec, s[94:95]
	v_and_b32_e32 v8, 0xffff0000, v21
	v_and_b32_e32 v9, 0xffff0000, v48
	v_add_f32_e32 v8, v8, v9
	v_and_b32_e32 v9, 0x7f800000, v8
	v_cmp_ne_u32_e32 vcc, s87, v9
                                        ; implicit-def: $vgpr21
	s_and_saveexec_b64 s[44:45], vcc
	s_xor_b64 s[94:95], exec, s[44:45]
; %bb.3130:                             ;   in Loop: Header=BB8_2889 Depth=3
	v_bfe_u32 v9, v8, 16, 1
	v_add3_u32 v21, v8, v9, s96
                                        ; implicit-def: $vgpr8
; %bb.3131:                             ;   in Loop: Header=BB8_2889 Depth=3
	s_andn2_saveexec_b64 s[94:95], s[94:95]
; %bb.3132:                             ;   in Loop: Header=BB8_2889 Depth=3
	v_or_b32_e32 v9, 0x10000, v8
	v_cmp_eq_u32_sdwa vcc, v8, v2 src0_sel:WORD_0 src1_sel:DWORD
	v_cndmask_b32_e32 v21, v9, v8, vcc
; %bb.3133:                             ;   in Loop: Header=BB8_2889 Depth=3
	s_or_b64 exec, exec, s[94:95]
	v_and_b32_e32 v8, 0xffff0000, v49
	v_lshlrev_b32_e32 v9, 16, v22
	v_add_f32_e32 v8, v9, v8
	v_and_b32_e32 v9, 0x7f800000, v8
	v_cmp_ne_u32_e32 vcc, s87, v9
                                        ; implicit-def: $vgpr48
	s_and_saveexec_b64 s[44:45], vcc
	s_xor_b64 s[94:95], exec, s[44:45]
; %bb.3134:                             ;   in Loop: Header=BB8_2889 Depth=3
	v_bfe_u32 v9, v8, 16, 1
	v_add3_u32 v48, v8, v9, s96
                                        ; implicit-def: $vgpr8
; %bb.3135:                             ;   in Loop: Header=BB8_2889 Depth=3
	s_andn2_saveexec_b64 s[94:95], s[94:95]
; %bb.3136:                             ;   in Loop: Header=BB8_2889 Depth=3
	v_or_b32_e32 v9, 0x10000, v8
	v_cmp_eq_u32_sdwa vcc, v8, v2 src0_sel:WORD_0 src1_sel:DWORD
	v_cndmask_b32_e32 v48, v9, v8, vcc
; %bb.3137:                             ;   in Loop: Header=BB8_2889 Depth=3
	s_or_b64 exec, exec, s[94:95]
	v_and_b32_e32 v8, 0xffff0000, v22
	v_and_b32_e32 v9, 0xffff0000, v37
	v_add_f32_e32 v8, v8, v9
	v_and_b32_e32 v9, 0x7f800000, v8
	v_cmp_ne_u32_e32 vcc, s87, v9
                                        ; implicit-def: $vgpr22
	s_and_saveexec_b64 s[44:45], vcc
	s_xor_b64 s[94:95], exec, s[44:45]
; %bb.3138:                             ;   in Loop: Header=BB8_2889 Depth=3
	v_bfe_u32 v9, v8, 16, 1
	v_add3_u32 v22, v8, v9, s96
                                        ; implicit-def: $vgpr8
; %bb.3139:                             ;   in Loop: Header=BB8_2889 Depth=3
	s_andn2_saveexec_b64 s[94:95], s[94:95]
; %bb.3140:                             ;   in Loop: Header=BB8_2889 Depth=3
	v_or_b32_e32 v9, 0x10000, v8
	v_cmp_eq_u32_sdwa vcc, v8, v2 src0_sel:WORD_0 src1_sel:DWORD
	v_cndmask_b32_e32 v22, v9, v8, vcc
; %bb.3141:                             ;   in Loop: Header=BB8_2889 Depth=3
	s_or_b64 exec, exec, s[94:95]
	v_and_b32_e32 v8, 0xffff0000, v38
	v_lshlrev_b32_e32 v9, 16, v23
	v_add_f32_e32 v8, v9, v8
	v_and_b32_e32 v9, 0x7f800000, v8
	v_cmp_ne_u32_e32 vcc, s87, v9
                                        ; implicit-def: $vgpr37
	s_and_saveexec_b64 s[44:45], vcc
	s_xor_b64 s[94:95], exec, s[44:45]
; %bb.3142:                             ;   in Loop: Header=BB8_2889 Depth=3
	v_bfe_u32 v9, v8, 16, 1
	v_add3_u32 v37, v8, v9, s96
                                        ; implicit-def: $vgpr8
; %bb.3143:                             ;   in Loop: Header=BB8_2889 Depth=3
	s_andn2_saveexec_b64 s[94:95], s[94:95]
; %bb.3144:                             ;   in Loop: Header=BB8_2889 Depth=3
	v_or_b32_e32 v9, 0x10000, v8
	v_cmp_eq_u32_sdwa vcc, v8, v2 src0_sel:WORD_0 src1_sel:DWORD
	v_cndmask_b32_e32 v37, v9, v8, vcc
; %bb.3145:                             ;   in Loop: Header=BB8_2889 Depth=3
	s_or_b64 exec, exec, s[94:95]
	v_and_b32_e32 v8, 0xffff0000, v23
	v_and_b32_e32 v9, 0xffff0000, v36
	v_add_f32_e32 v9, v8, v9
	v_and_b32_e32 v8, 0x7f800000, v9
	v_cmp_ne_u32_e32 vcc, s87, v8
                                        ; implicit-def: $vgpr8
	s_and_saveexec_b64 s[44:45], vcc
	s_xor_b64 s[94:95], exec, s[44:45]
; %bb.3146:                             ;   in Loop: Header=BB8_2889 Depth=3
	v_bfe_u32 v8, v9, 16, 1
	v_add3_u32 v8, v9, v8, s96
                                        ; implicit-def: $vgpr9
; %bb.3147:                             ;   in Loop: Header=BB8_2889 Depth=3
	s_andn2_saveexec_b64 s[94:95], s[94:95]
	s_cbranch_execz .LBB8_2888
; %bb.3148:                             ;   in Loop: Header=BB8_2889 Depth=3
	v_or_b32_e32 v8, 0x10000, v9
	v_cmp_eq_u32_sdwa vcc, v9, v2 src0_sel:WORD_0 src1_sel:DWORD
	v_cndmask_b32_e32 v8, v8, v9, vcc
	s_branch .LBB8_2888
.LBB8_3149:                             ;   in Loop: Header=BB8_1939 Depth=2
	s_mov_b64 s[42:43], 0
	s_andn2_b64 vcc, exec, s[40:41]
	v_mov_b32_e32 v10, 0
	s_cbranch_vccz .LBB8_2886
.LBB8_3150:                             ;   in Loop: Header=BB8_1939 Depth=2
	buffer_load_dword v0, off, s[0:3], s33 offset:304 ; 4-byte Folded Reload
	buffer_load_dword v11, off, s[0:3], s33 offset:272 ; 4-byte Folded Reload
	s_and_saveexec_b64 s[40:41], s[42:43]
	s_cbranch_execnz .LBB8_3494
	s_branch .LBB8_3733
.LBB8_3151:                             ;   in Loop: Header=BB8_1939 Depth=2
	s_or_b64 exec, exec, s[40:41]
	buffer_load_dword v29, off, s[0:3], s33 offset:388 ; 4-byte Folded Reload
	s_and_b64 s[40:41], s[90:91], exec
.LBB8_3152:                             ;   in Loop: Header=BB8_1939 Depth=2
	s_or_b64 exec, exec, s[28:29]
	s_and_saveexec_b64 s[28:29], s[40:41]
	s_cbranch_execz .LBB8_3282
; %bb.3153:                             ;   in Loop: Header=BB8_1939 Depth=2
	s_trap 2
	ds_read_b32 v3, v0
	s_waitcnt lgkmcnt(0)
	v_lshlrev_b32_e32 v5, 16, v3
	v_lshlrev_b32_e32 v3, 16, v32
	v_mul_f32_e32 v3, v3, v5
	v_and_b32_e32 v4, 0x7f800000, v3
	v_cmp_ne_u32_e32 vcc, s87, v4
                                        ; implicit-def: $vgpr4
	s_and_saveexec_b64 s[40:41], vcc
	s_xor_b64 s[40:41], exec, s[40:41]
; %bb.3154:                             ;   in Loop: Header=BB8_1939 Depth=2
	v_bfe_u32 v4, v3, 16, 1
	v_add3_u32 v4, v3, v4, s96
                                        ; implicit-def: $vgpr3
; %bb.3155:                             ;   in Loop: Header=BB8_1939 Depth=2
	s_andn2_saveexec_b64 s[40:41], s[40:41]
; %bb.3156:                             ;   in Loop: Header=BB8_1939 Depth=2
	v_or_b32_e32 v4, 0x10000, v3
	v_cmp_eq_u32_sdwa vcc, v3, v2 src0_sel:WORD_0 src1_sel:DWORD
	v_cndmask_b32_e32 v4, v4, v3, vcc
; %bb.3157:                             ;   in Loop: Header=BB8_1939 Depth=2
	s_or_b64 exec, exec, s[40:41]
	v_and_b32_e32 v3, 0xffff0000, v32
	v_mul_f32_e32 v6, v3, v5
	v_and_b32_e32 v3, 0x7f800000, v6
	v_cmp_ne_u32_e32 vcc, s87, v3
                                        ; implicit-def: $vgpr3
	s_and_saveexec_b64 s[40:41], vcc
	s_xor_b64 s[40:41], exec, s[40:41]
; %bb.3158:                             ;   in Loop: Header=BB8_1939 Depth=2
	v_bfe_u32 v3, v6, 16, 1
	v_add3_u32 v3, v6, v3, s96
                                        ; implicit-def: $vgpr6
; %bb.3159:                             ;   in Loop: Header=BB8_1939 Depth=2
	s_andn2_saveexec_b64 s[40:41], s[40:41]
; %bb.3160:                             ;   in Loop: Header=BB8_1939 Depth=2
	v_or_b32_e32 v3, 0x10000, v6
	v_cmp_eq_u32_sdwa vcc, v6, v2 src0_sel:WORD_0 src1_sel:DWORD
	v_cndmask_b32_e32 v3, v3, v6, vcc
; %bb.3161:                             ;   in Loop: Header=BB8_1939 Depth=2
	s_or_b64 exec, exec, s[40:41]
	v_lshlrev_b32_e32 v6, 16, v33
	v_mul_f32_e32 v6, v6, v5
	v_and_b32_e32 v7, 0x7f800000, v6
	v_cmp_ne_u32_e32 vcc, s87, v7
                                        ; implicit-def: $vgpr28
	s_and_saveexec_b64 s[40:41], vcc
	s_xor_b64 s[40:41], exec, s[40:41]
; %bb.3162:                             ;   in Loop: Header=BB8_1939 Depth=2
	v_bfe_u32 v7, v6, 16, 1
	v_add3_u32 v28, v6, v7, s96
                                        ; implicit-def: $vgpr6
; %bb.3163:                             ;   in Loop: Header=BB8_1939 Depth=2
	s_andn2_saveexec_b64 s[40:41], s[40:41]
; %bb.3164:                             ;   in Loop: Header=BB8_1939 Depth=2
	v_or_b32_e32 v7, 0x10000, v6
	v_cmp_eq_u32_sdwa vcc, v6, v2 src0_sel:WORD_0 src1_sel:DWORD
	v_cndmask_b32_e32 v28, v7, v6, vcc
; %bb.3165:                             ;   in Loop: Header=BB8_1939 Depth=2
	s_or_b64 exec, exec, s[40:41]
	v_and_b32_e32 v6, 0xffff0000, v33
	v_mul_f32_e32 v6, v6, v5
	v_and_b32_e32 v7, 0x7f800000, v6
	v_cmp_ne_u32_e32 vcc, s87, v7
                                        ; implicit-def: $vgpr26
	s_and_saveexec_b64 s[40:41], vcc
	s_xor_b64 s[40:41], exec, s[40:41]
; %bb.3166:                             ;   in Loop: Header=BB8_1939 Depth=2
	v_bfe_u32 v7, v6, 16, 1
	v_add3_u32 v26, v6, v7, s96
                                        ; implicit-def: $vgpr6
; %bb.3167:                             ;   in Loop: Header=BB8_1939 Depth=2
	s_andn2_saveexec_b64 s[40:41], s[40:41]
; %bb.3168:                             ;   in Loop: Header=BB8_1939 Depth=2
	v_or_b32_e32 v7, 0x10000, v6
	v_cmp_eq_u32_sdwa vcc, v6, v2 src0_sel:WORD_0 src1_sel:DWORD
	v_cndmask_b32_e32 v26, v7, v6, vcc
; %bb.3169:                             ;   in Loop: Header=BB8_1939 Depth=2
	s_or_b64 exec, exec, s[40:41]
	v_lshlrev_b32_e32 v6, 16, v34
	v_mul_f32_e32 v6, v6, v5
	v_and_b32_e32 v7, 0x7f800000, v6
	v_cmp_ne_u32_e32 vcc, s87, v7
                                        ; implicit-def: $vgpr27
	s_and_saveexec_b64 s[40:41], vcc
	s_xor_b64 s[40:41], exec, s[40:41]
; %bb.3170:                             ;   in Loop: Header=BB8_1939 Depth=2
	v_bfe_u32 v7, v6, 16, 1
	v_add3_u32 v27, v6, v7, s96
                                        ; implicit-def: $vgpr6
; %bb.3171:                             ;   in Loop: Header=BB8_1939 Depth=2
	s_andn2_saveexec_b64 s[40:41], s[40:41]
; %bb.3172:                             ;   in Loop: Header=BB8_1939 Depth=2
	v_or_b32_e32 v7, 0x10000, v6
	v_cmp_eq_u32_sdwa vcc, v6, v2 src0_sel:WORD_0 src1_sel:DWORD
	v_cndmask_b32_e32 v27, v7, v6, vcc
; %bb.3173:                             ;   in Loop: Header=BB8_1939 Depth=2
	s_or_b64 exec, exec, s[40:41]
	v_and_b32_e32 v6, 0xffff0000, v34
	v_mul_f32_e32 v6, v6, v5
	v_and_b32_e32 v7, 0x7f800000, v6
	v_cmp_ne_u32_e32 vcc, s87, v7
                                        ; implicit-def: $vgpr24
	s_and_saveexec_b64 s[40:41], vcc
	s_xor_b64 s[40:41], exec, s[40:41]
; %bb.3174:                             ;   in Loop: Header=BB8_1939 Depth=2
	v_bfe_u32 v7, v6, 16, 1
	v_add3_u32 v24, v6, v7, s96
                                        ; implicit-def: $vgpr6
; %bb.3175:                             ;   in Loop: Header=BB8_1939 Depth=2
	s_andn2_saveexec_b64 s[40:41], s[40:41]
; %bb.3176:                             ;   in Loop: Header=BB8_1939 Depth=2
	v_or_b32_e32 v7, 0x10000, v6
	v_cmp_eq_u32_sdwa vcc, v6, v2 src0_sel:WORD_0 src1_sel:DWORD
	v_cndmask_b32_e32 v24, v7, v6, vcc
; %bb.3177:                             ;   in Loop: Header=BB8_1939 Depth=2
	s_or_b64 exec, exec, s[40:41]
	v_lshlrev_b32_e32 v6, 16, v35
	v_mul_f32_e32 v6, v6, v5
	v_and_b32_e32 v7, 0x7f800000, v6
	v_cmp_ne_u32_e32 vcc, s87, v7
                                        ; implicit-def: $vgpr25
	s_and_saveexec_b64 s[40:41], vcc
	s_xor_b64 s[40:41], exec, s[40:41]
; %bb.3178:                             ;   in Loop: Header=BB8_1939 Depth=2
	v_bfe_u32 v7, v6, 16, 1
	v_add3_u32 v25, v6, v7, s96
                                        ; implicit-def: $vgpr6
; %bb.3179:                             ;   in Loop: Header=BB8_1939 Depth=2
	s_andn2_saveexec_b64 s[40:41], s[40:41]
; %bb.3180:                             ;   in Loop: Header=BB8_1939 Depth=2
	v_or_b32_e32 v7, 0x10000, v6
	v_cmp_eq_u32_sdwa vcc, v6, v2 src0_sel:WORD_0 src1_sel:DWORD
	v_cndmask_b32_e32 v25, v7, v6, vcc
; %bb.3181:                             ;   in Loop: Header=BB8_1939 Depth=2
	s_or_b64 exec, exec, s[40:41]
	v_and_b32_e32 v6, 0xffff0000, v35
	v_mul_f32_e32 v6, v6, v5
	v_and_b32_e32 v7, 0x7f800000, v6
	v_cmp_ne_u32_e32 vcc, s87, v7
                                        ; implicit-def: $vgpr22
	s_and_saveexec_b64 s[40:41], vcc
	s_xor_b64 s[40:41], exec, s[40:41]
; %bb.3182:                             ;   in Loop: Header=BB8_1939 Depth=2
	v_bfe_u32 v7, v6, 16, 1
	v_add3_u32 v22, v6, v7, s96
                                        ; implicit-def: $vgpr6
; %bb.3183:                             ;   in Loop: Header=BB8_1939 Depth=2
	s_andn2_saveexec_b64 s[40:41], s[40:41]
; %bb.3184:                             ;   in Loop: Header=BB8_1939 Depth=2
	v_or_b32_e32 v7, 0x10000, v6
	v_cmp_eq_u32_sdwa vcc, v6, v2 src0_sel:WORD_0 src1_sel:DWORD
	v_cndmask_b32_e32 v22, v7, v6, vcc
; %bb.3185:                             ;   in Loop: Header=BB8_1939 Depth=2
	s_or_b64 exec, exec, s[40:41]
	v_lshlrev_b32_e32 v6, 16, v16
	v_mul_f32_e32 v6, v6, v5
	v_and_b32_e32 v7, 0x7f800000, v6
	v_cmp_ne_u32_e32 vcc, s87, v7
                                        ; implicit-def: $vgpr23
	s_and_saveexec_b64 s[40:41], vcc
	s_xor_b64 s[40:41], exec, s[40:41]
; %bb.3186:                             ;   in Loop: Header=BB8_1939 Depth=2
	v_bfe_u32 v7, v6, 16, 1
	v_add3_u32 v23, v6, v7, s96
                                        ; implicit-def: $vgpr6
; %bb.3187:                             ;   in Loop: Header=BB8_1939 Depth=2
	s_andn2_saveexec_b64 s[40:41], s[40:41]
; %bb.3188:                             ;   in Loop: Header=BB8_1939 Depth=2
	v_or_b32_e32 v7, 0x10000, v6
	v_cmp_eq_u32_sdwa vcc, v6, v2 src0_sel:WORD_0 src1_sel:DWORD
	v_cndmask_b32_e32 v23, v7, v6, vcc
; %bb.3189:                             ;   in Loop: Header=BB8_1939 Depth=2
	s_or_b64 exec, exec, s[40:41]
	v_and_b32_e32 v6, 0xffff0000, v16
	v_mul_f32_e32 v6, v6, v5
	v_and_b32_e32 v7, 0x7f800000, v6
	v_cmp_ne_u32_e32 vcc, s87, v7
                                        ; implicit-def: $vgpr20
	s_and_saveexec_b64 s[40:41], vcc
	s_xor_b64 s[40:41], exec, s[40:41]
; %bb.3190:                             ;   in Loop: Header=BB8_1939 Depth=2
	v_bfe_u32 v7, v6, 16, 1
	v_add3_u32 v20, v6, v7, s96
                                        ; implicit-def: $vgpr6
; %bb.3191:                             ;   in Loop: Header=BB8_1939 Depth=2
	s_andn2_saveexec_b64 s[40:41], s[40:41]
; %bb.3192:                             ;   in Loop: Header=BB8_1939 Depth=2
	v_or_b32_e32 v7, 0x10000, v6
	v_cmp_eq_u32_sdwa vcc, v6, v2 src0_sel:WORD_0 src1_sel:DWORD
	v_cndmask_b32_e32 v20, v7, v6, vcc
; %bb.3193:                             ;   in Loop: Header=BB8_1939 Depth=2
	s_or_b64 exec, exec, s[40:41]
	v_lshlrev_b32_e32 v6, 16, v17
	v_mul_f32_e32 v6, v6, v5
	v_and_b32_e32 v7, 0x7f800000, v6
	v_cmp_ne_u32_e32 vcc, s87, v7
                                        ; implicit-def: $vgpr21
	s_and_saveexec_b64 s[40:41], vcc
	s_xor_b64 s[40:41], exec, s[40:41]
; %bb.3194:                             ;   in Loop: Header=BB8_1939 Depth=2
	v_bfe_u32 v7, v6, 16, 1
	v_add3_u32 v21, v6, v7, s96
                                        ; implicit-def: $vgpr6
; %bb.3195:                             ;   in Loop: Header=BB8_1939 Depth=2
	s_andn2_saveexec_b64 s[40:41], s[40:41]
; %bb.3196:                             ;   in Loop: Header=BB8_1939 Depth=2
	v_or_b32_e32 v7, 0x10000, v6
	v_cmp_eq_u32_sdwa vcc, v6, v2 src0_sel:WORD_0 src1_sel:DWORD
	v_cndmask_b32_e32 v21, v7, v6, vcc
; %bb.3197:                             ;   in Loop: Header=BB8_1939 Depth=2
	s_or_b64 exec, exec, s[40:41]
	v_and_b32_e32 v6, 0xffff0000, v17
	v_mul_f32_e32 v6, v6, v5
	v_and_b32_e32 v7, 0x7f800000, v6
	v_cmp_ne_u32_e32 vcc, s87, v7
                                        ; implicit-def: $vgpr16
	s_and_saveexec_b64 s[40:41], vcc
	s_xor_b64 s[40:41], exec, s[40:41]
; %bb.3198:                             ;   in Loop: Header=BB8_1939 Depth=2
	v_bfe_u32 v7, v6, 16, 1
	v_add3_u32 v16, v6, v7, s96
                                        ; implicit-def: $vgpr6
; %bb.3199:                             ;   in Loop: Header=BB8_1939 Depth=2
	s_andn2_saveexec_b64 s[40:41], s[40:41]
; %bb.3200:                             ;   in Loop: Header=BB8_1939 Depth=2
	v_or_b32_e32 v7, 0x10000, v6
	v_cmp_eq_u32_sdwa vcc, v6, v2 src0_sel:WORD_0 src1_sel:DWORD
	v_cndmask_b32_e32 v16, v7, v6, vcc
; %bb.3201:                             ;   in Loop: Header=BB8_1939 Depth=2
	s_or_b64 exec, exec, s[40:41]
	v_lshlrev_b32_e32 v6, 16, v18
	v_mul_f32_e32 v6, v6, v5
	v_and_b32_e32 v7, 0x7f800000, v6
	v_cmp_ne_u32_e32 vcc, s87, v7
                                        ; implicit-def: $vgpr17
	s_and_saveexec_b64 s[40:41], vcc
	s_xor_b64 s[40:41], exec, s[40:41]
; %bb.3202:                             ;   in Loop: Header=BB8_1939 Depth=2
	v_bfe_u32 v7, v6, 16, 1
	v_add3_u32 v17, v6, v7, s96
                                        ; implicit-def: $vgpr6
; %bb.3203:                             ;   in Loop: Header=BB8_1939 Depth=2
	s_andn2_saveexec_b64 s[40:41], s[40:41]
; %bb.3204:                             ;   in Loop: Header=BB8_1939 Depth=2
	v_or_b32_e32 v7, 0x10000, v6
	v_cmp_eq_u32_sdwa vcc, v6, v2 src0_sel:WORD_0 src1_sel:DWORD
	v_cndmask_b32_e32 v17, v7, v6, vcc
; %bb.3205:                             ;   in Loop: Header=BB8_1939 Depth=2
	s_or_b64 exec, exec, s[40:41]
	v_and_b32_e32 v6, 0xffff0000, v18
	v_mul_f32_e32 v7, v6, v5
	v_and_b32_e32 v6, 0x7f800000, v7
	v_cmp_ne_u32_e32 vcc, s87, v6
                                        ; implicit-def: $vgpr6
	s_and_saveexec_b64 s[40:41], vcc
	s_xor_b64 s[40:41], exec, s[40:41]
; %bb.3206:                             ;   in Loop: Header=BB8_1939 Depth=2
	v_bfe_u32 v6, v7, 16, 1
	v_add3_u32 v6, v7, v6, s96
                                        ; implicit-def: $vgpr7
; %bb.3207:                             ;   in Loop: Header=BB8_1939 Depth=2
	s_andn2_saveexec_b64 s[40:41], s[40:41]
; %bb.3208:                             ;   in Loop: Header=BB8_1939 Depth=2
	v_or_b32_e32 v6, 0x10000, v7
	v_cmp_eq_u32_sdwa vcc, v7, v2 src0_sel:WORD_0 src1_sel:DWORD
	v_cndmask_b32_e32 v6, v6, v7, vcc
; %bb.3209:                             ;   in Loop: Header=BB8_1939 Depth=2
	s_or_b64 exec, exec, s[40:41]
	v_lshlrev_b32_e32 v7, 16, v19
	v_mul_f32_e32 v8, v7, v5
	v_and_b32_e32 v7, 0x7f800000, v8
	v_cmp_ne_u32_e32 vcc, s87, v7
                                        ; implicit-def: $vgpr7
	s_and_saveexec_b64 s[40:41], vcc
	s_xor_b64 s[40:41], exec, s[40:41]
; %bb.3210:                             ;   in Loop: Header=BB8_1939 Depth=2
	v_bfe_u32 v7, v8, 16, 1
	v_add3_u32 v7, v8, v7, s96
                                        ; implicit-def: $vgpr8
; %bb.3211:                             ;   in Loop: Header=BB8_1939 Depth=2
	s_andn2_saveexec_b64 s[40:41], s[40:41]
; %bb.3212:                             ;   in Loop: Header=BB8_1939 Depth=2
	v_or_b32_e32 v7, 0x10000, v8
	v_cmp_eq_u32_sdwa vcc, v8, v2 src0_sel:WORD_0 src1_sel:DWORD
	v_cndmask_b32_e32 v7, v7, v8, vcc
; %bb.3213:                             ;   in Loop: Header=BB8_1939 Depth=2
	s_or_b64 exec, exec, s[40:41]
	v_and_b32_e32 v8, 0xffff0000, v19
	v_mul_f32_e32 v8, v8, v5
	v_and_b32_e32 v5, 0x7f800000, v8
	v_cmp_ne_u32_e32 vcc, s87, v5
                                        ; implicit-def: $vgpr5
	s_and_saveexec_b64 s[40:41], vcc
	s_xor_b64 s[40:41], exec, s[40:41]
; %bb.3214:                             ;   in Loop: Header=BB8_1939 Depth=2
	v_bfe_u32 v5, v8, 16, 1
	v_add3_u32 v5, v8, v5, s96
                                        ; implicit-def: $vgpr8
; %bb.3215:                             ;   in Loop: Header=BB8_1939 Depth=2
	s_andn2_saveexec_b64 s[40:41], s[40:41]
; %bb.3216:                             ;   in Loop: Header=BB8_1939 Depth=2
	v_or_b32_e32 v5, 0x10000, v8
	v_cmp_eq_u32_sdwa vcc, v8, v2 src0_sel:WORD_0 src1_sel:DWORD
	v_cndmask_b32_e32 v5, v5, v8, vcc
; %bb.3217:                             ;   in Loop: Header=BB8_1939 Depth=2
	s_or_b64 exec, exec, s[40:41]
	buffer_load_dword v8, off, s[0:3], s33 offset:276 ; 4-byte Folded Reload
	buffer_load_dword v9, off, s[0:3], s33 offset:280 ; 4-byte Folded Reload
	;; [unrolled: 1-line block ×4, first 2 shown]
	v_and_b32_e32 v4, 0xffff0000, v4
	s_waitcnt vmcnt(3)
	v_lshlrev_b32_e32 v8, 16, v8
	v_add_f32_e32 v8, v8, v4
	v_and_b32_e32 v4, 0x7f800000, v8
	v_cmp_ne_u32_e32 vcc, s87, v4
                                        ; implicit-def: $vgpr4
	s_and_saveexec_b64 s[40:41], vcc
	s_xor_b64 s[40:41], exec, s[40:41]
; %bb.3218:                             ;   in Loop: Header=BB8_1939 Depth=2
	v_bfe_u32 v4, v8, 16, 1
	v_add3_u32 v4, v8, v4, s96
                                        ; implicit-def: $vgpr8
; %bb.3219:                             ;   in Loop: Header=BB8_1939 Depth=2
	s_andn2_saveexec_b64 s[40:41], s[40:41]
; %bb.3220:                             ;   in Loop: Header=BB8_1939 Depth=2
	v_or_b32_e32 v4, 0x10000, v8
	v_cmp_eq_u32_sdwa vcc, v8, v2 src0_sel:WORD_0 src1_sel:DWORD
	v_cndmask_b32_e32 v4, v4, v8, vcc
; %bb.3221:                             ;   in Loop: Header=BB8_1939 Depth=2
	s_or_b64 exec, exec, s[40:41]
	buffer_load_dword v8, off, s[0:3], s33 offset:276 ; 4-byte Folded Reload
	buffer_load_dword v9, off, s[0:3], s33 offset:280 ; 4-byte Folded Reload
	;; [unrolled: 1-line block ×4, first 2 shown]
	v_and_b32_e32 v3, 0xffff0000, v3
	s_waitcnt vmcnt(3)
	v_and_b32_e32 v8, 0xffff0000, v8
	v_add_f32_e32 v8, v8, v3
	v_and_b32_e32 v3, 0x7f800000, v8
	v_cmp_ne_u32_e32 vcc, s87, v3
                                        ; implicit-def: $vgpr3
	s_and_saveexec_b64 s[40:41], vcc
	s_xor_b64 s[40:41], exec, s[40:41]
; %bb.3222:                             ;   in Loop: Header=BB8_1939 Depth=2
	v_bfe_u32 v3, v8, 16, 1
	v_add3_u32 v3, v8, v3, s96
                                        ; implicit-def: $vgpr8
; %bb.3223:                             ;   in Loop: Header=BB8_1939 Depth=2
	s_andn2_saveexec_b64 s[40:41], s[40:41]
; %bb.3224:                             ;   in Loop: Header=BB8_1939 Depth=2
	v_or_b32_e32 v3, 0x10000, v8
	v_cmp_eq_u32_sdwa vcc, v8, v2 src0_sel:WORD_0 src1_sel:DWORD
	v_cndmask_b32_e32 v3, v3, v8, vcc
; %bb.3225:                             ;   in Loop: Header=BB8_1939 Depth=2
	s_or_b64 exec, exec, s[40:41]
	buffer_load_dword v9, off, s[0:3], s33 offset:276 ; 4-byte Folded Reload
	buffer_load_dword v10, off, s[0:3], s33 offset:280 ; 4-byte Folded Reload
	buffer_load_dword v11, off, s[0:3], s33 offset:284 ; 4-byte Folded Reload
	buffer_load_dword v12, off, s[0:3], s33 offset:288 ; 4-byte Folded Reload
	v_and_b32_e32 v8, 0xffff0000, v28
                                        ; implicit-def: $vgpr12
	s_waitcnt vmcnt(2)
	v_lshlrev_b32_e32 v9, 16, v10
	v_add_f32_e32 v8, v9, v8
	v_and_b32_e32 v9, 0x7f800000, v8
	v_cmp_ne_u32_e32 vcc, s87, v9
	s_and_saveexec_b64 s[40:41], vcc
	s_xor_b64 s[40:41], exec, s[40:41]
	s_cbranch_execz .LBB8_3227
; %bb.3226:                             ;   in Loop: Header=BB8_1939 Depth=2
	v_bfe_u32 v9, v8, 16, 1
	s_waitcnt vmcnt(0)
	v_add3_u32 v12, v8, v9, s96
                                        ; implicit-def: $vgpr8
.LBB8_3227:                             ;   in Loop: Header=BB8_1939 Depth=2
	s_andn2_saveexec_b64 s[40:41], s[40:41]
	s_cbranch_execz .LBB8_3229
; %bb.3228:                             ;   in Loop: Header=BB8_1939 Depth=2
	v_or_b32_e32 v9, 0x10000, v8
	v_cmp_eq_u32_sdwa vcc, v8, v2 src0_sel:WORD_0 src1_sel:DWORD
	s_waitcnt vmcnt(0)
	v_cndmask_b32_e32 v12, v9, v8, vcc
.LBB8_3229:                             ;   in Loop: Header=BB8_1939 Depth=2
	s_or_b64 exec, exec, s[40:41]
	buffer_load_dword v8, off, s[0:3], s33 offset:276 ; 4-byte Folded Reload
	buffer_load_dword v9, off, s[0:3], s33 offset:280 ; 4-byte Folded Reload
	buffer_load_dword v10, off, s[0:3], s33 offset:284 ; 4-byte Folded Reload
	buffer_load_dword v11, off, s[0:3], s33 offset:288 ; 4-byte Folded Reload
                                        ; implicit-def: $vgpr13
	s_waitcnt vmcnt(2)
	v_and_b32_e32 v8, 0xffff0000, v9
	v_and_b32_e32 v9, 0xffff0000, v26
	v_add_f32_e32 v8, v8, v9
	v_and_b32_e32 v9, 0x7f800000, v8
	v_cmp_ne_u32_e32 vcc, s87, v9
	s_and_saveexec_b64 s[40:41], vcc
	s_xor_b64 s[40:41], exec, s[40:41]
; %bb.3230:                             ;   in Loop: Header=BB8_1939 Depth=2
	v_bfe_u32 v9, v8, 16, 1
	v_add3_u32 v13, v8, v9, s96
                                        ; implicit-def: $vgpr8
; %bb.3231:                             ;   in Loop: Header=BB8_1939 Depth=2
	s_andn2_saveexec_b64 s[40:41], s[40:41]
; %bb.3232:                             ;   in Loop: Header=BB8_1939 Depth=2
	v_or_b32_e32 v9, 0x10000, v8
	v_cmp_eq_u32_sdwa vcc, v8, v2 src0_sel:WORD_0 src1_sel:DWORD
	v_cndmask_b32_e32 v13, v9, v8, vcc
; %bb.3233:                             ;   in Loop: Header=BB8_1939 Depth=2
	s_or_b64 exec, exec, s[40:41]
	buffer_load_dword v30, off, s[0:3], s33 offset:276 ; 4-byte Folded Reload
	buffer_load_dword v31, off, s[0:3], s33 offset:280 ; 4-byte Folded Reload
	;; [unrolled: 1-line block ×4, first 2 shown]
	v_and_b32_e32 v8, 0xffff0000, v27
                                        ; implicit-def: $vgpr18
	s_waitcnt vmcnt(1)
	v_lshlrev_b32_e32 v9, 16, v32
	v_add_f32_e32 v8, v9, v8
	v_and_b32_e32 v9, 0x7f800000, v8
	v_cmp_ne_u32_e32 vcc, s87, v9
	s_and_saveexec_b64 s[40:41], vcc
	s_xor_b64 s[40:41], exec, s[40:41]
; %bb.3234:                             ;   in Loop: Header=BB8_1939 Depth=2
	v_bfe_u32 v9, v8, 16, 1
	v_add3_u32 v18, v8, v9, s96
                                        ; implicit-def: $vgpr8
; %bb.3235:                             ;   in Loop: Header=BB8_1939 Depth=2
	s_andn2_saveexec_b64 s[40:41], s[40:41]
; %bb.3236:                             ;   in Loop: Header=BB8_1939 Depth=2
	v_or_b32_e32 v9, 0x10000, v8
	v_cmp_eq_u32_sdwa vcc, v8, v2 src0_sel:WORD_0 src1_sel:DWORD
	v_cndmask_b32_e32 v18, v9, v8, vcc
; %bb.3237:                             ;   in Loop: Header=BB8_1939 Depth=2
	s_or_b64 exec, exec, s[40:41]
	buffer_load_dword v8, off, s[0:3], s33 offset:276 ; 4-byte Folded Reload
	buffer_load_dword v9, off, s[0:3], s33 offset:280 ; 4-byte Folded Reload
	;; [unrolled: 1-line block ×4, first 2 shown]
	s_waitcnt vmcnt(2)
	v_and_b32_e32 v9, 0xffff0000, v24
                                        ; implicit-def: $vgpr14
	s_waitcnt vmcnt(1)
	v_and_b32_e32 v8, 0xffff0000, v10
	v_add_f32_e32 v8, v8, v9
	v_and_b32_e32 v9, 0x7f800000, v8
	v_cmp_ne_u32_e32 vcc, s87, v9
	s_and_saveexec_b64 s[40:41], vcc
	s_xor_b64 s[40:41], exec, s[40:41]
; %bb.3238:                             ;   in Loop: Header=BB8_1939 Depth=2
	v_bfe_u32 v9, v8, 16, 1
	v_add3_u32 v14, v8, v9, s96
                                        ; implicit-def: $vgpr8
; %bb.3239:                             ;   in Loop: Header=BB8_1939 Depth=2
	s_andn2_saveexec_b64 s[40:41], s[40:41]
; %bb.3240:                             ;   in Loop: Header=BB8_1939 Depth=2
	v_or_b32_e32 v9, 0x10000, v8
	v_cmp_eq_u32_sdwa vcc, v8, v2 src0_sel:WORD_0 src1_sel:DWORD
	v_cndmask_b32_e32 v14, v9, v8, vcc
; %bb.3241:                             ;   in Loop: Header=BB8_1939 Depth=2
	s_or_b64 exec, exec, s[40:41]
	v_and_b32_e32 v8, 0xffff0000, v25
	buffer_load_dword v24, off, s[0:3], s33 offset:276 ; 4-byte Folded Reload
	buffer_load_dword v25, off, s[0:3], s33 offset:280 ; 4-byte Folded Reload
	buffer_load_dword v26, off, s[0:3], s33 offset:284 ; 4-byte Folded Reload
	buffer_load_dword v27, off, s[0:3], s33 offset:288 ; 4-byte Folded Reload
                                        ; implicit-def: $vgpr19
	s_waitcnt vmcnt(0)
	v_lshlrev_b32_e32 v9, 16, v27
	v_add_f32_e32 v8, v9, v8
	v_and_b32_e32 v9, 0x7f800000, v8
	v_cmp_ne_u32_e32 vcc, s87, v9
	s_and_saveexec_b64 s[40:41], vcc
	s_xor_b64 s[40:41], exec, s[40:41]
; %bb.3242:                             ;   in Loop: Header=BB8_1939 Depth=2
	v_bfe_u32 v9, v8, 16, 1
	v_add3_u32 v19, v8, v9, s96
                                        ; implicit-def: $vgpr8
; %bb.3243:                             ;   in Loop: Header=BB8_1939 Depth=2
	s_andn2_saveexec_b64 s[40:41], s[40:41]
; %bb.3244:                             ;   in Loop: Header=BB8_1939 Depth=2
	v_or_b32_e32 v9, 0x10000, v8
	v_cmp_eq_u32_sdwa vcc, v8, v2 src0_sel:WORD_0 src1_sel:DWORD
	v_cndmask_b32_e32 v19, v9, v8, vcc
; %bb.3245:                             ;   in Loop: Header=BB8_1939 Depth=2
	s_or_b64 exec, exec, s[40:41]
	buffer_load_dword v8, off, s[0:3], s33 offset:276 ; 4-byte Folded Reload
	buffer_load_dword v9, off, s[0:3], s33 offset:280 ; 4-byte Folded Reload
	;; [unrolled: 1-line block ×4, first 2 shown]
	s_waitcnt vmcnt(2)
	v_and_b32_e32 v9, 0xffff0000, v22
                                        ; implicit-def: $vgpr15
	s_waitcnt vmcnt(0)
	v_and_b32_e32 v8, 0xffff0000, v11
	v_add_f32_e32 v8, v8, v9
	v_and_b32_e32 v9, 0x7f800000, v8
	v_cmp_ne_u32_e32 vcc, s87, v9
	s_and_saveexec_b64 s[40:41], vcc
	s_xor_b64 s[40:41], exec, s[40:41]
; %bb.3246:                             ;   in Loop: Header=BB8_1939 Depth=2
	v_bfe_u32 v9, v8, 16, 1
	v_add3_u32 v15, v8, v9, s96
                                        ; implicit-def: $vgpr8
; %bb.3247:                             ;   in Loop: Header=BB8_1939 Depth=2
	s_andn2_saveexec_b64 s[40:41], s[40:41]
; %bb.3248:                             ;   in Loop: Header=BB8_1939 Depth=2
	v_or_b32_e32 v9, 0x10000, v8
	v_cmp_eq_u32_sdwa vcc, v8, v2 src0_sel:WORD_0 src1_sel:DWORD
	v_cndmask_b32_e32 v15, v9, v8, vcc
; %bb.3249:                             ;   in Loop: Header=BB8_1939 Depth=2
	s_or_b64 exec, exec, s[40:41]
	v_and_b32_e32 v8, 0xffff0000, v23
	buffer_load_dword v22, off, s[0:3], s33 offset:240 ; 4-byte Folded Reload
	buffer_load_dword v23, off, s[0:3], s33 offset:244 ; 4-byte Folded Reload
	;; [unrolled: 1-line block ×4, first 2 shown]
	s_waitcnt vmcnt(3)
	v_lshlrev_b32_e32 v9, 16, v22
	v_add_f32_e32 v8, v9, v8
	v_and_b32_e32 v9, 0x7f800000, v8
	v_cmp_ne_u32_e32 vcc, s87, v9
                                        ; implicit-def: $vgpr22
	s_and_saveexec_b64 s[40:41], vcc
	s_xor_b64 s[40:41], exec, s[40:41]
; %bb.3250:                             ;   in Loop: Header=BB8_1939 Depth=2
	v_bfe_u32 v9, v8, 16, 1
	v_add3_u32 v22, v8, v9, s96
                                        ; implicit-def: $vgpr8
; %bb.3251:                             ;   in Loop: Header=BB8_1939 Depth=2
	s_andn2_saveexec_b64 s[40:41], s[40:41]
; %bb.3252:                             ;   in Loop: Header=BB8_1939 Depth=2
	v_or_b32_e32 v9, 0x10000, v8
	v_cmp_eq_u32_sdwa vcc, v8, v2 src0_sel:WORD_0 src1_sel:DWORD
	v_cndmask_b32_e32 v22, v9, v8, vcc
; %bb.3253:                             ;   in Loop: Header=BB8_1939 Depth=2
	s_or_b64 exec, exec, s[40:41]
	buffer_load_dword v8, off, s[0:3], s33 offset:240 ; 4-byte Folded Reload
	buffer_load_dword v9, off, s[0:3], s33 offset:244 ; 4-byte Folded Reload
	;; [unrolled: 1-line block ×4, first 2 shown]
	s_waitcnt vmcnt(2)
	v_and_b32_e32 v9, 0xffff0000, v20
	v_and_b32_e32 v8, 0xffff0000, v8
	v_add_f32_e32 v9, v8, v9
	v_and_b32_e32 v8, 0x7f800000, v9
	v_cmp_ne_u32_e32 vcc, s87, v8
                                        ; implicit-def: $vgpr8
	s_and_saveexec_b64 s[40:41], vcc
	s_xor_b64 s[40:41], exec, s[40:41]
; %bb.3254:                             ;   in Loop: Header=BB8_1939 Depth=2
	v_bfe_u32 v8, v9, 16, 1
	v_add3_u32 v8, v9, v8, s96
                                        ; implicit-def: $vgpr9
; %bb.3255:                             ;   in Loop: Header=BB8_1939 Depth=2
	s_andn2_saveexec_b64 s[40:41], s[40:41]
; %bb.3256:                             ;   in Loop: Header=BB8_1939 Depth=2
	v_or_b32_e32 v8, 0x10000, v9
	v_cmp_eq_u32_sdwa vcc, v9, v2 src0_sel:WORD_0 src1_sel:DWORD
	v_cndmask_b32_e32 v8, v8, v9, vcc
; %bb.3257:                             ;   in Loop: Header=BB8_1939 Depth=2
	s_or_b64 exec, exec, s[40:41]
	buffer_load_dword v23, off, s[0:3], s33 offset:240 ; 4-byte Folded Reload
	buffer_load_dword v24, off, s[0:3], s33 offset:244 ; 4-byte Folded Reload
	;; [unrolled: 1-line block ×4, first 2 shown]
	v_and_b32_e32 v9, 0xffff0000, v21
                                        ; implicit-def: $vgpr20
	s_waitcnt vmcnt(2)
	v_lshlrev_b32_e32 v10, 16, v24
	v_add_f32_e32 v9, v10, v9
	v_and_b32_e32 v10, 0x7f800000, v9
	v_cmp_ne_u32_e32 vcc, s87, v10
	s_and_saveexec_b64 s[40:41], vcc
	s_xor_b64 s[40:41], exec, s[40:41]
; %bb.3258:                             ;   in Loop: Header=BB8_1939 Depth=2
	v_bfe_u32 v10, v9, 16, 1
	v_add3_u32 v20, v9, v10, s96
                                        ; implicit-def: $vgpr9
; %bb.3259:                             ;   in Loop: Header=BB8_1939 Depth=2
	s_andn2_saveexec_b64 s[40:41], s[40:41]
; %bb.3260:                             ;   in Loop: Header=BB8_1939 Depth=2
	v_or_b32_e32 v10, 0x10000, v9
	v_cmp_eq_u32_sdwa vcc, v9, v2 src0_sel:WORD_0 src1_sel:DWORD
	v_cndmask_b32_e32 v20, v10, v9, vcc
; %bb.3261:                             ;   in Loop: Header=BB8_1939 Depth=2
	s_or_b64 exec, exec, s[40:41]
	buffer_load_dword v23, off, s[0:3], s33 offset:240 ; 4-byte Folded Reload
	buffer_load_dword v24, off, s[0:3], s33 offset:244 ; 4-byte Folded Reload
	;; [unrolled: 1-line block ×4, first 2 shown]
	v_and_b32_e32 v10, 0xffff0000, v16
	s_waitcnt vmcnt(2)
	v_and_b32_e32 v9, 0xffff0000, v24
	v_add_f32_e32 v10, v9, v10
	v_and_b32_e32 v9, 0x7f800000, v10
	v_cmp_ne_u32_e32 vcc, s87, v9
                                        ; implicit-def: $vgpr9
	s_and_saveexec_b64 s[40:41], vcc
	s_xor_b64 s[40:41], exec, s[40:41]
; %bb.3262:                             ;   in Loop: Header=BB8_1939 Depth=2
	v_bfe_u32 v9, v10, 16, 1
	v_add3_u32 v9, v10, v9, s96
                                        ; implicit-def: $vgpr10
; %bb.3263:                             ;   in Loop: Header=BB8_1939 Depth=2
	s_andn2_saveexec_b64 s[40:41], s[40:41]
; %bb.3264:                             ;   in Loop: Header=BB8_1939 Depth=2
	v_or_b32_e32 v9, 0x10000, v10
	v_cmp_eq_u32_sdwa vcc, v10, v2 src0_sel:WORD_0 src1_sel:DWORD
	v_cndmask_b32_e32 v9, v9, v10, vcc
; %bb.3265:                             ;   in Loop: Header=BB8_1939 Depth=2
	s_or_b64 exec, exec, s[40:41]
	buffer_load_dword v23, off, s[0:3], s33 offset:240 ; 4-byte Folded Reload
	buffer_load_dword v24, off, s[0:3], s33 offset:244 ; 4-byte Folded Reload
	;; [unrolled: 1-line block ×4, first 2 shown]
	v_and_b32_e32 v10, 0xffff0000, v17
                                        ; implicit-def: $vgpr16
	s_waitcnt vmcnt(1)
	v_lshlrev_b32_e32 v11, 16, v25
	v_add_f32_e32 v10, v11, v10
	v_and_b32_e32 v11, 0x7f800000, v10
	v_cmp_ne_u32_e32 vcc, s87, v11
	s_and_saveexec_b64 s[40:41], vcc
	s_xor_b64 s[40:41], exec, s[40:41]
; %bb.3266:                             ;   in Loop: Header=BB8_1939 Depth=2
	v_bfe_u32 v11, v10, 16, 1
	v_add3_u32 v16, v10, v11, s96
                                        ; implicit-def: $vgpr10
; %bb.3267:                             ;   in Loop: Header=BB8_1939 Depth=2
	s_andn2_saveexec_b64 s[40:41], s[40:41]
; %bb.3268:                             ;   in Loop: Header=BB8_1939 Depth=2
	v_or_b32_e32 v11, 0x10000, v10
	v_cmp_eq_u32_sdwa vcc, v10, v2 src0_sel:WORD_0 src1_sel:DWORD
	v_cndmask_b32_e32 v16, v11, v10, vcc
; %bb.3269:                             ;   in Loop: Header=BB8_1939 Depth=2
	s_or_b64 exec, exec, s[40:41]
	buffer_load_dword v23, off, s[0:3], s33 offset:240 ; 4-byte Folded Reload
	buffer_load_dword v24, off, s[0:3], s33 offset:244 ; 4-byte Folded Reload
	;; [unrolled: 1-line block ×4, first 2 shown]
	v_and_b32_e32 v6, 0xffff0000, v6
	s_waitcnt vmcnt(1)
	v_and_b32_e32 v10, 0xffff0000, v25
	v_add_f32_e32 v10, v10, v6
	v_and_b32_e32 v6, 0x7f800000, v10
	v_cmp_ne_u32_e32 vcc, s87, v6
                                        ; implicit-def: $vgpr6
	s_and_saveexec_b64 s[40:41], vcc
	s_xor_b64 s[40:41], exec, s[40:41]
; %bb.3270:                             ;   in Loop: Header=BB8_1939 Depth=2
	v_bfe_u32 v6, v10, 16, 1
	v_add3_u32 v6, v10, v6, s96
                                        ; implicit-def: $vgpr10
; %bb.3271:                             ;   in Loop: Header=BB8_1939 Depth=2
	s_andn2_saveexec_b64 s[40:41], s[40:41]
; %bb.3272:                             ;   in Loop: Header=BB8_1939 Depth=2
	v_or_b32_e32 v6, 0x10000, v10
	v_cmp_eq_u32_sdwa vcc, v10, v2 src0_sel:WORD_0 src1_sel:DWORD
	v_cndmask_b32_e32 v6, v6, v10, vcc
; %bb.3273:                             ;   in Loop: Header=BB8_1939 Depth=2
	s_or_b64 exec, exec, s[40:41]
	buffer_load_dword v23, off, s[0:3], s33 offset:240 ; 4-byte Folded Reload
	buffer_load_dword v24, off, s[0:3], s33 offset:244 ; 4-byte Folded Reload
	buffer_load_dword v25, off, s[0:3], s33 offset:248 ; 4-byte Folded Reload
	buffer_load_dword v26, off, s[0:3], s33 offset:252 ; 4-byte Folded Reload
	v_and_b32_e32 v7, 0xffff0000, v7
	s_waitcnt vmcnt(0)
	v_lshlrev_b32_e32 v10, 16, v26
	v_add_f32_e32 v10, v10, v7
	v_and_b32_e32 v7, 0x7f800000, v10
	v_cmp_ne_u32_e32 vcc, s87, v7
                                        ; implicit-def: $vgpr7
	s_and_saveexec_b64 s[40:41], vcc
	s_xor_b64 s[40:41], exec, s[40:41]
; %bb.3274:                             ;   in Loop: Header=BB8_1939 Depth=2
	v_bfe_u32 v7, v10, 16, 1
	v_add3_u32 v7, v10, v7, s96
                                        ; implicit-def: $vgpr10
; %bb.3275:                             ;   in Loop: Header=BB8_1939 Depth=2
	s_andn2_saveexec_b64 s[40:41], s[40:41]
; %bb.3276:                             ;   in Loop: Header=BB8_1939 Depth=2
	v_or_b32_e32 v7, 0x10000, v10
	v_cmp_eq_u32_sdwa vcc, v10, v2 src0_sel:WORD_0 src1_sel:DWORD
	v_cndmask_b32_e32 v7, v7, v10, vcc
; %bb.3277:                             ;   in Loop: Header=BB8_1939 Depth=2
	s_or_b64 exec, exec, s[40:41]
	buffer_load_dword v23, off, s[0:3], s33 offset:240 ; 4-byte Folded Reload
	buffer_load_dword v24, off, s[0:3], s33 offset:244 ; 4-byte Folded Reload
	;; [unrolled: 1-line block ×4, first 2 shown]
	v_and_b32_e32 v5, 0xffff0000, v5
	s_waitcnt vmcnt(0)
	v_and_b32_e32 v10, 0xffff0000, v26
	v_add_f32_e32 v10, v10, v5
	v_and_b32_e32 v5, 0x7f800000, v10
	v_cmp_ne_u32_e32 vcc, s87, v5
                                        ; implicit-def: $vgpr5
	s_and_saveexec_b64 s[40:41], vcc
	s_xor_b64 s[40:41], exec, s[40:41]
; %bb.3278:                             ;   in Loop: Header=BB8_1939 Depth=2
	v_bfe_u32 v5, v10, 16, 1
	v_add3_u32 v5, v10, v5, s96
                                        ; implicit-def: $vgpr10
; %bb.3279:                             ;   in Loop: Header=BB8_1939 Depth=2
	s_andn2_saveexec_b64 s[40:41], s[40:41]
; %bb.3280:                             ;   in Loop: Header=BB8_1939 Depth=2
	v_or_b32_e32 v5, 0x10000, v10
	v_cmp_eq_u32_sdwa vcc, v10, v2 src0_sel:WORD_0 src1_sel:DWORD
	v_cndmask_b32_e32 v5, v5, v10, vcc
; %bb.3281:                             ;   in Loop: Header=BB8_1939 Depth=2
	s_or_b64 exec, exec, s[40:41]
	v_lshrrev_b32_e32 v10, 16, v12
	v_lshrrev_b32_e32 v4, 16, v4
	v_and_or_b32 v11, v13, s97, v10
	v_and_or_b32 v10, v3, s97, v4
	v_lshrrev_b32_e32 v3, 16, v18
	v_and_or_b32 v12, v14, s97, v3
	v_lshrrev_b32_e32 v3, 16, v19
	;; [unrolled: 2-line block ×6, first 2 shown]
	v_and_or_b32 v17, v5, s97, v3
	global_store_dwordx4 v[0:1], v[10:13], off glc slc
	global_store_dwordx4 v[0:1], v[14:17], off offset:1024 glc slc
.LBB8_3282:                             ;   in Loop: Header=BB8_1939 Depth=2
	s_or_b64 exec, exec, s[28:29]
	buffer_load_dword v0, off, s[0:3], s33 offset:312 ; 4-byte Folded Reload
	s_waitcnt vmcnt(0)
	v_lshlrev_b32_e32 v4, 11, v29
                                        ; implicit-def: $vgpr10
                                        ; implicit-def: $vgpr11
	v_cmp_ne_u32_e32 vcc, v0, v4
                                        ; implicit-def: $vgpr0
	s_mov_b64 s[90:91], exec
	buffer_load_dword v29, off, s[0:3], s33 offset:372 ; 4-byte Folded Reload
	buffer_load_dword v30, off, s[0:3], s33 offset:376 ; 4-byte Folded Reload
	buffer_load_dword v31, off, s[0:3], s33 offset:380 ; 4-byte Folded Reload
	buffer_load_dword v32, off, s[0:3], s33 offset:384 ; 4-byte Folded Reload
	s_and_b64 s[28:29], s[90:91], vcc
	s_mov_b64 exec, s[28:29]
	s_cbranch_execz .LBB8_3493
; %bb.3283:                             ;   in Loop: Header=BB8_1939 Depth=2
	buffer_load_dword v0, off, s[0:3], s33 offset:312 ; 4-byte Folded Reload
	buffer_load_dword v3, off, s[0:3], s33 offset:272 ; 4-byte Folded Reload
	v_lshlrev_b32_e32 v1, 6, v44
	s_mov_b64 s[94:95], 0
	s_waitcnt vmcnt(0)
	v_sub_u32_e32 v0, v0, v4
	v_sub_u32_e32 v1, v3, v1
	v_ashrrev_i32_e32 v3, 31, v1
	v_lshrrev_b32_e32 v3, 26, v3
	v_add_u32_e32 v3, v1, v3
	v_ashrrev_i32_e32 v9, 6, v3
	v_and_b32_e32 v3, 0xffffffc0, v3
	v_sub_u32_e32 v6, v1, v3
	v_lshlrev_b32_e32 v1, 4, v6
	v_lshl_add_u32 v1, v9, 10, v1
	v_add_u32_e32 v3, v1, v4
	v_sub_u32_e32 v10, v0, v1
	v_ashrrev_i32_e32 v1, 31, v0
	v_lshrrev_b32_e32 v1, 22, v1
	v_add_u32_e32 v1, v0, v1
	v_and_b32_e32 v7, 0xfffffc00, v1
	v_sub_u32_e32 v8, v0, v7
	v_ashrrev_i32_e32 v5, 10, v1
	v_cmp_lt_i32_e64 s[28:29], 15, v8
	v_addc_co_u32_e64 v0, vcc, 0, v5, s[28:29]
	v_sub_u32_e32 v9, v0, v9
	buffer_load_dword v0, off, s[0:3], s33 offset:328 ; 4-byte Folded Reload
	buffer_load_dword v1, off, s[0:3], s33 offset:332 ; 4-byte Folded Reload
	v_ashrrev_i32_e32 v5, 31, v3
	s_waitcnt vmcnt(0)
	v_add_co_u32_e32 v0, vcc, v3, v0
	v_addc_co_u32_e32 v1, vcc, v5, v1, vcc
	v_cmp_lt_i32_e32 vcc, 15, v10
	s_and_saveexec_b64 s[92:93], vcc
	s_cbranch_execz .LBB8_3424
; %bb.3284:                             ;   in Loop: Header=BB8_1939 Depth=2
	s_trap 2
	ds_read_b64 v[13:14], v0
	buffer_load_dword v11, off, s[0:3], s33 offset:320 ; 4-byte Folded Reload
	buffer_load_dword v12, off, s[0:3], s33 offset:324 ; 4-byte Folded Reload
	s_mov_b64 s[34:35], 0
                                        ; implicit-def: $sgpr30_sgpr31
	s_waitcnt vmcnt(0)
	v_add_co_u32_e32 v11, vcc, v3, v11
	v_addc_co_u32_e32 v12, vcc, v5, v12, vcc
	s_waitcnt lgkmcnt(0)
	v_add_co_u32_e32 v13, vcc, v13, v3
	ds_read_b32 v3, v0
	v_addc_co_u32_e32 v14, vcc, v14, v5, vcc
	s_waitcnt lgkmcnt(0)
	v_lshlrev_b32_e32 v15, 16, v3
	s_branch .LBB8_3286
.LBB8_3285:                             ;   in Loop: Header=BB8_3286 Depth=3
	s_or_b64 exec, exec, s[40:41]
	v_cmp_gt_i32_e32 vcc, 16, v10
	s_or_b64 s[94:95], vcc, s[94:95]
	s_andn2_b64 s[40:41], s[30:31], exec
	s_and_b64 s[44:45], s[34:35], exec
	s_or_b64 s[30:31], s[40:41], s[44:45]
	s_andn2_b64 exec, exec, s[94:95]
	s_cbranch_execz .LBB8_3423
.LBB8_3286:                             ;   Parent Loop BB8_47 Depth=1
                                        ;     Parent Loop BB8_1939 Depth=2
                                        ; =>    This Loop Header: Depth=3
                                        ;         Child Loop BB8_3287 Depth 4
                                        ;         Child Loop BB8_3356 Depth 4
	s_lshr_b32 s44, s33, 6
	s_add_i32 s44, s44, 64
	s_mov_b64 s[36:37], -1
	s_mov_b64 s[38:39], 0
.LBB8_3287:                             ;   Parent Loop BB8_47 Depth=1
                                        ;     Parent Loop BB8_1939 Depth=2
                                        ;       Parent Loop BB8_3286 Depth=3
                                        ; =>      This Inner Loop Header: Depth=4
	s_cmp_eq_u32 s38, 1
	s_cselect_b64 s[40:41], -1, 0
	v_cndmask_b32_e64 v21, v12, v14, s[40:41]
	v_cndmask_b32_e64 v20, v11, v13, s[40:41]
	global_load_dwordx4 v[16:19], v[20:21], off glc slc
	v_mov_b32_e32 v3, s44
	s_cmp_eq_u32 s38, 0
	s_mov_b64 s[38:39], 1
	s_mov_b32 s44, s83
	s_waitcnt vmcnt(0)
	buffer_store_dword v17, v3, s[0:3], 0 offen offset:4
	buffer_store_dword v16, v3, s[0:3], 0 offen
	buffer_store_dword v19, v3, s[0:3], 0 offen offset:12
	buffer_store_dword v18, v3, s[0:3], 0 offen offset:8
	v_add_co_u32_e32 v3, vcc, s55, v20
	v_addc_co_u32_e32 v5, vcc, 0, v21, vcc
	s_cselect_b64 vcc, -1, 0
	v_cndmask_b32_e32 v12, v12, v5, vcc
	v_cndmask_b32_e32 v11, v11, v3, vcc
	v_cndmask_b32_e64 v14, v14, v5, s[40:41]
	v_cndmask_b32_e64 v13, v13, v3, s[40:41]
	s_and_b64 vcc, exec, s[36:37]
	s_mov_b64 s[36:37], 0
	s_cbranch_vccnz .LBB8_3287
; %bb.3288:                             ;   in Loop: Header=BB8_3286 Depth=3
	s_and_saveexec_b64 s[40:41], s[34:35]
	s_cbranch_execz .LBB8_3354
; %bb.3289:                             ;   in Loop: Header=BB8_3286 Depth=3
	buffer_load_dword v18, off, s[0:3], s33 offset:96
	buffer_load_dword v16, off, s[0:3], s33 offset:100
	;; [unrolled: 1-line block ×4, first 2 shown]
	s_waitcnt vmcnt(3)
	v_lshlrev_b32_e32 v17, 16, v18
	v_mul_f32_e32 v19, v15, v17
	v_and_b32_e32 v17, 0x7f800000, v19
	v_cmp_ne_u32_e32 vcc, s87, v17
                                        ; implicit-def: $vgpr17
	s_and_saveexec_b64 s[44:45], vcc
	s_xor_b64 vcc, exec, s[44:45]
; %bb.3290:                             ;   in Loop: Header=BB8_3286 Depth=3
	v_bfe_u32 v17, v19, 16, 1
	v_add3_u32 v17, v19, v17, s96
                                        ; implicit-def: $vgpr19
; %bb.3291:                             ;   in Loop: Header=BB8_3286 Depth=3
	s_andn2_saveexec_b64 s[34:35], vcc
; %bb.3292:                             ;   in Loop: Header=BB8_3286 Depth=3
	v_or_b32_e32 v17, 0x10000, v19
	v_cmp_eq_u32_sdwa vcc, v19, v2 src0_sel:WORD_0 src1_sel:DWORD
	v_cndmask_b32_e32 v17, v17, v19, vcc
; %bb.3293:                             ;   in Loop: Header=BB8_3286 Depth=3
	s_or_b64 exec, exec, s[34:35]
	v_and_b32_e32 v18, 0xffff0000, v18
	v_mul_f32_e32 v18, v15, v18
	v_and_b32_e32 v19, 0x7f800000, v18
	v_cmp_ne_u32_e32 vcc, s87, v19
                                        ; implicit-def: $vgpr21
	s_and_saveexec_b64 s[44:45], vcc
	s_xor_b64 vcc, exec, s[44:45]
; %bb.3294:                             ;   in Loop: Header=BB8_3286 Depth=3
	v_bfe_u32 v19, v18, 16, 1
	v_add3_u32 v21, v18, v19, s96
                                        ; implicit-def: $vgpr18
; %bb.3295:                             ;   in Loop: Header=BB8_3286 Depth=3
	s_andn2_saveexec_b64 s[34:35], vcc
; %bb.3296:                             ;   in Loop: Header=BB8_3286 Depth=3
	v_or_b32_e32 v19, 0x10000, v18
	v_cmp_eq_u32_sdwa vcc, v18, v2 src0_sel:WORD_0 src1_sel:DWORD
	v_cndmask_b32_e32 v21, v19, v18, vcc
; %bb.3297:                             ;   in Loop: Header=BB8_3286 Depth=3
	s_or_b64 exec, exec, s[34:35]
	s_waitcnt vmcnt(2)
	v_lshlrev_b32_e32 v18, 16, v16
	v_mul_f32_e32 v18, v15, v18
	v_and_b32_e32 v19, 0x7f800000, v18
	v_cmp_ne_u32_e32 vcc, s87, v19
                                        ; implicit-def: $vgpr20
	s_and_saveexec_b64 s[44:45], vcc
	s_xor_b64 vcc, exec, s[44:45]
; %bb.3298:                             ;   in Loop: Header=BB8_3286 Depth=3
	v_bfe_u32 v19, v18, 16, 1
	v_add3_u32 v20, v18, v19, s96
                                        ; implicit-def: $vgpr18
; %bb.3299:                             ;   in Loop: Header=BB8_3286 Depth=3
	s_andn2_saveexec_b64 s[34:35], vcc
; %bb.3300:                             ;   in Loop: Header=BB8_3286 Depth=3
	v_or_b32_e32 v19, 0x10000, v18
	v_cmp_eq_u32_sdwa vcc, v18, v2 src0_sel:WORD_0 src1_sel:DWORD
	v_cndmask_b32_e32 v20, v19, v18, vcc
; %bb.3301:                             ;   in Loop: Header=BB8_3286 Depth=3
	s_or_b64 exec, exec, s[34:35]
	v_and_b32_e32 v16, 0xffff0000, v16
	v_mul_f32_e32 v16, v15, v16
	v_and_b32_e32 v18, 0x7f800000, v16
	v_cmp_ne_u32_e32 vcc, s87, v18
                                        ; implicit-def: $vgpr18
	s_and_saveexec_b64 s[44:45], vcc
	s_xor_b64 vcc, exec, s[44:45]
; %bb.3302:                             ;   in Loop: Header=BB8_3286 Depth=3
	v_bfe_u32 v18, v16, 16, 1
	v_add3_u32 v18, v16, v18, s96
                                        ; implicit-def: $vgpr16
; %bb.3303:                             ;   in Loop: Header=BB8_3286 Depth=3
	s_andn2_saveexec_b64 s[34:35], vcc
; %bb.3304:                             ;   in Loop: Header=BB8_3286 Depth=3
	v_or_b32_e32 v18, 0x10000, v16
	v_cmp_eq_u32_sdwa vcc, v16, v2 src0_sel:WORD_0 src1_sel:DWORD
	v_cndmask_b32_e32 v18, v18, v16, vcc
; %bb.3305:                             ;   in Loop: Header=BB8_3286 Depth=3
	s_or_b64 exec, exec, s[34:35]
	s_waitcnt vmcnt(1)
	v_lshlrev_b32_e32 v16, 16, v5
	v_mul_f32_e32 v16, v15, v16
	v_and_b32_e32 v19, 0x7f800000, v16
	v_cmp_ne_u32_e32 vcc, s87, v19
                                        ; implicit-def: $vgpr19
	s_and_saveexec_b64 s[44:45], vcc
	s_xor_b64 vcc, exec, s[44:45]
; %bb.3306:                             ;   in Loop: Header=BB8_3286 Depth=3
	v_bfe_u32 v19, v16, 16, 1
	v_add3_u32 v19, v16, v19, s96
                                        ; implicit-def: $vgpr16
; %bb.3307:                             ;   in Loop: Header=BB8_3286 Depth=3
	s_andn2_saveexec_b64 s[34:35], vcc
; %bb.3308:                             ;   in Loop: Header=BB8_3286 Depth=3
	v_or_b32_e32 v19, 0x10000, v16
	v_cmp_eq_u32_sdwa vcc, v16, v2 src0_sel:WORD_0 src1_sel:DWORD
	v_cndmask_b32_e32 v19, v19, v16, vcc
; %bb.3309:                             ;   in Loop: Header=BB8_3286 Depth=3
	s_or_b64 exec, exec, s[34:35]
	v_and_b32_e32 v5, 0xffff0000, v5
	v_mul_f32_e32 v16, v15, v5
	v_and_b32_e32 v5, 0x7f800000, v16
	v_cmp_ne_u32_e32 vcc, s87, v5
                                        ; implicit-def: $vgpr5
	s_and_saveexec_b64 s[44:45], vcc
	s_xor_b64 vcc, exec, s[44:45]
; %bb.3310:                             ;   in Loop: Header=BB8_3286 Depth=3
	v_bfe_u32 v5, v16, 16, 1
	v_add3_u32 v5, v16, v5, s96
                                        ; implicit-def: $vgpr16
; %bb.3311:                             ;   in Loop: Header=BB8_3286 Depth=3
	s_andn2_saveexec_b64 s[34:35], vcc
; %bb.3312:                             ;   in Loop: Header=BB8_3286 Depth=3
	v_or_b32_e32 v5, 0x10000, v16
	v_cmp_eq_u32_sdwa vcc, v16, v2 src0_sel:WORD_0 src1_sel:DWORD
	v_cndmask_b32_e32 v5, v5, v16, vcc
; %bb.3313:                             ;   in Loop: Header=BB8_3286 Depth=3
	s_or_b64 exec, exec, s[34:35]
	s_waitcnt vmcnt(0)
	v_lshlrev_b32_e32 v16, 16, v3
	v_mul_f32_e32 v22, v15, v16
	v_and_b32_e32 v16, 0x7f800000, v22
	v_cmp_ne_u32_e32 vcc, s87, v16
                                        ; implicit-def: $vgpr16
	s_and_saveexec_b64 s[44:45], vcc
	s_xor_b64 vcc, exec, s[44:45]
; %bb.3314:                             ;   in Loop: Header=BB8_3286 Depth=3
	v_bfe_u32 v16, v22, 16, 1
	v_add3_u32 v16, v22, v16, s96
                                        ; implicit-def: $vgpr22
; %bb.3315:                             ;   in Loop: Header=BB8_3286 Depth=3
	s_andn2_saveexec_b64 s[34:35], vcc
; %bb.3316:                             ;   in Loop: Header=BB8_3286 Depth=3
	v_or_b32_e32 v16, 0x10000, v22
	v_cmp_eq_u32_sdwa vcc, v22, v2 src0_sel:WORD_0 src1_sel:DWORD
	v_cndmask_b32_e32 v16, v16, v22, vcc
; %bb.3317:                             ;   in Loop: Header=BB8_3286 Depth=3
	s_or_b64 exec, exec, s[34:35]
	v_and_b32_e32 v3, 0xffff0000, v3
	v_mul_f32_e32 v22, v15, v3
	v_and_b32_e32 v3, 0x7f800000, v22
	v_cmp_ne_u32_e32 vcc, s87, v3
                                        ; implicit-def: $vgpr3
	s_and_saveexec_b64 s[44:45], vcc
	s_xor_b64 vcc, exec, s[44:45]
; %bb.3318:                             ;   in Loop: Header=BB8_3286 Depth=3
	v_bfe_u32 v3, v22, 16, 1
	v_add3_u32 v3, v22, v3, s96
                                        ; implicit-def: $vgpr22
; %bb.3319:                             ;   in Loop: Header=BB8_3286 Depth=3
	s_andn2_saveexec_b64 s[34:35], vcc
; %bb.3320:                             ;   in Loop: Header=BB8_3286 Depth=3
	v_or_b32_e32 v3, 0x10000, v22
	v_cmp_eq_u32_sdwa vcc, v22, v2 src0_sel:WORD_0 src1_sel:DWORD
	v_cndmask_b32_e32 v3, v3, v22, vcc
; %bb.3321:                             ;   in Loop: Header=BB8_3286 Depth=3
	s_or_b64 exec, exec, s[34:35]
	buffer_load_dword v25, off, s[0:3], s33 offset:112
	buffer_load_dword v24, off, s[0:3], s33 offset:116
	;; [unrolled: 1-line block ×4, first 2 shown]
	v_and_b32_e32 v17, 0xffff0000, v17
	s_waitcnt vmcnt(3)
	v_lshlrev_b32_e32 v26, 16, v25
	v_add_f32_e32 v26, v17, v26
	v_and_b32_e32 v17, 0x7f800000, v26
	v_cmp_ne_u32_e32 vcc, s87, v17
                                        ; implicit-def: $vgpr17
	s_and_saveexec_b64 s[44:45], vcc
	s_xor_b64 vcc, exec, s[44:45]
; %bb.3322:                             ;   in Loop: Header=BB8_3286 Depth=3
	v_bfe_u32 v17, v26, 16, 1
	v_add3_u32 v17, v26, v17, s96
                                        ; implicit-def: $vgpr26
; %bb.3323:                             ;   in Loop: Header=BB8_3286 Depth=3
	s_andn2_saveexec_b64 s[34:35], vcc
; %bb.3324:                             ;   in Loop: Header=BB8_3286 Depth=3
	v_or_b32_e32 v17, 0x10000, v26
	v_cmp_eq_u32_sdwa vcc, v26, v2 src0_sel:WORD_0 src1_sel:DWORD
	v_cndmask_b32_e32 v17, v17, v26, vcc
; %bb.3325:                             ;   in Loop: Header=BB8_3286 Depth=3
	s_or_b64 exec, exec, s[34:35]
	v_and_b32_e32 v21, 0xffff0000, v21
	v_and_b32_e32 v25, 0xffff0000, v25
	v_add_f32_e32 v25, v21, v25
	v_and_b32_e32 v21, 0x7f800000, v25
	v_cmp_ne_u32_e32 vcc, s87, v21
                                        ; implicit-def: $vgpr21
	s_and_saveexec_b64 s[44:45], vcc
	s_xor_b64 vcc, exec, s[44:45]
; %bb.3326:                             ;   in Loop: Header=BB8_3286 Depth=3
	v_bfe_u32 v21, v25, 16, 1
	v_add3_u32 v21, v25, v21, s96
                                        ; implicit-def: $vgpr25
; %bb.3327:                             ;   in Loop: Header=BB8_3286 Depth=3
	s_andn2_saveexec_b64 s[34:35], vcc
; %bb.3328:                             ;   in Loop: Header=BB8_3286 Depth=3
	v_or_b32_e32 v21, 0x10000, v25
	v_cmp_eq_u32_sdwa vcc, v25, v2 src0_sel:WORD_0 src1_sel:DWORD
	v_cndmask_b32_e32 v21, v21, v25, vcc
; %bb.3329:                             ;   in Loop: Header=BB8_3286 Depth=3
	s_or_b64 exec, exec, s[34:35]
	v_and_b32_e32 v20, 0xffff0000, v20
	s_waitcnt vmcnt(2)
	v_lshlrev_b32_e32 v25, 16, v24
	v_add_f32_e32 v25, v20, v25
	v_and_b32_e32 v20, 0x7f800000, v25
	v_cmp_ne_u32_e32 vcc, s87, v20
                                        ; implicit-def: $vgpr20
	s_and_saveexec_b64 s[44:45], vcc
	s_xor_b64 vcc, exec, s[44:45]
; %bb.3330:                             ;   in Loop: Header=BB8_3286 Depth=3
	v_bfe_u32 v20, v25, 16, 1
	v_add3_u32 v20, v25, v20, s96
                                        ; implicit-def: $vgpr25
; %bb.3331:                             ;   in Loop: Header=BB8_3286 Depth=3
	s_andn2_saveexec_b64 s[34:35], vcc
; %bb.3332:                             ;   in Loop: Header=BB8_3286 Depth=3
	v_or_b32_e32 v20, 0x10000, v25
	v_cmp_eq_u32_sdwa vcc, v25, v2 src0_sel:WORD_0 src1_sel:DWORD
	v_cndmask_b32_e32 v20, v20, v25, vcc
; %bb.3333:                             ;   in Loop: Header=BB8_3286 Depth=3
	s_or_b64 exec, exec, s[34:35]
	v_and_b32_e32 v24, 0xffff0000, v24
	v_and_b32_e32 v18, 0xffff0000, v18
	v_add_f32_e32 v24, v18, v24
	v_and_b32_e32 v18, 0x7f800000, v24
	v_cmp_ne_u32_e32 vcc, s87, v18
                                        ; implicit-def: $vgpr18
	s_and_saveexec_b64 s[44:45], vcc
	s_xor_b64 vcc, exec, s[44:45]
; %bb.3334:                             ;   in Loop: Header=BB8_3286 Depth=3
	v_bfe_u32 v18, v24, 16, 1
	v_add3_u32 v18, v24, v18, s96
                                        ; implicit-def: $vgpr24
; %bb.3335:                             ;   in Loop: Header=BB8_3286 Depth=3
	s_andn2_saveexec_b64 s[34:35], vcc
; %bb.3336:                             ;   in Loop: Header=BB8_3286 Depth=3
	v_or_b32_e32 v18, 0x10000, v24
	v_cmp_eq_u32_sdwa vcc, v24, v2 src0_sel:WORD_0 src1_sel:DWORD
	v_cndmask_b32_e32 v18, v18, v24, vcc
; %bb.3337:                             ;   in Loop: Header=BB8_3286 Depth=3
	s_or_b64 exec, exec, s[34:35]
	v_and_b32_e32 v19, 0xffff0000, v19
	s_waitcnt vmcnt(1)
	v_lshlrev_b32_e32 v24, 16, v23
	v_add_f32_e32 v24, v19, v24
	v_and_b32_e32 v19, 0x7f800000, v24
	v_cmp_ne_u32_e32 vcc, s87, v19
                                        ; implicit-def: $vgpr19
	s_and_saveexec_b64 s[44:45], vcc
	s_xor_b64 vcc, exec, s[44:45]
; %bb.3338:                             ;   in Loop: Header=BB8_3286 Depth=3
	v_bfe_u32 v19, v24, 16, 1
	v_add3_u32 v19, v24, v19, s96
                                        ; implicit-def: $vgpr24
; %bb.3339:                             ;   in Loop: Header=BB8_3286 Depth=3
	s_andn2_saveexec_b64 s[34:35], vcc
; %bb.3340:                             ;   in Loop: Header=BB8_3286 Depth=3
	v_or_b32_e32 v19, 0x10000, v24
	v_cmp_eq_u32_sdwa vcc, v24, v2 src0_sel:WORD_0 src1_sel:DWORD
	v_cndmask_b32_e32 v19, v19, v24, vcc
; %bb.3341:                             ;   in Loop: Header=BB8_3286 Depth=3
	s_or_b64 exec, exec, s[34:35]
	v_and_b32_e32 v23, 0xffff0000, v23
	v_and_b32_e32 v5, 0xffff0000, v5
	v_add_f32_e32 v23, v5, v23
	v_and_b32_e32 v5, 0x7f800000, v23
	v_cmp_ne_u32_e32 vcc, s87, v5
                                        ; implicit-def: $vgpr5
	s_and_saveexec_b64 s[44:45], vcc
	s_xor_b64 vcc, exec, s[44:45]
; %bb.3342:                             ;   in Loop: Header=BB8_3286 Depth=3
	v_bfe_u32 v5, v23, 16, 1
	v_add3_u32 v5, v23, v5, s96
                                        ; implicit-def: $vgpr23
; %bb.3343:                             ;   in Loop: Header=BB8_3286 Depth=3
	s_andn2_saveexec_b64 s[34:35], vcc
; %bb.3344:                             ;   in Loop: Header=BB8_3286 Depth=3
	v_or_b32_e32 v5, 0x10000, v23
	v_cmp_eq_u32_sdwa vcc, v23, v2 src0_sel:WORD_0 src1_sel:DWORD
	v_cndmask_b32_e32 v5, v5, v23, vcc
; %bb.3345:                             ;   in Loop: Header=BB8_3286 Depth=3
	s_or_b64 exec, exec, s[34:35]
	v_and_b32_e32 v16, 0xffff0000, v16
	s_waitcnt vmcnt(0)
	v_lshlrev_b32_e32 v23, 16, v22
	v_add_f32_e32 v23, v16, v23
	v_and_b32_e32 v16, 0x7f800000, v23
	v_cmp_ne_u32_e32 vcc, s87, v16
                                        ; implicit-def: $vgpr16
	s_and_saveexec_b64 s[44:45], vcc
	s_xor_b64 vcc, exec, s[44:45]
; %bb.3346:                             ;   in Loop: Header=BB8_3286 Depth=3
	v_bfe_u32 v16, v23, 16, 1
	v_add3_u32 v16, v23, v16, s96
                                        ; implicit-def: $vgpr23
; %bb.3347:                             ;   in Loop: Header=BB8_3286 Depth=3
	s_andn2_saveexec_b64 s[34:35], vcc
; %bb.3348:                             ;   in Loop: Header=BB8_3286 Depth=3
	v_or_b32_e32 v16, 0x10000, v23
	v_cmp_eq_u32_sdwa vcc, v23, v2 src0_sel:WORD_0 src1_sel:DWORD
	v_cndmask_b32_e32 v16, v16, v23, vcc
; %bb.3349:                             ;   in Loop: Header=BB8_3286 Depth=3
	s_or_b64 exec, exec, s[34:35]
	v_and_b32_e32 v22, 0xffff0000, v22
	v_and_b32_e32 v3, 0xffff0000, v3
	v_add_f32_e32 v22, v3, v22
	v_and_b32_e32 v3, 0x7f800000, v22
	v_cmp_ne_u32_e32 vcc, s87, v3
                                        ; implicit-def: $vgpr3
	s_and_saveexec_b64 s[44:45], vcc
	s_xor_b64 vcc, exec, s[44:45]
; %bb.3350:                             ;   in Loop: Header=BB8_3286 Depth=3
	v_bfe_u32 v3, v22, 16, 1
	v_add3_u32 v3, v22, v3, s96
                                        ; implicit-def: $vgpr22
; %bb.3351:                             ;   in Loop: Header=BB8_3286 Depth=3
	s_andn2_saveexec_b64 s[34:35], vcc
; %bb.3352:                             ;   in Loop: Header=BB8_3286 Depth=3
	v_or_b32_e32 v3, 0x10000, v22
	v_cmp_eq_u32_sdwa vcc, v22, v2 src0_sel:WORD_0 src1_sel:DWORD
	v_cndmask_b32_e32 v3, v3, v22, vcc
; %bb.3353:                             ;   in Loop: Header=BB8_3286 Depth=3
	s_or_b64 exec, exec, s[34:35]
	v_lshrrev_b32_e32 v20, 16, v20
	v_lshrrev_b32_e32 v19, 16, v19
	v_and_or_b32 v18, v18, s97, v20
	v_lshrrev_b32_e32 v17, 16, v17
	v_and_or_b32 v19, v5, s97, v19
	v_lshrrev_b32_e32 v5, 16, v16
	v_and_or_b32 v17, v21, s97, v17
	v_and_or_b32 v20, v3, s97, v5
	buffer_store_dword v18, off, s[0:3], s33 offset:100
	buffer_store_dword v17, off, s[0:3], s33 offset:96
	;; [unrolled: 1-line block ×4, first 2 shown]
	buffer_load_dword v3, off, s[0:3], s33 offset:136 ; 4-byte Folded Reload
	s_nop 0
	global_store_dwordx4 v[0:1], v[17:20], off glc slc
	s_waitcnt vmcnt(1)
	v_add_co_u32_e32 v0, vcc, v3, v0
	buffer_load_dword v3, off, s[0:3], s33 offset:140 ; 4-byte Folded Reload
	s_waitcnt vmcnt(0)
	v_addc_co_u32_e32 v1, vcc, v3, v1, vcc
.LBB8_3354:                             ;   in Loop: Header=BB8_3286 Depth=3
	s_or_b64 exec, exec, s[40:41]
	buffer_load_dword v3, off, s[0:3], s33 offset:180 ; 4-byte Folded Reload
	v_add_co_u32_e32 v11, vcc, v11, v54
	v_addc_co_u32_e32 v12, vcc, v12, v55, vcc
	v_add_co_u32_e32 v13, vcc, v13, v54
	v_addc_co_u32_e32 v14, vcc, v14, v55, vcc
	s_waitcnt vmcnt(0)
	v_sub_u32_e32 v10, v10, v3
	v_cmp_lt_i32_e64 s[34:35], 15, v10
	s_and_saveexec_b64 s[36:37], s[34:35]
	s_cbranch_execz .LBB8_3357
; %bb.3355:                             ;   in Loop: Header=BB8_3286 Depth=3
	s_lshr_b32 s44, s33, 6
	s_addk_i32 s44, 0x60
	s_mov_b64 s[48:49], 0
	s_mov_b64 s[38:39], -1
.LBB8_3356:                             ;   Parent Loop BB8_47 Depth=1
                                        ;     Parent Loop BB8_1939 Depth=2
                                        ;       Parent Loop BB8_3286 Depth=3
                                        ; =>      This Inner Loop Header: Depth=4
	s_cmp_eq_u32 s48, 1
	s_cselect_b64 s[40:41], -1, 0
	v_cndmask_b32_e64 v21, v12, v14, s[40:41]
	v_cndmask_b32_e64 v20, v11, v13, s[40:41]
	global_load_dwordx4 v[16:19], v[20:21], off glc slc
	v_mov_b32_e32 v3, s44
	s_cmp_eq_u32 s48, 0
	s_mov_b64 s[48:49], 1
	s_mov_b32 s44, s82
	s_waitcnt vmcnt(0)
	buffer_store_dword v17, v3, s[0:3], 0 offen offset:4
	buffer_store_dword v16, v3, s[0:3], 0 offen
	buffer_store_dword v19, v3, s[0:3], 0 offen offset:12
	buffer_store_dword v18, v3, s[0:3], 0 offen offset:8
	v_add_co_u32_e32 v3, vcc, s55, v20
	v_addc_co_u32_e32 v5, vcc, 0, v21, vcc
	s_cselect_b64 vcc, -1, 0
	v_cndmask_b32_e32 v12, v12, v5, vcc
	v_cndmask_b32_e32 v11, v11, v3, vcc
	v_cndmask_b32_e64 v14, v14, v5, s[40:41]
	v_cndmask_b32_e64 v13, v13, v3, s[40:41]
	s_and_b64 vcc, exec, s[38:39]
	s_mov_b64 s[38:39], 0
	s_cbranch_vccnz .LBB8_3356
.LBB8_3357:                             ;   in Loop: Header=BB8_3286 Depth=3
	s_or_b64 exec, exec, s[36:37]
	buffer_load_dword v18, off, s[0:3], s33 offset:64
	buffer_load_dword v16, off, s[0:3], s33 offset:68
	;; [unrolled: 1-line block ×4, first 2 shown]
	s_waitcnt vmcnt(3)
	v_lshlrev_b32_e32 v17, 16, v18
	v_mul_f32_e32 v19, v15, v17
	v_and_b32_e32 v17, 0x7f800000, v19
	v_cmp_ne_u32_e32 vcc, s87, v17
                                        ; implicit-def: $vgpr17
	s_and_saveexec_b64 s[40:41], vcc
	s_xor_b64 s[40:41], exec, s[40:41]
; %bb.3358:                             ;   in Loop: Header=BB8_3286 Depth=3
	v_bfe_u32 v17, v19, 16, 1
	v_add3_u32 v17, v19, v17, s96
                                        ; implicit-def: $vgpr19
; %bb.3359:                             ;   in Loop: Header=BB8_3286 Depth=3
	s_andn2_saveexec_b64 s[40:41], s[40:41]
; %bb.3360:                             ;   in Loop: Header=BB8_3286 Depth=3
	v_or_b32_e32 v17, 0x10000, v19
	v_cmp_eq_u32_sdwa vcc, v19, v2 src0_sel:WORD_0 src1_sel:DWORD
	v_cndmask_b32_e32 v17, v17, v19, vcc
; %bb.3361:                             ;   in Loop: Header=BB8_3286 Depth=3
	s_or_b64 exec, exec, s[40:41]
	v_and_b32_e32 v18, 0xffff0000, v18
	v_mul_f32_e32 v18, v15, v18
	v_and_b32_e32 v19, 0x7f800000, v18
	v_cmp_ne_u32_e32 vcc, s87, v19
                                        ; implicit-def: $vgpr21
	s_and_saveexec_b64 s[40:41], vcc
	s_xor_b64 s[40:41], exec, s[40:41]
; %bb.3362:                             ;   in Loop: Header=BB8_3286 Depth=3
	v_bfe_u32 v19, v18, 16, 1
	v_add3_u32 v21, v18, v19, s96
                                        ; implicit-def: $vgpr18
; %bb.3363:                             ;   in Loop: Header=BB8_3286 Depth=3
	s_andn2_saveexec_b64 s[40:41], s[40:41]
; %bb.3364:                             ;   in Loop: Header=BB8_3286 Depth=3
	v_or_b32_e32 v19, 0x10000, v18
	v_cmp_eq_u32_sdwa vcc, v18, v2 src0_sel:WORD_0 src1_sel:DWORD
	v_cndmask_b32_e32 v21, v19, v18, vcc
; %bb.3365:                             ;   in Loop: Header=BB8_3286 Depth=3
	s_or_b64 exec, exec, s[40:41]
	s_waitcnt vmcnt(2)
	v_lshlrev_b32_e32 v18, 16, v16
	v_mul_f32_e32 v18, v15, v18
	v_and_b32_e32 v19, 0x7f800000, v18
	v_cmp_ne_u32_e32 vcc, s87, v19
                                        ; implicit-def: $vgpr20
	s_and_saveexec_b64 s[40:41], vcc
	s_xor_b64 s[40:41], exec, s[40:41]
; %bb.3366:                             ;   in Loop: Header=BB8_3286 Depth=3
	v_bfe_u32 v19, v18, 16, 1
	v_add3_u32 v20, v18, v19, s96
                                        ; implicit-def: $vgpr18
; %bb.3367:                             ;   in Loop: Header=BB8_3286 Depth=3
	s_andn2_saveexec_b64 s[40:41], s[40:41]
; %bb.3368:                             ;   in Loop: Header=BB8_3286 Depth=3
	v_or_b32_e32 v19, 0x10000, v18
	v_cmp_eq_u32_sdwa vcc, v18, v2 src0_sel:WORD_0 src1_sel:DWORD
	v_cndmask_b32_e32 v20, v19, v18, vcc
; %bb.3369:                             ;   in Loop: Header=BB8_3286 Depth=3
	s_or_b64 exec, exec, s[40:41]
	v_and_b32_e32 v16, 0xffff0000, v16
	v_mul_f32_e32 v16, v15, v16
	v_and_b32_e32 v18, 0x7f800000, v16
	v_cmp_ne_u32_e32 vcc, s87, v18
                                        ; implicit-def: $vgpr18
	s_and_saveexec_b64 s[40:41], vcc
	s_xor_b64 s[40:41], exec, s[40:41]
; %bb.3370:                             ;   in Loop: Header=BB8_3286 Depth=3
	v_bfe_u32 v18, v16, 16, 1
	v_add3_u32 v18, v16, v18, s96
                                        ; implicit-def: $vgpr16
; %bb.3371:                             ;   in Loop: Header=BB8_3286 Depth=3
	s_andn2_saveexec_b64 s[40:41], s[40:41]
; %bb.3372:                             ;   in Loop: Header=BB8_3286 Depth=3
	v_or_b32_e32 v18, 0x10000, v16
	v_cmp_eq_u32_sdwa vcc, v16, v2 src0_sel:WORD_0 src1_sel:DWORD
	v_cndmask_b32_e32 v18, v18, v16, vcc
; %bb.3373:                             ;   in Loop: Header=BB8_3286 Depth=3
	s_or_b64 exec, exec, s[40:41]
	s_waitcnt vmcnt(1)
	v_lshlrev_b32_e32 v16, 16, v5
	v_mul_f32_e32 v16, v15, v16
	v_and_b32_e32 v19, 0x7f800000, v16
	v_cmp_ne_u32_e32 vcc, s87, v19
                                        ; implicit-def: $vgpr19
	s_and_saveexec_b64 s[40:41], vcc
	s_xor_b64 s[40:41], exec, s[40:41]
; %bb.3374:                             ;   in Loop: Header=BB8_3286 Depth=3
	v_bfe_u32 v19, v16, 16, 1
	v_add3_u32 v19, v16, v19, s96
                                        ; implicit-def: $vgpr16
; %bb.3375:                             ;   in Loop: Header=BB8_3286 Depth=3
	s_andn2_saveexec_b64 s[40:41], s[40:41]
; %bb.3376:                             ;   in Loop: Header=BB8_3286 Depth=3
	v_or_b32_e32 v19, 0x10000, v16
	v_cmp_eq_u32_sdwa vcc, v16, v2 src0_sel:WORD_0 src1_sel:DWORD
	v_cndmask_b32_e32 v19, v19, v16, vcc
; %bb.3377:                             ;   in Loop: Header=BB8_3286 Depth=3
	s_or_b64 exec, exec, s[40:41]
	v_and_b32_e32 v5, 0xffff0000, v5
	v_mul_f32_e32 v16, v15, v5
	v_and_b32_e32 v5, 0x7f800000, v16
	v_cmp_ne_u32_e32 vcc, s87, v5
                                        ; implicit-def: $vgpr5
	s_and_saveexec_b64 s[40:41], vcc
	s_xor_b64 s[40:41], exec, s[40:41]
; %bb.3378:                             ;   in Loop: Header=BB8_3286 Depth=3
	v_bfe_u32 v5, v16, 16, 1
	v_add3_u32 v5, v16, v5, s96
                                        ; implicit-def: $vgpr16
; %bb.3379:                             ;   in Loop: Header=BB8_3286 Depth=3
	s_andn2_saveexec_b64 s[40:41], s[40:41]
; %bb.3380:                             ;   in Loop: Header=BB8_3286 Depth=3
	v_or_b32_e32 v5, 0x10000, v16
	v_cmp_eq_u32_sdwa vcc, v16, v2 src0_sel:WORD_0 src1_sel:DWORD
	v_cndmask_b32_e32 v5, v5, v16, vcc
; %bb.3381:                             ;   in Loop: Header=BB8_3286 Depth=3
	s_or_b64 exec, exec, s[40:41]
	s_waitcnt vmcnt(0)
	v_lshlrev_b32_e32 v16, 16, v3
	v_mul_f32_e32 v22, v15, v16
	v_and_b32_e32 v16, 0x7f800000, v22
	v_cmp_ne_u32_e32 vcc, s87, v16
                                        ; implicit-def: $vgpr16
	s_and_saveexec_b64 s[40:41], vcc
	s_xor_b64 s[40:41], exec, s[40:41]
; %bb.3382:                             ;   in Loop: Header=BB8_3286 Depth=3
	v_bfe_u32 v16, v22, 16, 1
	v_add3_u32 v16, v22, v16, s96
                                        ; implicit-def: $vgpr22
; %bb.3383:                             ;   in Loop: Header=BB8_3286 Depth=3
	s_andn2_saveexec_b64 s[40:41], s[40:41]
; %bb.3384:                             ;   in Loop: Header=BB8_3286 Depth=3
	v_or_b32_e32 v16, 0x10000, v22
	v_cmp_eq_u32_sdwa vcc, v22, v2 src0_sel:WORD_0 src1_sel:DWORD
	v_cndmask_b32_e32 v16, v16, v22, vcc
; %bb.3385:                             ;   in Loop: Header=BB8_3286 Depth=3
	s_or_b64 exec, exec, s[40:41]
	v_and_b32_e32 v3, 0xffff0000, v3
	v_mul_f32_e32 v22, v15, v3
	v_and_b32_e32 v3, 0x7f800000, v22
	v_cmp_ne_u32_e32 vcc, s87, v3
                                        ; implicit-def: $vgpr3
	s_and_saveexec_b64 s[40:41], vcc
	s_xor_b64 s[40:41], exec, s[40:41]
; %bb.3386:                             ;   in Loop: Header=BB8_3286 Depth=3
	v_bfe_u32 v3, v22, 16, 1
	v_add3_u32 v3, v22, v3, s96
                                        ; implicit-def: $vgpr22
; %bb.3387:                             ;   in Loop: Header=BB8_3286 Depth=3
	s_andn2_saveexec_b64 s[40:41], s[40:41]
; %bb.3388:                             ;   in Loop: Header=BB8_3286 Depth=3
	v_or_b32_e32 v3, 0x10000, v22
	v_cmp_eq_u32_sdwa vcc, v22, v2 src0_sel:WORD_0 src1_sel:DWORD
	v_cndmask_b32_e32 v3, v3, v22, vcc
; %bb.3389:                             ;   in Loop: Header=BB8_3286 Depth=3
	s_or_b64 exec, exec, s[40:41]
	buffer_load_dword v25, off, s[0:3], s33 offset:80
	buffer_load_dword v24, off, s[0:3], s33 offset:84
	buffer_load_dword v23, off, s[0:3], s33 offset:88
	buffer_load_dword v22, off, s[0:3], s33 offset:92
	v_and_b32_e32 v17, 0xffff0000, v17
	s_waitcnt vmcnt(3)
	v_lshlrev_b32_e32 v26, 16, v25
	v_add_f32_e32 v26, v17, v26
	v_and_b32_e32 v17, 0x7f800000, v26
	v_cmp_ne_u32_e32 vcc, s87, v17
                                        ; implicit-def: $vgpr17
	s_and_saveexec_b64 s[40:41], vcc
	s_xor_b64 s[40:41], exec, s[40:41]
; %bb.3390:                             ;   in Loop: Header=BB8_3286 Depth=3
	v_bfe_u32 v17, v26, 16, 1
	v_add3_u32 v17, v26, v17, s96
                                        ; implicit-def: $vgpr26
; %bb.3391:                             ;   in Loop: Header=BB8_3286 Depth=3
	s_andn2_saveexec_b64 s[40:41], s[40:41]
; %bb.3392:                             ;   in Loop: Header=BB8_3286 Depth=3
	v_or_b32_e32 v17, 0x10000, v26
	v_cmp_eq_u32_sdwa vcc, v26, v2 src0_sel:WORD_0 src1_sel:DWORD
	v_cndmask_b32_e32 v17, v17, v26, vcc
; %bb.3393:                             ;   in Loop: Header=BB8_3286 Depth=3
	s_or_b64 exec, exec, s[40:41]
	v_and_b32_e32 v21, 0xffff0000, v21
	v_and_b32_e32 v25, 0xffff0000, v25
	v_add_f32_e32 v25, v21, v25
	v_and_b32_e32 v21, 0x7f800000, v25
	v_cmp_ne_u32_e32 vcc, s87, v21
                                        ; implicit-def: $vgpr21
	s_and_saveexec_b64 s[40:41], vcc
	s_xor_b64 s[40:41], exec, s[40:41]
; %bb.3394:                             ;   in Loop: Header=BB8_3286 Depth=3
	v_bfe_u32 v21, v25, 16, 1
	v_add3_u32 v21, v25, v21, s96
                                        ; implicit-def: $vgpr25
; %bb.3395:                             ;   in Loop: Header=BB8_3286 Depth=3
	s_andn2_saveexec_b64 s[40:41], s[40:41]
; %bb.3396:                             ;   in Loop: Header=BB8_3286 Depth=3
	v_or_b32_e32 v21, 0x10000, v25
	v_cmp_eq_u32_sdwa vcc, v25, v2 src0_sel:WORD_0 src1_sel:DWORD
	v_cndmask_b32_e32 v21, v21, v25, vcc
; %bb.3397:                             ;   in Loop: Header=BB8_3286 Depth=3
	s_or_b64 exec, exec, s[40:41]
	v_and_b32_e32 v20, 0xffff0000, v20
	s_waitcnt vmcnt(2)
	v_lshlrev_b32_e32 v25, 16, v24
	v_add_f32_e32 v25, v20, v25
	v_and_b32_e32 v20, 0x7f800000, v25
	v_cmp_ne_u32_e32 vcc, s87, v20
                                        ; implicit-def: $vgpr20
	s_and_saveexec_b64 s[40:41], vcc
	s_xor_b64 s[40:41], exec, s[40:41]
; %bb.3398:                             ;   in Loop: Header=BB8_3286 Depth=3
	v_bfe_u32 v20, v25, 16, 1
	v_add3_u32 v20, v25, v20, s96
                                        ; implicit-def: $vgpr25
; %bb.3399:                             ;   in Loop: Header=BB8_3286 Depth=3
	s_andn2_saveexec_b64 s[40:41], s[40:41]
; %bb.3400:                             ;   in Loop: Header=BB8_3286 Depth=3
	v_or_b32_e32 v20, 0x10000, v25
	v_cmp_eq_u32_sdwa vcc, v25, v2 src0_sel:WORD_0 src1_sel:DWORD
	v_cndmask_b32_e32 v20, v20, v25, vcc
; %bb.3401:                             ;   in Loop: Header=BB8_3286 Depth=3
	s_or_b64 exec, exec, s[40:41]
	v_and_b32_e32 v24, 0xffff0000, v24
	v_and_b32_e32 v18, 0xffff0000, v18
	v_add_f32_e32 v24, v18, v24
	v_and_b32_e32 v18, 0x7f800000, v24
	v_cmp_ne_u32_e32 vcc, s87, v18
                                        ; implicit-def: $vgpr18
	s_and_saveexec_b64 s[40:41], vcc
	s_xor_b64 s[40:41], exec, s[40:41]
; %bb.3402:                             ;   in Loop: Header=BB8_3286 Depth=3
	v_bfe_u32 v18, v24, 16, 1
	v_add3_u32 v18, v24, v18, s96
                                        ; implicit-def: $vgpr24
; %bb.3403:                             ;   in Loop: Header=BB8_3286 Depth=3
	s_andn2_saveexec_b64 s[40:41], s[40:41]
; %bb.3404:                             ;   in Loop: Header=BB8_3286 Depth=3
	v_or_b32_e32 v18, 0x10000, v24
	v_cmp_eq_u32_sdwa vcc, v24, v2 src0_sel:WORD_0 src1_sel:DWORD
	v_cndmask_b32_e32 v18, v18, v24, vcc
; %bb.3405:                             ;   in Loop: Header=BB8_3286 Depth=3
	s_or_b64 exec, exec, s[40:41]
	v_and_b32_e32 v19, 0xffff0000, v19
	s_waitcnt vmcnt(1)
	v_lshlrev_b32_e32 v24, 16, v23
	v_add_f32_e32 v24, v19, v24
	v_and_b32_e32 v19, 0x7f800000, v24
	v_cmp_ne_u32_e32 vcc, s87, v19
                                        ; implicit-def: $vgpr19
	s_and_saveexec_b64 s[40:41], vcc
	s_xor_b64 s[40:41], exec, s[40:41]
; %bb.3406:                             ;   in Loop: Header=BB8_3286 Depth=3
	v_bfe_u32 v19, v24, 16, 1
	v_add3_u32 v19, v24, v19, s96
                                        ; implicit-def: $vgpr24
; %bb.3407:                             ;   in Loop: Header=BB8_3286 Depth=3
	s_andn2_saveexec_b64 s[40:41], s[40:41]
; %bb.3408:                             ;   in Loop: Header=BB8_3286 Depth=3
	v_or_b32_e32 v19, 0x10000, v24
	v_cmp_eq_u32_sdwa vcc, v24, v2 src0_sel:WORD_0 src1_sel:DWORD
	v_cndmask_b32_e32 v19, v19, v24, vcc
; %bb.3409:                             ;   in Loop: Header=BB8_3286 Depth=3
	s_or_b64 exec, exec, s[40:41]
	v_and_b32_e32 v23, 0xffff0000, v23
	v_and_b32_e32 v5, 0xffff0000, v5
	v_add_f32_e32 v23, v5, v23
	v_and_b32_e32 v5, 0x7f800000, v23
	v_cmp_ne_u32_e32 vcc, s87, v5
                                        ; implicit-def: $vgpr5
	s_and_saveexec_b64 s[40:41], vcc
	s_xor_b64 s[40:41], exec, s[40:41]
; %bb.3410:                             ;   in Loop: Header=BB8_3286 Depth=3
	v_bfe_u32 v5, v23, 16, 1
	v_add3_u32 v5, v23, v5, s96
                                        ; implicit-def: $vgpr23
; %bb.3411:                             ;   in Loop: Header=BB8_3286 Depth=3
	s_andn2_saveexec_b64 s[40:41], s[40:41]
; %bb.3412:                             ;   in Loop: Header=BB8_3286 Depth=3
	v_or_b32_e32 v5, 0x10000, v23
	v_cmp_eq_u32_sdwa vcc, v23, v2 src0_sel:WORD_0 src1_sel:DWORD
	v_cndmask_b32_e32 v5, v5, v23, vcc
; %bb.3413:                             ;   in Loop: Header=BB8_3286 Depth=3
	s_or_b64 exec, exec, s[40:41]
	v_and_b32_e32 v16, 0xffff0000, v16
	s_waitcnt vmcnt(0)
	v_lshlrev_b32_e32 v23, 16, v22
	v_add_f32_e32 v23, v16, v23
	v_and_b32_e32 v16, 0x7f800000, v23
	v_cmp_ne_u32_e32 vcc, s87, v16
                                        ; implicit-def: $vgpr16
	s_and_saveexec_b64 s[40:41], vcc
	s_xor_b64 s[40:41], exec, s[40:41]
; %bb.3414:                             ;   in Loop: Header=BB8_3286 Depth=3
	v_bfe_u32 v16, v23, 16, 1
	v_add3_u32 v16, v23, v16, s96
                                        ; implicit-def: $vgpr23
; %bb.3415:                             ;   in Loop: Header=BB8_3286 Depth=3
	s_andn2_saveexec_b64 s[40:41], s[40:41]
; %bb.3416:                             ;   in Loop: Header=BB8_3286 Depth=3
	v_or_b32_e32 v16, 0x10000, v23
	v_cmp_eq_u32_sdwa vcc, v23, v2 src0_sel:WORD_0 src1_sel:DWORD
	v_cndmask_b32_e32 v16, v16, v23, vcc
; %bb.3417:                             ;   in Loop: Header=BB8_3286 Depth=3
	s_or_b64 exec, exec, s[40:41]
	v_and_b32_e32 v22, 0xffff0000, v22
	v_and_b32_e32 v3, 0xffff0000, v3
	v_add_f32_e32 v22, v3, v22
	v_and_b32_e32 v3, 0x7f800000, v22
	v_cmp_ne_u32_e32 vcc, s87, v3
                                        ; implicit-def: $vgpr3
	s_and_saveexec_b64 s[40:41], vcc
	s_xor_b64 s[40:41], exec, s[40:41]
; %bb.3418:                             ;   in Loop: Header=BB8_3286 Depth=3
	v_bfe_u32 v3, v22, 16, 1
	v_add3_u32 v3, v22, v3, s96
                                        ; implicit-def: $vgpr22
; %bb.3419:                             ;   in Loop: Header=BB8_3286 Depth=3
	s_andn2_saveexec_b64 s[40:41], s[40:41]
; %bb.3420:                             ;   in Loop: Header=BB8_3286 Depth=3
	v_or_b32_e32 v3, 0x10000, v22
	v_cmp_eq_u32_sdwa vcc, v22, v2 src0_sel:WORD_0 src1_sel:DWORD
	v_cndmask_b32_e32 v3, v3, v22, vcc
; %bb.3421:                             ;   in Loop: Header=BB8_3286 Depth=3
	s_or_b64 exec, exec, s[40:41]
	buffer_load_dword v22, off, s[0:3], s33 offset:128 ; 4-byte Folded Reload
	v_lshrrev_b32_e32 v19, 16, v19
	v_lshrrev_b32_e32 v20, 16, v20
	;; [unrolled: 1-line block ×3, first 2 shown]
	v_and_or_b32 v19, v5, s97, v19
	v_lshrrev_b32_e32 v5, 16, v16
	v_and_or_b32 v18, v18, s97, v20
	v_and_or_b32 v17, v21, s97, v17
	;; [unrolled: 1-line block ×3, first 2 shown]
	buffer_store_dword v18, off, s[0:3], s33 offset:68
	buffer_store_dword v17, off, s[0:3], s33 offset:64
	;; [unrolled: 1-line block ×4, first 2 shown]
	global_store_dwordx4 v[0:1], v[17:20], off glc slc
	v_add_co_u32_e32 v0, vcc, 0x400, v0
	v_addc_co_u32_e32 v1, vcc, 0, v1, vcc
	s_waitcnt vmcnt(5)
	v_sub_u32_e32 v9, v9, v22
	s_and_saveexec_b64 s[40:41], s[34:35]
	s_cbranch_execz .LBB8_3285
; %bb.3422:                             ;   in Loop: Header=BB8_3286 Depth=3
	buffer_load_dword v3, off, s[0:3], s33 offset:180 ; 4-byte Folded Reload
	v_add_co_u32_e32 v11, vcc, v11, v54
	v_addc_co_u32_e32 v12, vcc, v12, v55, vcc
	v_add_co_u32_e32 v13, vcc, v13, v54
	v_addc_co_u32_e32 v14, vcc, v14, v55, vcc
	;; [unrolled: 2-line block ×3, first 2 shown]
	s_waitcnt vmcnt(0)
	v_sub_u32_e32 v10, v10, v3
	buffer_load_dword v3, off, s[0:3], s33 offset:128 ; 4-byte Folded Reload
	s_waitcnt vmcnt(0)
	v_sub_u32_e32 v9, v9, v3
	s_branch .LBB8_3285
.LBB8_3423:                             ;   in Loop: Header=BB8_1939 Depth=2
	s_or_b64 exec, exec, s[94:95]
	s_and_b64 s[94:95], s[30:31], exec
.LBB8_3424:                             ;   in Loop: Header=BB8_1939 Depth=2
	s_or_b64 exec, exec, s[92:93]
	s_and_saveexec_b64 s[40:41], s[94:95]
	s_cbranch_execz .LBB8_3490
; %bb.3425:                             ;   in Loop: Header=BB8_1939 Depth=2
	s_trap 2
	buffer_load_dword v12, off, s[0:3], s33 offset:96
	buffer_load_dword v10, off, s[0:3], s33 offset:100
	buffer_load_dword v5, off, s[0:3], s33 offset:104
	buffer_load_dword v3, off, s[0:3], s33 offset:108
	ds_read_b32 v11, v0
	s_waitcnt lgkmcnt(0)
	v_lshlrev_b32_e32 v16, 16, v11
	s_waitcnt vmcnt(3)
	v_lshlrev_b32_e32 v11, 16, v12
	v_mul_f32_e32 v13, v16, v11
	v_and_b32_e32 v11, 0x7f800000, v13
	v_cmp_ne_u32_e32 vcc, s87, v11
                                        ; implicit-def: $vgpr11
	s_and_saveexec_b64 s[44:45], vcc
	s_xor_b64 s[92:93], exec, s[44:45]
; %bb.3426:                             ;   in Loop: Header=BB8_1939 Depth=2
	v_bfe_u32 v11, v13, 16, 1
	v_add3_u32 v11, v13, v11, s96
                                        ; implicit-def: $vgpr13
; %bb.3427:                             ;   in Loop: Header=BB8_1939 Depth=2
	s_andn2_saveexec_b64 s[92:93], s[92:93]
; %bb.3428:                             ;   in Loop: Header=BB8_1939 Depth=2
	v_or_b32_e32 v11, 0x10000, v13
	v_cmp_eq_u32_sdwa vcc, v13, v2 src0_sel:WORD_0 src1_sel:DWORD
	v_cndmask_b32_e32 v11, v11, v13, vcc
; %bb.3429:                             ;   in Loop: Header=BB8_1939 Depth=2
	s_or_b64 exec, exec, s[92:93]
	v_and_b32_e32 v12, 0xffff0000, v12
	v_mul_f32_e32 v12, v16, v12
	v_and_b32_e32 v13, 0x7f800000, v12
	v_cmp_ne_u32_e32 vcc, s87, v13
                                        ; implicit-def: $vgpr15
	s_and_saveexec_b64 s[44:45], vcc
	s_xor_b64 s[92:93], exec, s[44:45]
; %bb.3430:                             ;   in Loop: Header=BB8_1939 Depth=2
	v_bfe_u32 v13, v12, 16, 1
	v_add3_u32 v15, v12, v13, s96
                                        ; implicit-def: $vgpr12
; %bb.3431:                             ;   in Loop: Header=BB8_1939 Depth=2
	s_andn2_saveexec_b64 s[92:93], s[92:93]
; %bb.3432:                             ;   in Loop: Header=BB8_1939 Depth=2
	v_or_b32_e32 v13, 0x10000, v12
	v_cmp_eq_u32_sdwa vcc, v12, v2 src0_sel:WORD_0 src1_sel:DWORD
	v_cndmask_b32_e32 v15, v13, v12, vcc
; %bb.3433:                             ;   in Loop: Header=BB8_1939 Depth=2
	s_or_b64 exec, exec, s[92:93]
	s_waitcnt vmcnt(2)
	v_lshlrev_b32_e32 v12, 16, v10
	v_mul_f32_e32 v12, v16, v12
	v_and_b32_e32 v13, 0x7f800000, v12
	v_cmp_ne_u32_e32 vcc, s87, v13
                                        ; implicit-def: $vgpr14
	s_and_saveexec_b64 s[44:45], vcc
	s_xor_b64 s[92:93], exec, s[44:45]
; %bb.3434:                             ;   in Loop: Header=BB8_1939 Depth=2
	v_bfe_u32 v13, v12, 16, 1
	v_add3_u32 v14, v12, v13, s96
                                        ; implicit-def: $vgpr12
; %bb.3435:                             ;   in Loop: Header=BB8_1939 Depth=2
	s_andn2_saveexec_b64 s[92:93], s[92:93]
; %bb.3436:                             ;   in Loop: Header=BB8_1939 Depth=2
	v_or_b32_e32 v13, 0x10000, v12
	v_cmp_eq_u32_sdwa vcc, v12, v2 src0_sel:WORD_0 src1_sel:DWORD
	v_cndmask_b32_e32 v14, v13, v12, vcc
; %bb.3437:                             ;   in Loop: Header=BB8_1939 Depth=2
	s_or_b64 exec, exec, s[92:93]
	v_and_b32_e32 v10, 0xffff0000, v10
	v_mul_f32_e32 v10, v16, v10
	v_and_b32_e32 v12, 0x7f800000, v10
	v_cmp_ne_u32_e32 vcc, s87, v12
                                        ; implicit-def: $vgpr12
	s_and_saveexec_b64 s[44:45], vcc
	s_xor_b64 s[92:93], exec, s[44:45]
; %bb.3438:                             ;   in Loop: Header=BB8_1939 Depth=2
	v_bfe_u32 v12, v10, 16, 1
	v_add3_u32 v12, v10, v12, s96
                                        ; implicit-def: $vgpr10
; %bb.3439:                             ;   in Loop: Header=BB8_1939 Depth=2
	s_andn2_saveexec_b64 s[92:93], s[92:93]
; %bb.3440:                             ;   in Loop: Header=BB8_1939 Depth=2
	v_or_b32_e32 v12, 0x10000, v10
	v_cmp_eq_u32_sdwa vcc, v10, v2 src0_sel:WORD_0 src1_sel:DWORD
	v_cndmask_b32_e32 v12, v12, v10, vcc
; %bb.3441:                             ;   in Loop: Header=BB8_1939 Depth=2
	s_or_b64 exec, exec, s[92:93]
	s_waitcnt vmcnt(1)
	v_lshlrev_b32_e32 v10, 16, v5
	v_mul_f32_e32 v10, v16, v10
	v_and_b32_e32 v13, 0x7f800000, v10
	v_cmp_ne_u32_e32 vcc, s87, v13
                                        ; implicit-def: $vgpr13
	s_and_saveexec_b64 s[44:45], vcc
	s_xor_b64 s[92:93], exec, s[44:45]
; %bb.3442:                             ;   in Loop: Header=BB8_1939 Depth=2
	v_bfe_u32 v13, v10, 16, 1
	v_add3_u32 v13, v10, v13, s96
                                        ; implicit-def: $vgpr10
; %bb.3443:                             ;   in Loop: Header=BB8_1939 Depth=2
	s_andn2_saveexec_b64 s[92:93], s[92:93]
; %bb.3444:                             ;   in Loop: Header=BB8_1939 Depth=2
	v_or_b32_e32 v13, 0x10000, v10
	v_cmp_eq_u32_sdwa vcc, v10, v2 src0_sel:WORD_0 src1_sel:DWORD
	v_cndmask_b32_e32 v13, v13, v10, vcc
; %bb.3445:                             ;   in Loop: Header=BB8_1939 Depth=2
	s_or_b64 exec, exec, s[92:93]
	v_and_b32_e32 v5, 0xffff0000, v5
	v_mul_f32_e32 v10, v16, v5
	v_and_b32_e32 v5, 0x7f800000, v10
	v_cmp_ne_u32_e32 vcc, s87, v5
                                        ; implicit-def: $vgpr5
	s_and_saveexec_b64 s[44:45], vcc
	s_xor_b64 s[92:93], exec, s[44:45]
; %bb.3446:                             ;   in Loop: Header=BB8_1939 Depth=2
	v_bfe_u32 v5, v10, 16, 1
	v_add3_u32 v5, v10, v5, s96
                                        ; implicit-def: $vgpr10
; %bb.3447:                             ;   in Loop: Header=BB8_1939 Depth=2
	s_andn2_saveexec_b64 s[92:93], s[92:93]
; %bb.3448:                             ;   in Loop: Header=BB8_1939 Depth=2
	v_or_b32_e32 v5, 0x10000, v10
	v_cmp_eq_u32_sdwa vcc, v10, v2 src0_sel:WORD_0 src1_sel:DWORD
	v_cndmask_b32_e32 v5, v5, v10, vcc
; %bb.3449:                             ;   in Loop: Header=BB8_1939 Depth=2
	s_or_b64 exec, exec, s[92:93]
	s_waitcnt vmcnt(0)
	v_lshlrev_b32_e32 v10, 16, v3
	v_mul_f32_e32 v17, v16, v10
	v_and_b32_e32 v10, 0x7f800000, v17
	v_cmp_ne_u32_e32 vcc, s87, v10
                                        ; implicit-def: $vgpr10
	s_and_saveexec_b64 s[44:45], vcc
	s_xor_b64 s[92:93], exec, s[44:45]
; %bb.3450:                             ;   in Loop: Header=BB8_1939 Depth=2
	v_bfe_u32 v10, v17, 16, 1
	v_add3_u32 v10, v17, v10, s96
                                        ; implicit-def: $vgpr17
; %bb.3451:                             ;   in Loop: Header=BB8_1939 Depth=2
	s_andn2_saveexec_b64 s[92:93], s[92:93]
; %bb.3452:                             ;   in Loop: Header=BB8_1939 Depth=2
	v_or_b32_e32 v10, 0x10000, v17
	v_cmp_eq_u32_sdwa vcc, v17, v2 src0_sel:WORD_0 src1_sel:DWORD
	v_cndmask_b32_e32 v10, v10, v17, vcc
; %bb.3453:                             ;   in Loop: Header=BB8_1939 Depth=2
	s_or_b64 exec, exec, s[92:93]
	v_and_b32_e32 v3, 0xffff0000, v3
	v_mul_f32_e32 v16, v16, v3
	v_and_b32_e32 v3, 0x7f800000, v16
	v_cmp_ne_u32_e32 vcc, s87, v3
                                        ; implicit-def: $vgpr3
	s_and_saveexec_b64 s[44:45], vcc
	s_xor_b64 s[92:93], exec, s[44:45]
; %bb.3454:                             ;   in Loop: Header=BB8_1939 Depth=2
	v_bfe_u32 v3, v16, 16, 1
	v_add3_u32 v3, v16, v3, s96
                                        ; implicit-def: $vgpr16
; %bb.3455:                             ;   in Loop: Header=BB8_1939 Depth=2
	s_andn2_saveexec_b64 s[92:93], s[92:93]
; %bb.3456:                             ;   in Loop: Header=BB8_1939 Depth=2
	v_or_b32_e32 v3, 0x10000, v16
	v_cmp_eq_u32_sdwa vcc, v16, v2 src0_sel:WORD_0 src1_sel:DWORD
	v_cndmask_b32_e32 v3, v3, v16, vcc
; %bb.3457:                             ;   in Loop: Header=BB8_1939 Depth=2
	s_or_b64 exec, exec, s[92:93]
	buffer_load_dword v19, off, s[0:3], s33 offset:112
	buffer_load_dword v18, off, s[0:3], s33 offset:116
	;; [unrolled: 1-line block ×4, first 2 shown]
	v_and_b32_e32 v11, 0xffff0000, v11
	s_waitcnt vmcnt(3)
	v_lshlrev_b32_e32 v20, 16, v19
	v_add_f32_e32 v20, v11, v20
	v_and_b32_e32 v11, 0x7f800000, v20
	v_cmp_ne_u32_e32 vcc, s87, v11
                                        ; implicit-def: $vgpr11
	s_and_saveexec_b64 s[44:45], vcc
	s_xor_b64 s[92:93], exec, s[44:45]
; %bb.3458:                             ;   in Loop: Header=BB8_1939 Depth=2
	v_bfe_u32 v11, v20, 16, 1
	v_add3_u32 v11, v20, v11, s96
                                        ; implicit-def: $vgpr20
; %bb.3459:                             ;   in Loop: Header=BB8_1939 Depth=2
	s_andn2_saveexec_b64 s[92:93], s[92:93]
; %bb.3460:                             ;   in Loop: Header=BB8_1939 Depth=2
	v_or_b32_e32 v11, 0x10000, v20
	v_cmp_eq_u32_sdwa vcc, v20, v2 src0_sel:WORD_0 src1_sel:DWORD
	v_cndmask_b32_e32 v11, v11, v20, vcc
; %bb.3461:                             ;   in Loop: Header=BB8_1939 Depth=2
	s_or_b64 exec, exec, s[92:93]
	v_and_b32_e32 v15, 0xffff0000, v15
	v_and_b32_e32 v19, 0xffff0000, v19
	v_add_f32_e32 v19, v15, v19
	v_and_b32_e32 v15, 0x7f800000, v19
	v_cmp_ne_u32_e32 vcc, s87, v15
                                        ; implicit-def: $vgpr15
	s_and_saveexec_b64 s[44:45], vcc
	s_xor_b64 s[92:93], exec, s[44:45]
; %bb.3462:                             ;   in Loop: Header=BB8_1939 Depth=2
	v_bfe_u32 v15, v19, 16, 1
	v_add3_u32 v15, v19, v15, s96
                                        ; implicit-def: $vgpr19
; %bb.3463:                             ;   in Loop: Header=BB8_1939 Depth=2
	s_andn2_saveexec_b64 s[92:93], s[92:93]
; %bb.3464:                             ;   in Loop: Header=BB8_1939 Depth=2
	v_or_b32_e32 v15, 0x10000, v19
	v_cmp_eq_u32_sdwa vcc, v19, v2 src0_sel:WORD_0 src1_sel:DWORD
	v_cndmask_b32_e32 v15, v15, v19, vcc
; %bb.3465:                             ;   in Loop: Header=BB8_1939 Depth=2
	s_or_b64 exec, exec, s[92:93]
	v_and_b32_e32 v14, 0xffff0000, v14
	s_waitcnt vmcnt(2)
	v_lshlrev_b32_e32 v19, 16, v18
	v_add_f32_e32 v19, v14, v19
	v_and_b32_e32 v14, 0x7f800000, v19
	v_cmp_ne_u32_e32 vcc, s87, v14
                                        ; implicit-def: $vgpr14
	s_and_saveexec_b64 s[44:45], vcc
	s_xor_b64 s[92:93], exec, s[44:45]
; %bb.3466:                             ;   in Loop: Header=BB8_1939 Depth=2
	v_bfe_u32 v14, v19, 16, 1
	v_add3_u32 v14, v19, v14, s96
                                        ; implicit-def: $vgpr19
; %bb.3467:                             ;   in Loop: Header=BB8_1939 Depth=2
	s_andn2_saveexec_b64 s[92:93], s[92:93]
; %bb.3468:                             ;   in Loop: Header=BB8_1939 Depth=2
	v_or_b32_e32 v14, 0x10000, v19
	v_cmp_eq_u32_sdwa vcc, v19, v2 src0_sel:WORD_0 src1_sel:DWORD
	v_cndmask_b32_e32 v14, v14, v19, vcc
; %bb.3469:                             ;   in Loop: Header=BB8_1939 Depth=2
	s_or_b64 exec, exec, s[92:93]
	v_and_b32_e32 v18, 0xffff0000, v18
	v_and_b32_e32 v12, 0xffff0000, v12
	v_add_f32_e32 v18, v12, v18
	v_and_b32_e32 v12, 0x7f800000, v18
	v_cmp_ne_u32_e32 vcc, s87, v12
                                        ; implicit-def: $vgpr12
	s_and_saveexec_b64 s[44:45], vcc
	s_xor_b64 s[92:93], exec, s[44:45]
; %bb.3470:                             ;   in Loop: Header=BB8_1939 Depth=2
	v_bfe_u32 v12, v18, 16, 1
	v_add3_u32 v12, v18, v12, s96
                                        ; implicit-def: $vgpr18
; %bb.3471:                             ;   in Loop: Header=BB8_1939 Depth=2
	s_andn2_saveexec_b64 s[92:93], s[92:93]
; %bb.3472:                             ;   in Loop: Header=BB8_1939 Depth=2
	v_or_b32_e32 v12, 0x10000, v18
	v_cmp_eq_u32_sdwa vcc, v18, v2 src0_sel:WORD_0 src1_sel:DWORD
	v_cndmask_b32_e32 v12, v12, v18, vcc
; %bb.3473:                             ;   in Loop: Header=BB8_1939 Depth=2
	s_or_b64 exec, exec, s[92:93]
	v_and_b32_e32 v13, 0xffff0000, v13
	s_waitcnt vmcnt(1)
	v_lshlrev_b32_e32 v18, 16, v17
	v_add_f32_e32 v18, v13, v18
	v_and_b32_e32 v13, 0x7f800000, v18
	v_cmp_ne_u32_e32 vcc, s87, v13
                                        ; implicit-def: $vgpr13
	s_and_saveexec_b64 s[44:45], vcc
	s_xor_b64 s[92:93], exec, s[44:45]
; %bb.3474:                             ;   in Loop: Header=BB8_1939 Depth=2
	v_bfe_u32 v13, v18, 16, 1
	v_add3_u32 v13, v18, v13, s96
                                        ; implicit-def: $vgpr18
; %bb.3475:                             ;   in Loop: Header=BB8_1939 Depth=2
	s_andn2_saveexec_b64 s[92:93], s[92:93]
; %bb.3476:                             ;   in Loop: Header=BB8_1939 Depth=2
	v_or_b32_e32 v13, 0x10000, v18
	v_cmp_eq_u32_sdwa vcc, v18, v2 src0_sel:WORD_0 src1_sel:DWORD
	v_cndmask_b32_e32 v13, v13, v18, vcc
; %bb.3477:                             ;   in Loop: Header=BB8_1939 Depth=2
	s_or_b64 exec, exec, s[92:93]
	v_and_b32_e32 v17, 0xffff0000, v17
	v_and_b32_e32 v5, 0xffff0000, v5
	v_add_f32_e32 v17, v5, v17
	v_and_b32_e32 v5, 0x7f800000, v17
	v_cmp_ne_u32_e32 vcc, s87, v5
                                        ; implicit-def: $vgpr5
	s_and_saveexec_b64 s[44:45], vcc
	s_xor_b64 s[92:93], exec, s[44:45]
; %bb.3478:                             ;   in Loop: Header=BB8_1939 Depth=2
	v_bfe_u32 v5, v17, 16, 1
	v_add3_u32 v5, v17, v5, s96
                                        ; implicit-def: $vgpr17
; %bb.3479:                             ;   in Loop: Header=BB8_1939 Depth=2
	s_andn2_saveexec_b64 s[92:93], s[92:93]
; %bb.3480:                             ;   in Loop: Header=BB8_1939 Depth=2
	v_or_b32_e32 v5, 0x10000, v17
	v_cmp_eq_u32_sdwa vcc, v17, v2 src0_sel:WORD_0 src1_sel:DWORD
	v_cndmask_b32_e32 v5, v5, v17, vcc
; %bb.3481:                             ;   in Loop: Header=BB8_1939 Depth=2
	s_or_b64 exec, exec, s[92:93]
	v_and_b32_e32 v10, 0xffff0000, v10
	s_waitcnt vmcnt(0)
	v_lshlrev_b32_e32 v17, 16, v16
	v_add_f32_e32 v17, v10, v17
	v_and_b32_e32 v10, 0x7f800000, v17
	v_cmp_ne_u32_e32 vcc, s87, v10
                                        ; implicit-def: $vgpr10
	s_and_saveexec_b64 s[44:45], vcc
	s_xor_b64 s[92:93], exec, s[44:45]
; %bb.3482:                             ;   in Loop: Header=BB8_1939 Depth=2
	v_bfe_u32 v10, v17, 16, 1
	v_add3_u32 v10, v17, v10, s96
                                        ; implicit-def: $vgpr17
; %bb.3483:                             ;   in Loop: Header=BB8_1939 Depth=2
	s_andn2_saveexec_b64 s[92:93], s[92:93]
; %bb.3484:                             ;   in Loop: Header=BB8_1939 Depth=2
	v_or_b32_e32 v10, 0x10000, v17
	v_cmp_eq_u32_sdwa vcc, v17, v2 src0_sel:WORD_0 src1_sel:DWORD
	v_cndmask_b32_e32 v10, v10, v17, vcc
; %bb.3485:                             ;   in Loop: Header=BB8_1939 Depth=2
	s_or_b64 exec, exec, s[92:93]
	v_and_b32_e32 v16, 0xffff0000, v16
	v_and_b32_e32 v3, 0xffff0000, v3
	v_add_f32_e32 v16, v3, v16
	v_and_b32_e32 v3, 0x7f800000, v16
	v_cmp_ne_u32_e32 vcc, s87, v3
                                        ; implicit-def: $vgpr3
	s_and_saveexec_b64 s[44:45], vcc
	s_xor_b64 s[92:93], exec, s[44:45]
; %bb.3486:                             ;   in Loop: Header=BB8_1939 Depth=2
	v_bfe_u32 v3, v16, 16, 1
	v_add3_u32 v3, v16, v3, s96
                                        ; implicit-def: $vgpr16
; %bb.3487:                             ;   in Loop: Header=BB8_1939 Depth=2
	s_andn2_saveexec_b64 s[92:93], s[92:93]
; %bb.3488:                             ;   in Loop: Header=BB8_1939 Depth=2
	v_or_b32_e32 v3, 0x10000, v16
	v_cmp_eq_u32_sdwa vcc, v16, v2 src0_sel:WORD_0 src1_sel:DWORD
	v_cndmask_b32_e32 v3, v3, v16, vcc
; %bb.3489:                             ;   in Loop: Header=BB8_1939 Depth=2
	s_or_b64 exec, exec, s[92:93]
	v_lshrrev_b32_e32 v13, 16, v13
	v_lshrrev_b32_e32 v14, 16, v14
	;; [unrolled: 1-line block ×3, first 2 shown]
	v_and_or_b32 v13, v5, s97, v13
	v_lshrrev_b32_e32 v5, 16, v10
	v_and_or_b32 v12, v12, s97, v14
	v_and_or_b32 v11, v15, s97, v11
	;; [unrolled: 1-line block ×3, first 2 shown]
	global_store_dwordx4 v[0:1], v[11:14], off glc slc
.LBB8_3490:                             ;   in Loop: Header=BB8_1939 Depth=2
	s_or_b64 exec, exec, s[40:41]
	buffer_load_dword v0, off, s[0:3], s33 offset:312 ; 4-byte Folded Reload
	s_mov_b64 s[92:93], s[42:43]
                                        ; implicit-def: $vgpr10
                                        ; implicit-def: $vgpr11
	s_waitcnt vmcnt(0)
	v_and_b32_e32 v1, 14, v0
	v_cndmask_b32_e64 v0, v8, v1, s[28:29]
	v_cmp_ne_u32_e32 vcc, 0, v0
	buffer_store_dword v0, off, s[0:3], s33 offset:312 ; 4-byte Folded Spill
                                        ; implicit-def: $vgpr0
	s_and_saveexec_b64 s[40:41], vcc
	s_cbranch_execz .LBB8_3492
; %bb.3491:                             ;   in Loop: Header=BB8_1939 Depth=2
	v_sub_u32_e32 v0, v8, v1
	v_cndmask_b32_e64 v0, 0, v0, s[28:29]
	v_add3_u32 v10, v7, v4, v0
	buffer_load_dword v0, off, s[0:3], s33 offset:128 ; 4-byte Folded Reload
	v_cmp_lt_i32_e32 vcc, 0, v9
	s_or_b64 s[92:93], s[42:43], exec
	s_waitcnt vmcnt(0)
	v_cndmask_b32_e32 v0, 0, v0, vcc
	v_sub_u32_e32 v0, v0, v9
	v_lshl_add_u32 v0, v0, 6, v6
	v_ashrrev_i32_e32 v1, 31, v0
	v_lshrrev_b32_e32 v1, 26, v1
	v_add_u32_e32 v1, v0, v1
	v_and_b32_e32 v1, 0xffffffc0, v1
	v_sub_u32_e32 v11, v0, v1
.LBB8_3492:                             ;   in Loop: Header=BB8_1939 Depth=2
	s_or_b64 exec, exec, s[40:41]
	s_andn2_b64 s[28:29], s[42:43], exec
	s_and_b64 s[40:41], s[92:93], exec
	s_or_b64 s[42:43], s[28:29], s[40:41]
.LBB8_3493:                             ;   in Loop: Header=BB8_1939 Depth=2
	s_or_b64 exec, exec, s[90:91]
	s_and_saveexec_b64 s[40:41], s[42:43]
	s_cbranch_execz .LBB8_3733
.LBB8_3494:                             ;   in Loop: Header=BB8_1939 Depth=2
	s_waitcnt vmcnt(0)
	v_ashrrev_i32_e32 v1, 31, v0
	v_lshrrev_b32_e32 v1, 26, v1
	v_add_u32_e32 v0, v0, v1
	v_ashrrev_i32_e32 v0, 6, v0
	v_lshlrev_b32_e32 v1, 10, v0
	v_lshlrev_b32_e32 v3, 1, v11
	v_add3_u32 v14, v10, v3, v1
	buffer_load_dword v3, off, s[0:3], s33 offset:312 ; 4-byte Folded Reload
	v_ashrrev_i32_e32 v15, 31, v14
	v_mov_b32_e32 v53, v31
	v_mov_b32_e32 v52, v29
	;; [unrolled: 1-line block ×3, first 2 shown]
	s_mov_b64 s[42:43], 0
	v_mov_b32_e32 v24, 0
	v_mov_b32_e32 v30, 0
	;; [unrolled: 1-line block ×14, first 2 shown]
	s_waitcnt vmcnt(0)
	v_ashrrev_i32_e32 v1, 31, v3
	v_lshrrev_b32_e32 v1, 22, v1
	v_add_u32_e32 v1, v3, v1
	v_ashrrev_i32_e32 v4, 10, v1
	v_sub_u32_e32 v12, v4, v0
	buffer_load_dword v0, off, s[0:3], s33 offset:328 ; 4-byte Folded Reload
	buffer_load_dword v1, off, s[0:3], s33 offset:332 ; 4-byte Folded Reload
	v_mov_b32_e32 v3, 0
	s_waitcnt vmcnt(0)
	v_add_co_u32_e32 v0, vcc, v0, v14
	v_addc_co_u32_e32 v1, vcc, v1, v15, vcc
	v_cmp_lt_i32_e32 vcc, 0, v12
	s_and_saveexec_b64 s[28:29], vcc
	s_cbranch_execz .LBB8_3630
; %bb.3495:                             ;   in Loop: Header=BB8_1939 Depth=2
	s_trap 2
	ds_read_b64 v[8:9], v0
	buffer_load_dword v6, off, s[0:3], s33 offset:320 ; 4-byte Folded Reload
	buffer_load_dword v7, off, s[0:3], s33 offset:324 ; 4-byte Folded Reload
	s_mov_b64 s[92:93], 0
	s_mov_b64 s[90:91], 0
                                        ; implicit-def: $sgpr42_sgpr43
                                        ; implicit-def: $vgpr51
                                        ; implicit-def: $vgpr49
                                        ; implicit-def: $vgpr39
                                        ; implicit-def: $vgpr37
                                        ; implicit-def: $vgpr35
                                        ; implicit-def: $vgpr33
                                        ; implicit-def: $vgpr29
                                        ; implicit-def: $vgpr27
                                        ; implicit-def: $vgpr13
                                        ; implicit-def: $vgpr16
                                        ; implicit-def: $vgpr17
                                        ; implicit-def: $vgpr18
                                        ; implicit-def: $vgpr19
                                        ; implicit-def: $vgpr20
	s_waitcnt vmcnt(0)
	v_add_co_u32_e32 v6, vcc, v14, v6
	v_addc_co_u32_e32 v7, vcc, v15, v7, vcc
	s_waitcnt lgkmcnt(0)
	v_add_co_u32_e32 v8, vcc, v8, v14
	v_addc_co_u32_e32 v9, vcc, v9, v15, vcc
                                        ; implicit-def: $vgpr14
                                        ; implicit-def: $vgpr15
	s_branch .LBB8_3497
.LBB8_3496:                             ;   in Loop: Header=BB8_3497 Depth=3
	s_or_b64 exec, exec, s[94:95]
	flat_store_short_d16_hi v[0:1], v5 glc slc
	flat_store_short_d16_hi v[0:1], v28 offset:128 glc slc
	flat_store_short_d16_hi v[0:1], v26 offset:256 glc slc
	;; [unrolled: 1-line block ×7, first 2 shown]
	v_add_co_u32_e32 v3, vcc, v6, v54
	buffer_load_dword v23, off, s[0:3], s33 offset:140 ; 4-byte Folded Reload
	buffer_load_dword v24, off, s[0:3], s33 offset:136 ; 4-byte Folded Reload
	v_cndmask_b32_e64 v6, v6, v3, s[92:93]
	buffer_load_dword v3, off, s[0:3], s33 offset:128 ; 4-byte Folded Reload
	v_addc_co_u32_e32 v5, vcc, v7, v55, vcc
	v_add_co_u32_e32 v21, vcc, v8, v54
	v_mov_b32_e32 v25, 0x400
	v_addc_co_u32_e32 v22, vcc, v9, v55, vcc
	v_cndmask_b32_e64 v7, v7, v5, s[92:93]
	v_cndmask_b32_e64 v9, v9, v22, s[92:93]
	;; [unrolled: 1-line block ×3, first 2 shown]
	s_waitcnt vmcnt(0)
	v_cndmask_b32_e64 v23, 0, v23, s[92:93]
	v_cndmask_b32_e64 v24, v25, v24, s[92:93]
	v_add_co_u32_e32 v0, vcc, v0, v24
	v_cndmask_b32_e64 v3, 0, v3, s[92:93]
	v_addc_co_u32_e32 v1, vcc, v1, v23, vcc
	v_sub_u32_e32 v12, v12, v3
	v_cmp_gt_i32_e32 vcc, 1, v12
	s_or_b64 s[90:91], vcc, s[90:91]
	s_andn2_b64 s[42:43], s[42:43], exec
	s_and_b64 s[44:45], s[92:93], exec
	s_or_b64 s[42:43], s[42:43], s[44:45]
	s_andn2_b64 exec, exec, s[90:91]
	s_cbranch_execz .LBB8_3629
.LBB8_3497:                             ;   Parent Loop BB8_47 Depth=1
                                        ;     Parent Loop BB8_1939 Depth=2
                                        ; =>    This Inner Loop Header: Depth=3
	flat_load_ushort v44, v[6:7] glc slc
	flat_load_ushort v5, v[6:7] offset:128 glc slc
	flat_load_ushort v43, v[6:7] offset:256 glc slc
	;; [unrolled: 1-line block ×7, first 2 shown]
	flat_load_ushort v32, v[8:9] glc slc
	flat_load_ushort v28, v[8:9] offset:128 glc slc
	flat_load_ushort v26, v[8:9] offset:256 glc slc
	;; [unrolled: 1-line block ×7, first 2 shown]
	s_and_saveexec_b64 s[94:95], s[92:93]
	s_cbranch_execz .LBB8_3563
; %bb.3498:                             ;   in Loop: Header=BB8_3497 Depth=3
	s_trap 2
	ds_read_b32 v3, v0
	s_waitcnt lgkmcnt(0)
	v_lshlrev_b32_e32 v42, 16, v3
	v_lshlrev_b32_e32 v3, 16, v51
	v_mul_f32_e32 v30, v3, v42
	v_and_b32_e32 v3, 0x7f800000, v30
	v_cmp_ne_u32_e32 vcc, s87, v3
                                        ; implicit-def: $vgpr3
	s_and_saveexec_b64 s[44:45], vcc
	s_xor_b64 s[92:93], exec, s[44:45]
; %bb.3499:                             ;   in Loop: Header=BB8_3497 Depth=3
	v_bfe_u32 v3, v30, 16, 1
	v_add3_u32 v3, v30, v3, s96
                                        ; implicit-def: $vgpr30
; %bb.3500:                             ;   in Loop: Header=BB8_3497 Depth=3
	s_andn2_saveexec_b64 s[92:93], s[92:93]
; %bb.3501:                             ;   in Loop: Header=BB8_3497 Depth=3
	v_or_b32_e32 v3, 0x10000, v30
	v_cmp_eq_u32_sdwa vcc, v30, v2 src0_sel:WORD_0 src1_sel:DWORD
	v_cndmask_b32_e32 v3, v3, v30, vcc
; %bb.3502:                             ;   in Loop: Header=BB8_3497 Depth=3
	s_or_b64 exec, exec, s[92:93]
	v_lshlrev_b32_e32 v30, 16, v49
	v_mul_f32_e32 v30, v30, v42
	v_and_b32_e32 v31, 0x7f800000, v30
	v_cmp_ne_u32_e32 vcc, s87, v31
                                        ; implicit-def: $vgpr49
	s_and_saveexec_b64 s[44:45], vcc
	s_xor_b64 s[92:93], exec, s[44:45]
; %bb.3503:                             ;   in Loop: Header=BB8_3497 Depth=3
	v_bfe_u32 v31, v30, 16, 1
	v_add3_u32 v49, v30, v31, s96
                                        ; implicit-def: $vgpr30
; %bb.3504:                             ;   in Loop: Header=BB8_3497 Depth=3
	s_andn2_saveexec_b64 s[92:93], s[92:93]
; %bb.3505:                             ;   in Loop: Header=BB8_3497 Depth=3
	v_or_b32_e32 v31, 0x10000, v30
	v_cmp_eq_u32_sdwa vcc, v30, v2 src0_sel:WORD_0 src1_sel:DWORD
	v_cndmask_b32_e32 v49, v31, v30, vcc
; %bb.3506:                             ;   in Loop: Header=BB8_3497 Depth=3
	s_or_b64 exec, exec, s[92:93]
	v_lshlrev_b32_e32 v30, 16, v39
	v_mul_f32_e32 v30, v30, v42
	v_and_b32_e32 v31, 0x7f800000, v30
	v_cmp_ne_u32_e32 vcc, s87, v31
                                        ; implicit-def: $vgpr39
	s_and_saveexec_b64 s[44:45], vcc
	s_xor_b64 s[92:93], exec, s[44:45]
; %bb.3507:                             ;   in Loop: Header=BB8_3497 Depth=3
	v_bfe_u32 v31, v30, 16, 1
	v_add3_u32 v39, v30, v31, s96
                                        ; implicit-def: $vgpr30
; %bb.3508:                             ;   in Loop: Header=BB8_3497 Depth=3
	s_andn2_saveexec_b64 s[92:93], s[92:93]
; %bb.3509:                             ;   in Loop: Header=BB8_3497 Depth=3
	v_or_b32_e32 v31, 0x10000, v30
	v_cmp_eq_u32_sdwa vcc, v30, v2 src0_sel:WORD_0 src1_sel:DWORD
	v_cndmask_b32_e32 v39, v31, v30, vcc
; %bb.3510:                             ;   in Loop: Header=BB8_3497 Depth=3
	s_or_b64 exec, exec, s[92:93]
	v_lshlrev_b32_e32 v30, 16, v37
	v_mul_f32_e32 v30, v30, v42
	v_and_b32_e32 v31, 0x7f800000, v30
	v_cmp_ne_u32_e32 vcc, s87, v31
                                        ; implicit-def: $vgpr37
	s_and_saveexec_b64 s[44:45], vcc
	s_xor_b64 s[92:93], exec, s[44:45]
; %bb.3511:                             ;   in Loop: Header=BB8_3497 Depth=3
	v_bfe_u32 v31, v30, 16, 1
	v_add3_u32 v37, v30, v31, s96
                                        ; implicit-def: $vgpr30
; %bb.3512:                             ;   in Loop: Header=BB8_3497 Depth=3
	s_andn2_saveexec_b64 s[92:93], s[92:93]
; %bb.3513:                             ;   in Loop: Header=BB8_3497 Depth=3
	v_or_b32_e32 v31, 0x10000, v30
	v_cmp_eq_u32_sdwa vcc, v30, v2 src0_sel:WORD_0 src1_sel:DWORD
	v_cndmask_b32_e32 v37, v31, v30, vcc
; %bb.3514:                             ;   in Loop: Header=BB8_3497 Depth=3
	s_or_b64 exec, exec, s[92:93]
	v_lshlrev_b32_e32 v30, 16, v35
	v_mul_f32_e32 v30, v30, v42
	v_and_b32_e32 v31, 0x7f800000, v30
	v_cmp_ne_u32_e32 vcc, s87, v31
                                        ; implicit-def: $vgpr31
	s_and_saveexec_b64 s[44:45], vcc
	s_xor_b64 s[92:93], exec, s[44:45]
; %bb.3515:                             ;   in Loop: Header=BB8_3497 Depth=3
	v_bfe_u32 v31, v30, 16, 1
	v_add3_u32 v31, v30, v31, s96
                                        ; implicit-def: $vgpr30
; %bb.3516:                             ;   in Loop: Header=BB8_3497 Depth=3
	s_andn2_saveexec_b64 s[92:93], s[92:93]
; %bb.3517:                             ;   in Loop: Header=BB8_3497 Depth=3
	v_or_b32_e32 v31, 0x10000, v30
	v_cmp_eq_u32_sdwa vcc, v30, v2 src0_sel:WORD_0 src1_sel:DWORD
	v_cndmask_b32_e32 v31, v31, v30, vcc
; %bb.3518:                             ;   in Loop: Header=BB8_3497 Depth=3
	s_or_b64 exec, exec, s[92:93]
	v_lshlrev_b32_e32 v30, 16, v33
	v_mul_f32_e32 v33, v30, v42
	v_and_b32_e32 v30, 0x7f800000, v33
	v_cmp_ne_u32_e32 vcc, s87, v30
                                        ; implicit-def: $vgpr30
	s_and_saveexec_b64 s[44:45], vcc
	s_xor_b64 s[92:93], exec, s[44:45]
; %bb.3519:                             ;   in Loop: Header=BB8_3497 Depth=3
	v_bfe_u32 v30, v33, 16, 1
	v_add3_u32 v30, v33, v30, s96
                                        ; implicit-def: $vgpr33
; %bb.3520:                             ;   in Loop: Header=BB8_3497 Depth=3
	s_andn2_saveexec_b64 s[92:93], s[92:93]
; %bb.3521:                             ;   in Loop: Header=BB8_3497 Depth=3
	v_or_b32_e32 v30, 0x10000, v33
	v_cmp_eq_u32_sdwa vcc, v33, v2 src0_sel:WORD_0 src1_sel:DWORD
	v_cndmask_b32_e32 v30, v30, v33, vcc
; %bb.3522:                             ;   in Loop: Header=BB8_3497 Depth=3
	s_or_b64 exec, exec, s[92:93]
	v_lshlrev_b32_e32 v29, 16, v29
	v_mul_f32_e32 v33, v29, v42
	v_and_b32_e32 v29, 0x7f800000, v33
	v_cmp_ne_u32_e32 vcc, s87, v29
                                        ; implicit-def: $vgpr29
	s_and_saveexec_b64 s[44:45], vcc
	s_xor_b64 s[92:93], exec, s[44:45]
; %bb.3523:                             ;   in Loop: Header=BB8_3497 Depth=3
	v_bfe_u32 v29, v33, 16, 1
	v_add3_u32 v29, v33, v29, s96
                                        ; implicit-def: $vgpr33
; %bb.3524:                             ;   in Loop: Header=BB8_3497 Depth=3
	s_andn2_saveexec_b64 s[92:93], s[92:93]
; %bb.3525:                             ;   in Loop: Header=BB8_3497 Depth=3
	v_or_b32_e32 v29, 0x10000, v33
	v_cmp_eq_u32_sdwa vcc, v33, v2 src0_sel:WORD_0 src1_sel:DWORD
	v_cndmask_b32_e32 v29, v29, v33, vcc
; %bb.3526:                             ;   in Loop: Header=BB8_3497 Depth=3
	s_or_b64 exec, exec, s[92:93]
	v_lshlrev_b32_e32 v27, 16, v27
	v_mul_f32_e32 v33, v27, v42
	v_and_b32_e32 v27, 0x7f800000, v33
	v_cmp_ne_u32_e32 vcc, s87, v27
                                        ; implicit-def: $vgpr27
	s_and_saveexec_b64 s[44:45], vcc
	s_xor_b64 s[92:93], exec, s[44:45]
; %bb.3527:                             ;   in Loop: Header=BB8_3497 Depth=3
	v_bfe_u32 v27, v33, 16, 1
	v_add3_u32 v27, v33, v27, s96
                                        ; implicit-def: $vgpr33
; %bb.3528:                             ;   in Loop: Header=BB8_3497 Depth=3
	s_andn2_saveexec_b64 s[92:93], s[92:93]
; %bb.3529:                             ;   in Loop: Header=BB8_3497 Depth=3
	v_or_b32_e32 v27, 0x10000, v33
	v_cmp_eq_u32_sdwa vcc, v33, v2 src0_sel:WORD_0 src1_sel:DWORD
	v_cndmask_b32_e32 v27, v27, v33, vcc
; %bb.3530:                             ;   in Loop: Header=BB8_3497 Depth=3
	s_or_b64 exec, exec, s[92:93]
	v_and_b32_e32 v3, 0xffff0000, v3
	v_lshlrev_b32_e32 v33, 16, v13
	v_add_f32_e32 v33, v33, v3
	v_and_b32_e32 v3, 0x7f800000, v33
	v_cmp_ne_u32_e32 vcc, s87, v3
                                        ; implicit-def: $vgpr3
	s_and_saveexec_b64 s[44:45], vcc
	s_xor_b64 s[92:93], exec, s[44:45]
; %bb.3531:                             ;   in Loop: Header=BB8_3497 Depth=3
	v_bfe_u32 v3, v33, 16, 1
	v_add3_u32 v3, v33, v3, s96
                                        ; implicit-def: $vgpr33
; %bb.3532:                             ;   in Loop: Header=BB8_3497 Depth=3
	s_andn2_saveexec_b64 s[92:93], s[92:93]
; %bb.3533:                             ;   in Loop: Header=BB8_3497 Depth=3
	v_or_b32_e32 v3, 0x10000, v33
	v_cmp_eq_u32_sdwa vcc, v33, v2 src0_sel:WORD_0 src1_sel:DWORD
	v_cndmask_b32_e32 v3, v3, v33, vcc
; %bb.3534:                             ;   in Loop: Header=BB8_3497 Depth=3
	s_or_b64 exec, exec, s[92:93]
	v_and_b32_e32 v33, 0xffff0000, v49
	v_lshlrev_b32_e32 v35, 16, v14
	v_add_f32_e32 v33, v35, v33
	v_and_b32_e32 v35, 0x7f800000, v33
	v_cmp_ne_u32_e32 vcc, s87, v35
                                        ; implicit-def: $vgpr49
	s_and_saveexec_b64 s[44:45], vcc
	s_xor_b64 s[92:93], exec, s[44:45]
; %bb.3535:                             ;   in Loop: Header=BB8_3497 Depth=3
	v_bfe_u32 v35, v33, 16, 1
	v_add3_u32 v49, v33, v35, s96
                                        ; implicit-def: $vgpr33
; %bb.3536:                             ;   in Loop: Header=BB8_3497 Depth=3
	s_andn2_saveexec_b64 s[92:93], s[92:93]
; %bb.3537:                             ;   in Loop: Header=BB8_3497 Depth=3
	v_or_b32_e32 v35, 0x10000, v33
	v_cmp_eq_u32_sdwa vcc, v33, v2 src0_sel:WORD_0 src1_sel:DWORD
	v_cndmask_b32_e32 v49, v35, v33, vcc
; %bb.3538:                             ;   in Loop: Header=BB8_3497 Depth=3
	s_or_b64 exec, exec, s[92:93]
	v_and_b32_e32 v33, 0xffff0000, v39
	v_lshlrev_b32_e32 v35, 16, v15
	v_add_f32_e32 v33, v35, v33
	v_and_b32_e32 v35, 0x7f800000, v33
	v_cmp_ne_u32_e32 vcc, s87, v35
                                        ; implicit-def: $vgpr39
	s_and_saveexec_b64 s[44:45], vcc
	s_xor_b64 s[92:93], exec, s[44:45]
; %bb.3539:                             ;   in Loop: Header=BB8_3497 Depth=3
	v_bfe_u32 v35, v33, 16, 1
	v_add3_u32 v39, v33, v35, s96
                                        ; implicit-def: $vgpr33
; %bb.3540:                             ;   in Loop: Header=BB8_3497 Depth=3
	s_andn2_saveexec_b64 s[92:93], s[92:93]
; %bb.3541:                             ;   in Loop: Header=BB8_3497 Depth=3
	v_or_b32_e32 v35, 0x10000, v33
	v_cmp_eq_u32_sdwa vcc, v33, v2 src0_sel:WORD_0 src1_sel:DWORD
	v_cndmask_b32_e32 v39, v35, v33, vcc
; %bb.3542:                             ;   in Loop: Header=BB8_3497 Depth=3
	s_or_b64 exec, exec, s[92:93]
	v_and_b32_e32 v33, 0xffff0000, v37
	v_lshlrev_b32_e32 v35, 16, v16
	v_add_f32_e32 v33, v35, v33
	v_and_b32_e32 v35, 0x7f800000, v33
	v_cmp_ne_u32_e32 vcc, s87, v35
                                        ; implicit-def: $vgpr37
	s_and_saveexec_b64 s[44:45], vcc
	s_xor_b64 s[92:93], exec, s[44:45]
; %bb.3543:                             ;   in Loop: Header=BB8_3497 Depth=3
	v_bfe_u32 v35, v33, 16, 1
	v_add3_u32 v37, v33, v35, s96
                                        ; implicit-def: $vgpr33
; %bb.3544:                             ;   in Loop: Header=BB8_3497 Depth=3
	s_andn2_saveexec_b64 s[92:93], s[92:93]
; %bb.3545:                             ;   in Loop: Header=BB8_3497 Depth=3
	v_or_b32_e32 v35, 0x10000, v33
	v_cmp_eq_u32_sdwa vcc, v33, v2 src0_sel:WORD_0 src1_sel:DWORD
	v_cndmask_b32_e32 v37, v35, v33, vcc
; %bb.3546:                             ;   in Loop: Header=BB8_3497 Depth=3
	s_or_b64 exec, exec, s[92:93]
	v_and_b32_e32 v31, 0xffff0000, v31
	v_lshlrev_b32_e32 v33, 16, v17
	v_add_f32_e32 v33, v33, v31
	v_and_b32_e32 v31, 0x7f800000, v33
	v_cmp_ne_u32_e32 vcc, s87, v31
                                        ; implicit-def: $vgpr31
	s_and_saveexec_b64 s[44:45], vcc
	s_xor_b64 s[92:93], exec, s[44:45]
; %bb.3547:                             ;   in Loop: Header=BB8_3497 Depth=3
	v_bfe_u32 v31, v33, 16, 1
	v_add3_u32 v31, v33, v31, s96
                                        ; implicit-def: $vgpr33
; %bb.3548:                             ;   in Loop: Header=BB8_3497 Depth=3
	s_andn2_saveexec_b64 s[92:93], s[92:93]
; %bb.3549:                             ;   in Loop: Header=BB8_3497 Depth=3
	v_or_b32_e32 v31, 0x10000, v33
	v_cmp_eq_u32_sdwa vcc, v33, v2 src0_sel:WORD_0 src1_sel:DWORD
	v_cndmask_b32_e32 v31, v31, v33, vcc
; %bb.3550:                             ;   in Loop: Header=BB8_3497 Depth=3
	s_or_b64 exec, exec, s[92:93]
	v_and_b32_e32 v30, 0xffff0000, v30
	v_lshlrev_b32_e32 v33, 16, v18
	v_add_f32_e32 v33, v33, v30
	v_and_b32_e32 v30, 0x7f800000, v33
	v_cmp_ne_u32_e32 vcc, s87, v30
                                        ; implicit-def: $vgpr30
	s_and_saveexec_b64 s[44:45], vcc
	s_xor_b64 s[92:93], exec, s[44:45]
; %bb.3551:                             ;   in Loop: Header=BB8_3497 Depth=3
	v_bfe_u32 v30, v33, 16, 1
	v_add3_u32 v30, v33, v30, s96
                                        ; implicit-def: $vgpr33
; %bb.3552:                             ;   in Loop: Header=BB8_3497 Depth=3
	s_andn2_saveexec_b64 s[92:93], s[92:93]
; %bb.3553:                             ;   in Loop: Header=BB8_3497 Depth=3
	v_or_b32_e32 v30, 0x10000, v33
	v_cmp_eq_u32_sdwa vcc, v33, v2 src0_sel:WORD_0 src1_sel:DWORD
	v_cndmask_b32_e32 v30, v30, v33, vcc
; %bb.3554:                             ;   in Loop: Header=BB8_3497 Depth=3
	s_or_b64 exec, exec, s[92:93]
	v_and_b32_e32 v29, 0xffff0000, v29
	v_lshlrev_b32_e32 v33, 16, v19
	v_add_f32_e32 v33, v33, v29
	v_and_b32_e32 v29, 0x7f800000, v33
	v_cmp_ne_u32_e32 vcc, s87, v29
                                        ; implicit-def: $vgpr29
	s_and_saveexec_b64 s[44:45], vcc
	s_xor_b64 s[92:93], exec, s[44:45]
; %bb.3555:                             ;   in Loop: Header=BB8_3497 Depth=3
	v_bfe_u32 v29, v33, 16, 1
	v_add3_u32 v29, v33, v29, s96
                                        ; implicit-def: $vgpr33
; %bb.3556:                             ;   in Loop: Header=BB8_3497 Depth=3
	s_andn2_saveexec_b64 s[92:93], s[92:93]
; %bb.3557:                             ;   in Loop: Header=BB8_3497 Depth=3
	v_or_b32_e32 v29, 0x10000, v33
	v_cmp_eq_u32_sdwa vcc, v33, v2 src0_sel:WORD_0 src1_sel:DWORD
	v_cndmask_b32_e32 v29, v29, v33, vcc
; %bb.3558:                             ;   in Loop: Header=BB8_3497 Depth=3
	s_or_b64 exec, exec, s[92:93]
	v_and_b32_e32 v27, 0xffff0000, v27
	v_lshlrev_b32_e32 v33, 16, v20
	v_add_f32_e32 v33, v33, v27
	v_and_b32_e32 v27, 0x7f800000, v33
	v_cmp_ne_u32_e32 vcc, s87, v27
                                        ; implicit-def: $vgpr27
	s_and_saveexec_b64 s[44:45], vcc
	s_xor_b64 s[92:93], exec, s[44:45]
; %bb.3559:                             ;   in Loop: Header=BB8_3497 Depth=3
	v_bfe_u32 v27, v33, 16, 1
	v_add3_u32 v27, v33, v27, s96
                                        ; implicit-def: $vgpr33
; %bb.3560:                             ;   in Loop: Header=BB8_3497 Depth=3
	s_andn2_saveexec_b64 s[92:93], s[92:93]
; %bb.3561:                             ;   in Loop: Header=BB8_3497 Depth=3
	v_or_b32_e32 v27, 0x10000, v33
	v_cmp_eq_u32_sdwa vcc, v33, v2 src0_sel:WORD_0 src1_sel:DWORD
	v_cndmask_b32_e32 v27, v27, v33, vcc
; %bb.3562:                             ;   in Loop: Header=BB8_3497 Depth=3
	s_or_b64 exec, exec, s[92:93]
	v_lshrrev_b32_e32 v51, 16, v3
	v_lshrrev_b32_e32 v29, 16, v29
	;; [unrolled: 1-line block ×8, first 2 shown]
	flat_store_short v[0:1], v51 glc slc
	flat_store_short v[0:1], v49 offset:128 glc slc
	flat_store_short v[0:1], v39 offset:256 glc slc
	;; [unrolled: 1-line block ×7, first 2 shown]
	buffer_load_dword v3, off, s[0:3], s33 offset:136 ; 4-byte Folded Reload
	s_waitcnt vmcnt(0)
	v_add_co_u32_e32 v0, vcc, v0, v3
	buffer_load_dword v3, off, s[0:3], s33 offset:140 ; 4-byte Folded Reload
	s_waitcnt vmcnt(0)
	v_addc_co_u32_e32 v1, vcc, v1, v3, vcc
.LBB8_3563:                             ;   in Loop: Header=BB8_3497 Depth=3
	s_or_b64 exec, exec, s[94:95]
	buffer_load_dword v3, off, s[0:3], s33 offset:136 ; 4-byte Folded Reload
	buffer_load_dword v30, off, s[0:3], s33 offset:140 ; 4-byte Folded Reload
	s_waitcnt vmcnt(0)
	v_add_co_u32_e32 v6, vcc, v6, v3
	v_addc_co_u32_e32 v7, vcc, v7, v30, vcc
	v_add_co_u32_e32 v8, vcc, v8, v3
	buffer_load_dword v3, off, s[0:3], s33 offset:128 ; 4-byte Folded Reload
	v_addc_co_u32_e32 v9, vcc, v9, v30, vcc
	s_waitcnt vmcnt(0)
	v_sub_u32_e32 v12, v12, v3
	v_cmp_lt_i32_e64 s[92:93], 0, v12
	s_and_saveexec_b64 s[94:95], s[92:93]
	s_cbranch_execz .LBB8_3565
; %bb.3564:                             ;   in Loop: Header=BB8_3497 Depth=3
	flat_load_ushort v51, v[6:7] glc slc
	flat_load_ushort v49, v[6:7] offset:128 glc slc
	flat_load_ushort v39, v[6:7] offset:256 glc slc
	;; [unrolled: 1-line block ×7, first 2 shown]
	flat_load_ushort v13, v[8:9] glc slc
	flat_load_ushort v14, v[8:9] offset:128 glc slc
	flat_load_ushort v15, v[8:9] offset:256 glc slc
	;; [unrolled: 1-line block ×7, first 2 shown]
	v_add_co_u32_e32 v6, vcc, 0x400, v6
	v_addc_co_u32_e32 v7, vcc, 0, v7, vcc
	v_add_co_u32_e32 v8, vcc, 0x400, v8
	v_addc_co_u32_e32 v9, vcc, 0, v9, vcc
.LBB8_3565:                             ;   in Loop: Header=BB8_3497 Depth=3
	s_or_b64 exec, exec, s[94:95]
	s_trap 2
	ds_read_b32 v3, v0
	s_waitcnt lgkmcnt(0)
	v_lshlrev_b32_e32 v30, 16, v44
                                        ; implicit-def: $vgpr45
	v_lshlrev_b32_e32 v3, 16, v3
	v_mul_f32_e32 v30, v30, v3
	v_and_b32_e32 v31, 0x7f800000, v30
	v_cmp_ne_u32_e32 vcc, s87, v31
	s_and_saveexec_b64 s[44:45], vcc
	s_xor_b64 s[94:95], exec, s[44:45]
; %bb.3566:                             ;   in Loop: Header=BB8_3497 Depth=3
	v_bfe_u32 v31, v30, 16, 1
	v_add3_u32 v45, v30, v31, s96
                                        ; implicit-def: $vgpr30
; %bb.3567:                             ;   in Loop: Header=BB8_3497 Depth=3
	s_andn2_saveexec_b64 s[94:95], s[94:95]
; %bb.3568:                             ;   in Loop: Header=BB8_3497 Depth=3
	v_or_b32_e32 v31, 0x10000, v30
	v_cmp_eq_u32_sdwa vcc, v30, v2 src0_sel:WORD_0 src1_sel:DWORD
	v_cndmask_b32_e32 v45, v31, v30, vcc
; %bb.3569:                             ;   in Loop: Header=BB8_3497 Depth=3
	s_or_b64 exec, exec, s[94:95]
	v_lshlrev_b32_e32 v5, 16, v5
	v_mul_f32_e32 v5, v5, v3
	v_and_b32_e32 v30, 0x7f800000, v5
	v_cmp_ne_u32_e32 vcc, s87, v30
                                        ; implicit-def: $vgpr44
	s_and_saveexec_b64 s[44:45], vcc
	s_xor_b64 s[94:95], exec, s[44:45]
; %bb.3570:                             ;   in Loop: Header=BB8_3497 Depth=3
	v_bfe_u32 v30, v5, 16, 1
	v_add3_u32 v44, v5, v30, s96
                                        ; implicit-def: $vgpr5
; %bb.3571:                             ;   in Loop: Header=BB8_3497 Depth=3
	s_andn2_saveexec_b64 s[94:95], s[94:95]
; %bb.3572:                             ;   in Loop: Header=BB8_3497 Depth=3
	v_or_b32_e32 v30, 0x10000, v5
	v_cmp_eq_u32_sdwa vcc, v5, v2 src0_sel:WORD_0 src1_sel:DWORD
	v_cndmask_b32_e32 v44, v30, v5, vcc
; %bb.3573:                             ;   in Loop: Header=BB8_3497 Depth=3
	s_or_b64 exec, exec, s[94:95]
	v_lshlrev_b32_e32 v5, 16, v43
	v_mul_f32_e32 v5, v5, v3
	v_and_b32_e32 v30, 0x7f800000, v5
	v_cmp_ne_u32_e32 vcc, s87, v30
                                        ; implicit-def: $vgpr42
	s_and_saveexec_b64 s[44:45], vcc
	s_xor_b64 s[94:95], exec, s[44:45]
; %bb.3574:                             ;   in Loop: Header=BB8_3497 Depth=3
	v_bfe_u32 v30, v5, 16, 1
	v_add3_u32 v42, v5, v30, s96
                                        ; implicit-def: $vgpr5
; %bb.3575:                             ;   in Loop: Header=BB8_3497 Depth=3
	s_andn2_saveexec_b64 s[94:95], s[94:95]
; %bb.3576:                             ;   in Loop: Header=BB8_3497 Depth=3
	v_or_b32_e32 v30, 0x10000, v5
	v_cmp_eq_u32_sdwa vcc, v5, v2 src0_sel:WORD_0 src1_sel:DWORD
	v_cndmask_b32_e32 v42, v30, v5, vcc
; %bb.3577:                             ;   in Loop: Header=BB8_3497 Depth=3
	s_or_b64 exec, exec, s[94:95]
	v_lshlrev_b32_e32 v5, 16, v50
	v_mul_f32_e32 v5, v5, v3
	v_and_b32_e32 v30, 0x7f800000, v5
	v_cmp_ne_u32_e32 vcc, s87, v30
                                        ; implicit-def: $vgpr50
	s_and_saveexec_b64 s[44:45], vcc
	s_xor_b64 s[94:95], exec, s[44:45]
; %bb.3578:                             ;   in Loop: Header=BB8_3497 Depth=3
	v_bfe_u32 v30, v5, 16, 1
	v_add3_u32 v50, v5, v30, s96
                                        ; implicit-def: $vgpr5
; %bb.3579:                             ;   in Loop: Header=BB8_3497 Depth=3
	s_andn2_saveexec_b64 s[94:95], s[94:95]
; %bb.3580:                             ;   in Loop: Header=BB8_3497 Depth=3
	v_or_b32_e32 v30, 0x10000, v5
	v_cmp_eq_u32_sdwa vcc, v5, v2 src0_sel:WORD_0 src1_sel:DWORD
	v_cndmask_b32_e32 v50, v30, v5, vcc
; %bb.3581:                             ;   in Loop: Header=BB8_3497 Depth=3
	s_or_b64 exec, exec, s[94:95]
	v_lshlrev_b32_e32 v5, 16, v48
	v_mul_f32_e32 v5, v5, v3
	v_and_b32_e32 v30, 0x7f800000, v5
	v_cmp_ne_u32_e32 vcc, s87, v30
                                        ; implicit-def: $vgpr48
	s_and_saveexec_b64 s[44:45], vcc
	s_xor_b64 s[94:95], exec, s[44:45]
; %bb.3582:                             ;   in Loop: Header=BB8_3497 Depth=3
	v_bfe_u32 v30, v5, 16, 1
	v_add3_u32 v48, v5, v30, s96
                                        ; implicit-def: $vgpr5
; %bb.3583:                             ;   in Loop: Header=BB8_3497 Depth=3
	s_andn2_saveexec_b64 s[94:95], s[94:95]
; %bb.3584:                             ;   in Loop: Header=BB8_3497 Depth=3
	v_or_b32_e32 v30, 0x10000, v5
	v_cmp_eq_u32_sdwa vcc, v5, v2 src0_sel:WORD_0 src1_sel:DWORD
	v_cndmask_b32_e32 v48, v30, v5, vcc
; %bb.3585:                             ;   in Loop: Header=BB8_3497 Depth=3
	s_or_b64 exec, exec, s[94:95]
	v_lshlrev_b32_e32 v5, 16, v38
	v_mul_f32_e32 v5, v5, v3
	v_and_b32_e32 v30, 0x7f800000, v5
	v_cmp_ne_u32_e32 vcc, s87, v30
                                        ; implicit-def: $vgpr31
	s_and_saveexec_b64 s[44:45], vcc
	s_xor_b64 s[94:95], exec, s[44:45]
; %bb.3586:                             ;   in Loop: Header=BB8_3497 Depth=3
	v_bfe_u32 v30, v5, 16, 1
	v_add3_u32 v31, v5, v30, s96
                                        ; implicit-def: $vgpr5
; %bb.3587:                             ;   in Loop: Header=BB8_3497 Depth=3
	s_andn2_saveexec_b64 s[94:95], s[94:95]
; %bb.3588:                             ;   in Loop: Header=BB8_3497 Depth=3
	v_or_b32_e32 v30, 0x10000, v5
	v_cmp_eq_u32_sdwa vcc, v5, v2 src0_sel:WORD_0 src1_sel:DWORD
	v_cndmask_b32_e32 v31, v30, v5, vcc
; %bb.3589:                             ;   in Loop: Header=BB8_3497 Depth=3
	s_or_b64 exec, exec, s[94:95]
	v_lshlrev_b32_e32 v5, 16, v36
	v_mul_f32_e32 v5, v5, v3
	v_and_b32_e32 v30, 0x7f800000, v5
	v_cmp_ne_u32_e32 vcc, s87, v30
                                        ; implicit-def: $vgpr30
	s_and_saveexec_b64 s[44:45], vcc
	s_xor_b64 s[94:95], exec, s[44:45]
; %bb.3590:                             ;   in Loop: Header=BB8_3497 Depth=3
	v_bfe_u32 v30, v5, 16, 1
	v_add3_u32 v30, v5, v30, s96
                                        ; implicit-def: $vgpr5
; %bb.3591:                             ;   in Loop: Header=BB8_3497 Depth=3
	s_andn2_saveexec_b64 s[94:95], s[94:95]
; %bb.3592:                             ;   in Loop: Header=BB8_3497 Depth=3
	v_or_b32_e32 v30, 0x10000, v5
	v_cmp_eq_u32_sdwa vcc, v5, v2 src0_sel:WORD_0 src1_sel:DWORD
	v_cndmask_b32_e32 v30, v30, v5, vcc
; %bb.3593:                             ;   in Loop: Header=BB8_3497 Depth=3
	s_or_b64 exec, exec, s[94:95]
	v_lshlrev_b32_e32 v5, 16, v34
	v_mul_f32_e32 v5, v5, v3
	v_and_b32_e32 v3, 0x7f800000, v5
	v_cmp_ne_u32_e32 vcc, s87, v3
                                        ; implicit-def: $vgpr3
	s_and_saveexec_b64 s[44:45], vcc
	s_xor_b64 s[94:95], exec, s[44:45]
; %bb.3594:                             ;   in Loop: Header=BB8_3497 Depth=3
	v_bfe_u32 v3, v5, 16, 1
	v_add3_u32 v3, v5, v3, s96
                                        ; implicit-def: $vgpr5
; %bb.3595:                             ;   in Loop: Header=BB8_3497 Depth=3
	s_andn2_saveexec_b64 s[94:95], s[94:95]
; %bb.3596:                             ;   in Loop: Header=BB8_3497 Depth=3
	v_or_b32_e32 v3, 0x10000, v5
	v_cmp_eq_u32_sdwa vcc, v5, v2 src0_sel:WORD_0 src1_sel:DWORD
	v_cndmask_b32_e32 v3, v3, v5, vcc
; %bb.3597:                             ;   in Loop: Header=BB8_3497 Depth=3
	s_or_b64 exec, exec, s[94:95]
	v_and_b32_e32 v5, 0xffff0000, v45
	v_lshlrev_b32_e32 v32, 16, v32
	v_add_f32_e32 v32, v32, v5
	v_and_b32_e32 v5, 0x7f800000, v32
	v_cmp_ne_u32_e32 vcc, s87, v5
                                        ; implicit-def: $vgpr5
	s_and_saveexec_b64 s[44:45], vcc
	s_xor_b64 s[94:95], exec, s[44:45]
; %bb.3598:                             ;   in Loop: Header=BB8_3497 Depth=3
	v_bfe_u32 v5, v32, 16, 1
	v_add3_u32 v5, v32, v5, s96
                                        ; implicit-def: $vgpr32
; %bb.3599:                             ;   in Loop: Header=BB8_3497 Depth=3
	s_andn2_saveexec_b64 s[94:95], s[94:95]
; %bb.3600:                             ;   in Loop: Header=BB8_3497 Depth=3
	v_or_b32_e32 v5, 0x10000, v32
	v_cmp_eq_u32_sdwa vcc, v32, v2 src0_sel:WORD_0 src1_sel:DWORD
	v_cndmask_b32_e32 v5, v5, v32, vcc
; %bb.3601:                             ;   in Loop: Header=BB8_3497 Depth=3
	s_or_b64 exec, exec, s[94:95]
	v_and_b32_e32 v32, 0xffff0000, v44
	v_lshlrev_b32_e32 v28, 16, v28
	v_add_f32_e32 v32, v28, v32
	v_and_b32_e32 v28, 0x7f800000, v32
	v_cmp_ne_u32_e32 vcc, s87, v28
                                        ; implicit-def: $vgpr28
	s_and_saveexec_b64 s[44:45], vcc
	s_xor_b64 s[94:95], exec, s[44:45]
; %bb.3602:                             ;   in Loop: Header=BB8_3497 Depth=3
	v_bfe_u32 v28, v32, 16, 1
	v_add3_u32 v28, v32, v28, s96
                                        ; implicit-def: $vgpr32
; %bb.3603:                             ;   in Loop: Header=BB8_3497 Depth=3
	s_andn2_saveexec_b64 s[94:95], s[94:95]
; %bb.3604:                             ;   in Loop: Header=BB8_3497 Depth=3
	v_or_b32_e32 v28, 0x10000, v32
	v_cmp_eq_u32_sdwa vcc, v32, v2 src0_sel:WORD_0 src1_sel:DWORD
	v_cndmask_b32_e32 v28, v28, v32, vcc
; %bb.3605:                             ;   in Loop: Header=BB8_3497 Depth=3
	s_or_b64 exec, exec, s[94:95]
	v_and_b32_e32 v32, 0xffff0000, v42
	v_lshlrev_b32_e32 v26, 16, v26
	v_add_f32_e32 v32, v26, v32
	v_and_b32_e32 v26, 0x7f800000, v32
	v_cmp_ne_u32_e32 vcc, s87, v26
                                        ; implicit-def: $vgpr26
	s_and_saveexec_b64 s[44:45], vcc
	s_xor_b64 s[94:95], exec, s[44:45]
; %bb.3606:                             ;   in Loop: Header=BB8_3497 Depth=3
	v_bfe_u32 v26, v32, 16, 1
	v_add3_u32 v26, v32, v26, s96
                                        ; implicit-def: $vgpr32
; %bb.3607:                             ;   in Loop: Header=BB8_3497 Depth=3
	s_andn2_saveexec_b64 s[94:95], s[94:95]
; %bb.3608:                             ;   in Loop: Header=BB8_3497 Depth=3
	v_or_b32_e32 v26, 0x10000, v32
	v_cmp_eq_u32_sdwa vcc, v32, v2 src0_sel:WORD_0 src1_sel:DWORD
	v_cndmask_b32_e32 v26, v26, v32, vcc
; %bb.3609:                             ;   in Loop: Header=BB8_3497 Depth=3
	s_or_b64 exec, exec, s[94:95]
	v_and_b32_e32 v32, 0xffff0000, v50
	v_lshlrev_b32_e32 v25, 16, v25
	v_add_f32_e32 v32, v25, v32
	v_and_b32_e32 v25, 0x7f800000, v32
	v_cmp_ne_u32_e32 vcc, s87, v25
                                        ; implicit-def: $vgpr25
	s_and_saveexec_b64 s[44:45], vcc
	s_xor_b64 s[94:95], exec, s[44:45]
; %bb.3610:                             ;   in Loop: Header=BB8_3497 Depth=3
	v_bfe_u32 v25, v32, 16, 1
	v_add3_u32 v25, v32, v25, s96
                                        ; implicit-def: $vgpr32
; %bb.3611:                             ;   in Loop: Header=BB8_3497 Depth=3
	s_andn2_saveexec_b64 s[94:95], s[94:95]
; %bb.3612:                             ;   in Loop: Header=BB8_3497 Depth=3
	v_or_b32_e32 v25, 0x10000, v32
	v_cmp_eq_u32_sdwa vcc, v32, v2 src0_sel:WORD_0 src1_sel:DWORD
	v_cndmask_b32_e32 v25, v25, v32, vcc
; %bb.3613:                             ;   in Loop: Header=BB8_3497 Depth=3
	s_or_b64 exec, exec, s[94:95]
	v_and_b32_e32 v32, 0xffff0000, v48
	v_lshlrev_b32_e32 v24, 16, v24
	v_add_f32_e32 v32, v24, v32
	v_and_b32_e32 v24, 0x7f800000, v32
	v_cmp_ne_u32_e32 vcc, s87, v24
                                        ; implicit-def: $vgpr24
	s_and_saveexec_b64 s[44:45], vcc
	s_xor_b64 s[94:95], exec, s[44:45]
; %bb.3614:                             ;   in Loop: Header=BB8_3497 Depth=3
	v_bfe_u32 v24, v32, 16, 1
	v_add3_u32 v24, v32, v24, s96
                                        ; implicit-def: $vgpr32
; %bb.3615:                             ;   in Loop: Header=BB8_3497 Depth=3
	s_andn2_saveexec_b64 s[94:95], s[94:95]
; %bb.3616:                             ;   in Loop: Header=BB8_3497 Depth=3
	v_or_b32_e32 v24, 0x10000, v32
	v_cmp_eq_u32_sdwa vcc, v32, v2 src0_sel:WORD_0 src1_sel:DWORD
	v_cndmask_b32_e32 v24, v24, v32, vcc
; %bb.3617:                             ;   in Loop: Header=BB8_3497 Depth=3
	s_or_b64 exec, exec, s[94:95]
	v_and_b32_e32 v31, 0xffff0000, v31
	v_lshlrev_b32_e32 v23, 16, v23
	v_add_f32_e32 v31, v23, v31
	v_and_b32_e32 v23, 0x7f800000, v31
	v_cmp_ne_u32_e32 vcc, s87, v23
                                        ; implicit-def: $vgpr23
	s_and_saveexec_b64 s[44:45], vcc
	s_xor_b64 s[94:95], exec, s[44:45]
; %bb.3618:                             ;   in Loop: Header=BB8_3497 Depth=3
	v_bfe_u32 v23, v31, 16, 1
	v_add3_u32 v23, v31, v23, s96
                                        ; implicit-def: $vgpr31
; %bb.3619:                             ;   in Loop: Header=BB8_3497 Depth=3
	s_andn2_saveexec_b64 s[94:95], s[94:95]
; %bb.3620:                             ;   in Loop: Header=BB8_3497 Depth=3
	v_or_b32_e32 v23, 0x10000, v31
	v_cmp_eq_u32_sdwa vcc, v31, v2 src0_sel:WORD_0 src1_sel:DWORD
	v_cndmask_b32_e32 v23, v23, v31, vcc
; %bb.3621:                             ;   in Loop: Header=BB8_3497 Depth=3
	s_or_b64 exec, exec, s[94:95]
	v_and_b32_e32 v30, 0xffff0000, v30
	v_lshlrev_b32_e32 v22, 16, v22
	v_add_f32_e32 v30, v22, v30
	v_and_b32_e32 v22, 0x7f800000, v30
	v_cmp_ne_u32_e32 vcc, s87, v22
                                        ; implicit-def: $vgpr22
	s_and_saveexec_b64 s[44:45], vcc
	s_xor_b64 s[94:95], exec, s[44:45]
; %bb.3622:                             ;   in Loop: Header=BB8_3497 Depth=3
	v_bfe_u32 v22, v30, 16, 1
	v_add3_u32 v22, v30, v22, s96
                                        ; implicit-def: $vgpr30
; %bb.3623:                             ;   in Loop: Header=BB8_3497 Depth=3
	s_andn2_saveexec_b64 s[94:95], s[94:95]
; %bb.3624:                             ;   in Loop: Header=BB8_3497 Depth=3
	v_or_b32_e32 v22, 0x10000, v30
	v_cmp_eq_u32_sdwa vcc, v30, v2 src0_sel:WORD_0 src1_sel:DWORD
	v_cndmask_b32_e32 v22, v22, v30, vcc
; %bb.3625:                             ;   in Loop: Header=BB8_3497 Depth=3
	s_or_b64 exec, exec, s[94:95]
	v_and_b32_e32 v3, 0xffff0000, v3
	v_lshlrev_b32_e32 v21, 16, v21
	v_add_f32_e32 v21, v21, v3
	v_and_b32_e32 v3, 0x7f800000, v21
	v_cmp_ne_u32_e32 vcc, s87, v3
                                        ; implicit-def: $vgpr3
	s_and_saveexec_b64 s[44:45], vcc
	s_xor_b64 s[94:95], exec, s[44:45]
; %bb.3626:                             ;   in Loop: Header=BB8_3497 Depth=3
	v_bfe_u32 v3, v21, 16, 1
	v_add3_u32 v3, v21, v3, s96
                                        ; implicit-def: $vgpr21
; %bb.3627:                             ;   in Loop: Header=BB8_3497 Depth=3
	s_andn2_saveexec_b64 s[94:95], s[94:95]
	s_cbranch_execz .LBB8_3496
; %bb.3628:                             ;   in Loop: Header=BB8_3497 Depth=3
	v_or_b32_e32 v3, 0x10000, v21
	v_cmp_eq_u32_sdwa vcc, v21, v2 src0_sel:WORD_0 src1_sel:DWORD
	v_cndmask_b32_e32 v3, v3, v21, vcc
	s_branch .LBB8_3496
.LBB8_3629:                             ;   in Loop: Header=BB8_1939 Depth=2
	s_or_b64 exec, exec, s[90:91]
	v_lshlrev_b32_e32 v31, 16, v51
	v_lshlrev_b32_e32 v24, 16, v49
	;; [unrolled: 1-line block ×16, first 2 shown]
	s_and_b64 s[42:43], s[42:43], exec
.LBB8_3630:                             ;   in Loop: Header=BB8_1939 Depth=2
	s_or_b64 exec, exec, s[28:29]
	s_and_saveexec_b64 s[28:29], s[42:43]
	s_cbranch_execz .LBB8_3696
; %bb.3631:                             ;   in Loop: Header=BB8_1939 Depth=2
	s_trap 2
	ds_read_b32 v14, v0
	s_waitcnt lgkmcnt(0)
	v_lshlrev_b32_e32 v14, 16, v14
	v_mul_f32_e32 v16, v31, v14
	v_and_b32_e32 v15, 0x7f800000, v16
	v_cmp_ne_u32_e32 vcc, s87, v15
                                        ; implicit-def: $vgpr15
	s_and_saveexec_b64 s[42:43], vcc
	s_xor_b64 s[42:43], exec, s[42:43]
; %bb.3632:                             ;   in Loop: Header=BB8_1939 Depth=2
	v_bfe_u32 v15, v16, 16, 1
	v_add3_u32 v15, v16, v15, s96
                                        ; implicit-def: $vgpr16
; %bb.3633:                             ;   in Loop: Header=BB8_1939 Depth=2
	s_andn2_saveexec_b64 s[42:43], s[42:43]
; %bb.3634:                             ;   in Loop: Header=BB8_1939 Depth=2
	v_or_b32_e32 v15, 0x10000, v16
	v_cmp_eq_u32_sdwa vcc, v16, v2 src0_sel:WORD_0 src1_sel:DWORD
	v_cndmask_b32_e32 v15, v15, v16, vcc
; %bb.3635:                             ;   in Loop: Header=BB8_1939 Depth=2
	s_or_b64 exec, exec, s[42:43]
	v_mul_f32_e32 v16, v24, v14
	v_and_b32_e32 v17, 0x7f800000, v16
	v_cmp_ne_u32_e32 vcc, s87, v17
                                        ; implicit-def: $vgpr24
	s_and_saveexec_b64 s[42:43], vcc
	s_xor_b64 s[42:43], exec, s[42:43]
; %bb.3636:                             ;   in Loop: Header=BB8_1939 Depth=2
	v_bfe_u32 v17, v16, 16, 1
	v_add3_u32 v24, v16, v17, s96
                                        ; implicit-def: $vgpr16
; %bb.3637:                             ;   in Loop: Header=BB8_1939 Depth=2
	s_andn2_saveexec_b64 s[42:43], s[42:43]
; %bb.3638:                             ;   in Loop: Header=BB8_1939 Depth=2
	v_or_b32_e32 v17, 0x10000, v16
	v_cmp_eq_u32_sdwa vcc, v16, v2 src0_sel:WORD_0 src1_sel:DWORD
	v_cndmask_b32_e32 v24, v17, v16, vcc
; %bb.3639:                             ;   in Loop: Header=BB8_1939 Depth=2
	s_or_b64 exec, exec, s[42:43]
	v_mul_f32_e32 v16, v30, v14
	v_and_b32_e32 v17, 0x7f800000, v16
	v_cmp_ne_u32_e32 vcc, s87, v17
                                        ; implicit-def: $vgpr20
	s_and_saveexec_b64 s[42:43], vcc
	s_xor_b64 s[42:43], exec, s[42:43]
; %bb.3640:                             ;   in Loop: Header=BB8_1939 Depth=2
	v_bfe_u32 v17, v16, 16, 1
	v_add3_u32 v20, v16, v17, s96
                                        ; implicit-def: $vgpr16
; %bb.3641:                             ;   in Loop: Header=BB8_1939 Depth=2
	s_andn2_saveexec_b64 s[42:43], s[42:43]
; %bb.3642:                             ;   in Loop: Header=BB8_1939 Depth=2
	v_or_b32_e32 v17, 0x10000, v16
	v_cmp_eq_u32_sdwa vcc, v16, v2 src0_sel:WORD_0 src1_sel:DWORD
	v_cndmask_b32_e32 v20, v17, v16, vcc
; %bb.3643:                             ;   in Loop: Header=BB8_1939 Depth=2
	s_or_b64 exec, exec, s[42:43]
	v_mul_f32_e32 v16, v28, v14
	v_and_b32_e32 v17, 0x7f800000, v16
	v_cmp_ne_u32_e32 vcc, s87, v17
                                        ; implicit-def: $vgpr19
	s_and_saveexec_b64 s[42:43], vcc
	s_xor_b64 s[42:43], exec, s[42:43]
; %bb.3644:                             ;   in Loop: Header=BB8_1939 Depth=2
	v_bfe_u32 v17, v16, 16, 1
	v_add3_u32 v19, v16, v17, s96
                                        ; implicit-def: $vgpr16
; %bb.3645:                             ;   in Loop: Header=BB8_1939 Depth=2
	s_andn2_saveexec_b64 s[42:43], s[42:43]
; %bb.3646:                             ;   in Loop: Header=BB8_1939 Depth=2
	v_or_b32_e32 v17, 0x10000, v16
	v_cmp_eq_u32_sdwa vcc, v16, v2 src0_sel:WORD_0 src1_sel:DWORD
	v_cndmask_b32_e32 v19, v17, v16, vcc
; %bb.3647:                             ;   in Loop: Header=BB8_1939 Depth=2
	s_or_b64 exec, exec, s[42:43]
	v_mul_f32_e32 v16, v26, v14
	v_and_b32_e32 v17, 0x7f800000, v16
	v_cmp_ne_u32_e32 vcc, s87, v17
                                        ; implicit-def: $vgpr18
	s_and_saveexec_b64 s[42:43], vcc
	s_xor_b64 s[42:43], exec, s[42:43]
; %bb.3648:                             ;   in Loop: Header=BB8_1939 Depth=2
	v_bfe_u32 v17, v16, 16, 1
	v_add3_u32 v18, v16, v17, s96
                                        ; implicit-def: $vgpr16
; %bb.3649:                             ;   in Loop: Header=BB8_1939 Depth=2
	s_andn2_saveexec_b64 s[42:43], s[42:43]
; %bb.3650:                             ;   in Loop: Header=BB8_1939 Depth=2
	v_or_b32_e32 v17, 0x10000, v16
	v_cmp_eq_u32_sdwa vcc, v16, v2 src0_sel:WORD_0 src1_sel:DWORD
	v_cndmask_b32_e32 v18, v17, v16, vcc
; %bb.3651:                             ;   in Loop: Header=BB8_1939 Depth=2
	s_or_b64 exec, exec, s[42:43]
	v_mul_f32_e32 v16, v25, v14
	v_and_b32_e32 v17, 0x7f800000, v16
	v_cmp_ne_u32_e32 vcc, s87, v17
                                        ; implicit-def: $vgpr17
	s_and_saveexec_b64 s[42:43], vcc
	s_xor_b64 s[42:43], exec, s[42:43]
; %bb.3652:                             ;   in Loop: Header=BB8_1939 Depth=2
	v_bfe_u32 v17, v16, 16, 1
	v_add3_u32 v17, v16, v17, s96
                                        ; implicit-def: $vgpr16
; %bb.3653:                             ;   in Loop: Header=BB8_1939 Depth=2
	s_andn2_saveexec_b64 s[42:43], s[42:43]
; %bb.3654:                             ;   in Loop: Header=BB8_1939 Depth=2
	v_or_b32_e32 v17, 0x10000, v16
	v_cmp_eq_u32_sdwa vcc, v16, v2 src0_sel:WORD_0 src1_sel:DWORD
	v_cndmask_b32_e32 v17, v17, v16, vcc
; %bb.3655:                             ;   in Loop: Header=BB8_1939 Depth=2
	s_or_b64 exec, exec, s[42:43]
	v_mul_f32_e32 v23, v23, v14
	v_and_b32_e32 v16, 0x7f800000, v23
	v_cmp_ne_u32_e32 vcc, s87, v16
                                        ; implicit-def: $vgpr16
	s_and_saveexec_b64 s[42:43], vcc
	s_xor_b64 s[42:43], exec, s[42:43]
; %bb.3656:                             ;   in Loop: Header=BB8_1939 Depth=2
	v_bfe_u32 v16, v23, 16, 1
	v_add3_u32 v16, v23, v16, s96
                                        ; implicit-def: $vgpr23
; %bb.3657:                             ;   in Loop: Header=BB8_1939 Depth=2
	s_andn2_saveexec_b64 s[42:43], s[42:43]
; %bb.3658:                             ;   in Loop: Header=BB8_1939 Depth=2
	v_or_b32_e32 v16, 0x10000, v23
	v_cmp_eq_u32_sdwa vcc, v23, v2 src0_sel:WORD_0 src1_sel:DWORD
	v_cndmask_b32_e32 v16, v16, v23, vcc
; %bb.3659:                             ;   in Loop: Header=BB8_1939 Depth=2
	s_or_b64 exec, exec, s[42:43]
	v_mul_f32_e32 v22, v22, v14
	v_and_b32_e32 v14, 0x7f800000, v22
	v_cmp_ne_u32_e32 vcc, s87, v14
                                        ; implicit-def: $vgpr14
	s_and_saveexec_b64 s[42:43], vcc
	s_xor_b64 s[42:43], exec, s[42:43]
; %bb.3660:                             ;   in Loop: Header=BB8_1939 Depth=2
	v_bfe_u32 v14, v22, 16, 1
	v_add3_u32 v14, v22, v14, s96
                                        ; implicit-def: $vgpr22
; %bb.3661:                             ;   in Loop: Header=BB8_1939 Depth=2
	s_andn2_saveexec_b64 s[42:43], s[42:43]
; %bb.3662:                             ;   in Loop: Header=BB8_1939 Depth=2
	v_or_b32_e32 v14, 0x10000, v22
	v_cmp_eq_u32_sdwa vcc, v22, v2 src0_sel:WORD_0 src1_sel:DWORD
	v_cndmask_b32_e32 v14, v14, v22, vcc
; %bb.3663:                             ;   in Loop: Header=BB8_1939 Depth=2
	s_or_b64 exec, exec, s[42:43]
	v_and_b32_e32 v15, 0xffff0000, v15
	v_add_f32_e32 v21, v21, v15
	v_and_b32_e32 v15, 0x7f800000, v21
	v_cmp_ne_u32_e32 vcc, s87, v15
                                        ; implicit-def: $vgpr15
	s_and_saveexec_b64 s[42:43], vcc
	s_xor_b64 s[42:43], exec, s[42:43]
; %bb.3664:                             ;   in Loop: Header=BB8_1939 Depth=2
	v_bfe_u32 v15, v21, 16, 1
	v_add3_u32 v15, v21, v15, s96
                                        ; implicit-def: $vgpr21
; %bb.3665:                             ;   in Loop: Header=BB8_1939 Depth=2
	s_andn2_saveexec_b64 s[42:43], s[42:43]
; %bb.3666:                             ;   in Loop: Header=BB8_1939 Depth=2
	v_or_b32_e32 v15, 0x10000, v21
	v_cmp_eq_u32_sdwa vcc, v21, v2 src0_sel:WORD_0 src1_sel:DWORD
	v_cndmask_b32_e32 v15, v15, v21, vcc
; %bb.3667:                             ;   in Loop: Header=BB8_1939 Depth=2
	s_or_b64 exec, exec, s[42:43]
	v_and_b32_e32 v21, 0xffff0000, v24
	v_add_f32_e32 v21, v13, v21
	v_and_b32_e32 v13, 0x7f800000, v21
	v_cmp_ne_u32_e32 vcc, s87, v13
                                        ; implicit-def: $vgpr13
	s_and_saveexec_b64 s[42:43], vcc
	s_xor_b64 s[42:43], exec, s[42:43]
; %bb.3668:                             ;   in Loop: Header=BB8_1939 Depth=2
	v_bfe_u32 v13, v21, 16, 1
	v_add3_u32 v13, v21, v13, s96
                                        ; implicit-def: $vgpr21
; %bb.3669:                             ;   in Loop: Header=BB8_1939 Depth=2
	s_andn2_saveexec_b64 s[42:43], s[42:43]
; %bb.3670:                             ;   in Loop: Header=BB8_1939 Depth=2
	v_or_b32_e32 v13, 0x10000, v21
	v_cmp_eq_u32_sdwa vcc, v21, v2 src0_sel:WORD_0 src1_sel:DWORD
	v_cndmask_b32_e32 v13, v13, v21, vcc
; %bb.3671:                             ;   in Loop: Header=BB8_1939 Depth=2
	s_or_b64 exec, exec, s[42:43]
	v_and_b32_e32 v20, 0xffff0000, v20
	v_add_f32_e32 v20, v9, v20
	v_and_b32_e32 v9, 0x7f800000, v20
	v_cmp_ne_u32_e32 vcc, s87, v9
                                        ; implicit-def: $vgpr9
	s_and_saveexec_b64 s[42:43], vcc
	s_xor_b64 s[42:43], exec, s[42:43]
; %bb.3672:                             ;   in Loop: Header=BB8_1939 Depth=2
	v_bfe_u32 v9, v20, 16, 1
	v_add3_u32 v9, v20, v9, s96
                                        ; implicit-def: $vgpr20
; %bb.3673:                             ;   in Loop: Header=BB8_1939 Depth=2
	s_andn2_saveexec_b64 s[42:43], s[42:43]
; %bb.3674:                             ;   in Loop: Header=BB8_1939 Depth=2
	v_or_b32_e32 v9, 0x10000, v20
	v_cmp_eq_u32_sdwa vcc, v20, v2 src0_sel:WORD_0 src1_sel:DWORD
	v_cndmask_b32_e32 v9, v9, v20, vcc
; %bb.3675:                             ;   in Loop: Header=BB8_1939 Depth=2
	s_or_b64 exec, exec, s[42:43]
	v_and_b32_e32 v19, 0xffff0000, v19
	v_add_f32_e32 v19, v8, v19
	v_and_b32_e32 v8, 0x7f800000, v19
	v_cmp_ne_u32_e32 vcc, s87, v8
                                        ; implicit-def: $vgpr8
	s_and_saveexec_b64 s[42:43], vcc
	s_xor_b64 s[42:43], exec, s[42:43]
; %bb.3676:                             ;   in Loop: Header=BB8_1939 Depth=2
	v_bfe_u32 v8, v19, 16, 1
	v_add3_u32 v8, v19, v8, s96
                                        ; implicit-def: $vgpr19
; %bb.3677:                             ;   in Loop: Header=BB8_1939 Depth=2
	s_andn2_saveexec_b64 s[42:43], s[42:43]
; %bb.3678:                             ;   in Loop: Header=BB8_1939 Depth=2
	v_or_b32_e32 v8, 0x10000, v19
	v_cmp_eq_u32_sdwa vcc, v19, v2 src0_sel:WORD_0 src1_sel:DWORD
	v_cndmask_b32_e32 v8, v8, v19, vcc
; %bb.3679:                             ;   in Loop: Header=BB8_1939 Depth=2
	s_or_b64 exec, exec, s[42:43]
	v_and_b32_e32 v18, 0xffff0000, v18
	v_add_f32_e32 v18, v7, v18
	v_and_b32_e32 v7, 0x7f800000, v18
	v_cmp_ne_u32_e32 vcc, s87, v7
                                        ; implicit-def: $vgpr7
	s_and_saveexec_b64 s[42:43], vcc
	s_xor_b64 s[42:43], exec, s[42:43]
; %bb.3680:                             ;   in Loop: Header=BB8_1939 Depth=2
	v_bfe_u32 v7, v18, 16, 1
	v_add3_u32 v7, v18, v7, s96
                                        ; implicit-def: $vgpr18
; %bb.3681:                             ;   in Loop: Header=BB8_1939 Depth=2
	s_andn2_saveexec_b64 s[42:43], s[42:43]
; %bb.3682:                             ;   in Loop: Header=BB8_1939 Depth=2
	v_or_b32_e32 v7, 0x10000, v18
	v_cmp_eq_u32_sdwa vcc, v18, v2 src0_sel:WORD_0 src1_sel:DWORD
	v_cndmask_b32_e32 v7, v7, v18, vcc
; %bb.3683:                             ;   in Loop: Header=BB8_1939 Depth=2
	s_or_b64 exec, exec, s[42:43]
	v_and_b32_e32 v17, 0xffff0000, v17
	v_add_f32_e32 v17, v6, v17
	v_and_b32_e32 v6, 0x7f800000, v17
	v_cmp_ne_u32_e32 vcc, s87, v6
                                        ; implicit-def: $vgpr6
	s_and_saveexec_b64 s[42:43], vcc
	s_xor_b64 s[42:43], exec, s[42:43]
; %bb.3684:                             ;   in Loop: Header=BB8_1939 Depth=2
	v_bfe_u32 v6, v17, 16, 1
	v_add3_u32 v6, v17, v6, s96
                                        ; implicit-def: $vgpr17
; %bb.3685:                             ;   in Loop: Header=BB8_1939 Depth=2
	s_andn2_saveexec_b64 s[42:43], s[42:43]
; %bb.3686:                             ;   in Loop: Header=BB8_1939 Depth=2
	v_or_b32_e32 v6, 0x10000, v17
	v_cmp_eq_u32_sdwa vcc, v17, v2 src0_sel:WORD_0 src1_sel:DWORD
	v_cndmask_b32_e32 v6, v6, v17, vcc
; %bb.3687:                             ;   in Loop: Header=BB8_1939 Depth=2
	s_or_b64 exec, exec, s[42:43]
	v_and_b32_e32 v16, 0xffff0000, v16
	v_add_f32_e32 v16, v3, v16
	v_and_b32_e32 v3, 0x7f800000, v16
	v_cmp_ne_u32_e32 vcc, s87, v3
                                        ; implicit-def: $vgpr3
	s_and_saveexec_b64 s[42:43], vcc
	s_xor_b64 s[42:43], exec, s[42:43]
; %bb.3688:                             ;   in Loop: Header=BB8_1939 Depth=2
	v_bfe_u32 v3, v16, 16, 1
	v_add3_u32 v3, v16, v3, s96
                                        ; implicit-def: $vgpr16
; %bb.3689:                             ;   in Loop: Header=BB8_1939 Depth=2
	s_andn2_saveexec_b64 s[42:43], s[42:43]
; %bb.3690:                             ;   in Loop: Header=BB8_1939 Depth=2
	v_or_b32_e32 v3, 0x10000, v16
	v_cmp_eq_u32_sdwa vcc, v16, v2 src0_sel:WORD_0 src1_sel:DWORD
	v_cndmask_b32_e32 v3, v3, v16, vcc
; %bb.3691:                             ;   in Loop: Header=BB8_1939 Depth=2
	s_or_b64 exec, exec, s[42:43]
	v_and_b32_e32 v14, 0xffff0000, v14
	v_add_f32_e32 v14, v5, v14
	v_and_b32_e32 v5, 0x7f800000, v14
	v_cmp_ne_u32_e32 vcc, s87, v5
                                        ; implicit-def: $vgpr5
	s_and_saveexec_b64 s[42:43], vcc
	s_xor_b64 s[42:43], exec, s[42:43]
; %bb.3692:                             ;   in Loop: Header=BB8_1939 Depth=2
	v_bfe_u32 v5, v14, 16, 1
	v_add3_u32 v5, v14, v5, s96
                                        ; implicit-def: $vgpr14
; %bb.3693:                             ;   in Loop: Header=BB8_1939 Depth=2
	s_andn2_saveexec_b64 s[42:43], s[42:43]
; %bb.3694:                             ;   in Loop: Header=BB8_1939 Depth=2
	v_or_b32_e32 v5, 0x10000, v14
	v_cmp_eq_u32_sdwa vcc, v14, v2 src0_sel:WORD_0 src1_sel:DWORD
	v_cndmask_b32_e32 v5, v5, v14, vcc
; %bb.3695:                             ;   in Loop: Header=BB8_1939 Depth=2
	s_or_b64 exec, exec, s[42:43]
	flat_store_short_d16_hi v[0:1], v15 glc slc
	flat_store_short_d16_hi v[0:1], v13 offset:128 glc slc
	flat_store_short_d16_hi v[0:1], v9 offset:256 glc slc
	;; [unrolled: 1-line block ×7, first 2 shown]
.LBB8_3696:                             ;   in Loop: Header=BB8_1939 Depth=2
	s_or_b64 exec, exec, s[28:29]
	buffer_load_dword v1, off, s[0:3], s33 offset:312 ; 4-byte Folded Reload
	v_lshlrev_b32_e32 v0, 10, v4
	v_mov_b32_e32 v29, v52
	v_mov_b32_e32 v31, v53
	s_waitcnt vmcnt(0)
	v_cmp_ne_u32_e32 vcc, v1, v0
	s_and_b64 s[28:29], exec, vcc
	s_mov_b64 exec, s[28:29]
	s_cbranch_execz .LBB8_3733
; %bb.3697:                             ;   in Loop: Header=BB8_1939 Depth=2
	v_lshlrev_b32_e32 v1, 6, v12
	v_sub_u32_e32 v1, v11, v1
	v_ashrrev_i32_e32 v3, 31, v1
	v_lshrrev_b32_e32 v3, 26, v3
	v_add_u32_e32 v3, v1, v3
	v_and_b32_e32 v4, 0x7fffffc0, v3
	v_sub_u32_e32 v1, v1, v4
	v_lshlrev_b32_e32 v3, 1, v3
	v_and_b32_e32 v3, 0xffffff80, v3
	v_lshlrev_b32_e32 v1, 1, v1
	v_add3_u32 v0, v3, v1, v0
	buffer_load_dword v1, off, s[0:3], s33 offset:312 ; 4-byte Folded Reload
	s_waitcnt vmcnt(0)
	v_sub_u32_e32 v3, v1, v0
	v_cmp_lt_i32_e32 vcc, 1, v3
	s_and_b64 exec, exec, vcc
	s_cbranch_execz .LBB8_3733
; %bb.3698:                             ;   in Loop: Header=BB8_1939 Depth=2
	s_trap 2
	ds_read_b64 v[8:9], v0
	v_add_u32_e32 v4, v0, v10
	buffer_load_dword v0, off, s[0:3], s33 offset:328 ; 4-byte Folded Reload
	buffer_load_dword v1, off, s[0:3], s33 offset:332 ; 4-byte Folded Reload
	;; [unrolled: 1-line block ×4, first 2 shown]
	v_ashrrev_i32_e32 v10, 31, v4
	s_mov_b64 s[92:93], 0
	s_mov_b64 s[42:43], 0
                                        ; implicit-def: $sgpr90_sgpr91
	s_waitcnt vmcnt(0)
	v_add_co_u32_e32 v0, vcc, v0, v4
	v_addc_co_u32_e32 v1, vcc, v1, v10, vcc
	v_add_co_u32_e32 v7, vcc, v4, v5
	v_addc_co_u32_e32 v6, vcc, v10, v6, vcc
	s_waitcnt lgkmcnt(0)
	v_add_co_u32_e32 v5, vcc, v8, v4
	v_addc_co_u32_e32 v4, vcc, v9, v10, vcc
	s_branch .LBB8_3700
.LBB8_3699:                             ;   in Loop: Header=BB8_3700 Depth=3
	s_or_b64 exec, exec, s[28:29]
	v_lshrrev_b32_e32 v8, 16, v9
	buffer_store_short v8, off, s[0:3], s33 offset:64
	flat_store_short v[0:1], v8 glc slc
	buffer_load_dword v10, off, s[0:3], s33 offset:184 ; 4-byte Folded Reload
	buffer_load_dword v11, off, s[0:3], s33 offset:188 ; 4-byte Folded Reload
	;; [unrolled: 1-line block ×4, first 2 shown]
	v_mov_b32_e32 v14, 0x80
	s_waitcnt vmcnt(0)
	v_add_co_u32_e32 v8, vcc, v7, v10
	v_cndmask_b32_e64 v7, v7, v8, s[92:93]
	buffer_load_dword v8, off, s[0:3], s33 offset:168 ; 4-byte Folded Reload
	v_addc_co_u32_e32 v9, vcc, v6, v11, vcc
	v_add_co_u32_e32 v10, vcc, v5, v10
	v_addc_co_u32_e32 v11, vcc, v4, v11, vcc
	v_cndmask_b32_e64 v13, v14, v13, s[92:93]
	v_cndmask_b32_e64 v12, 0, v12, s[92:93]
	v_add_co_u32_e32 v0, vcc, v0, v13
	v_addc_co_u32_e32 v1, vcc, v1, v12, vcc
	v_cndmask_b32_e64 v4, v4, v11, s[92:93]
	v_cndmask_b32_e64 v5, v5, v10, s[92:93]
	;; [unrolled: 1-line block ×3, first 2 shown]
	s_waitcnt vmcnt(0)
	v_cndmask_b32_e64 v8, 0, v8, s[92:93]
	v_sub_u32_e32 v3, v3, v8
	v_cmp_gt_i32_e32 vcc, 2, v3
	s_or_b64 s[42:43], vcc, s[42:43]
	s_andn2_b64 s[28:29], s[90:91], exec
	s_and_b64 s[44:45], s[92:93], exec
	s_or_b64 s[90:91], s[28:29], s[44:45]
	s_andn2_b64 exec, exec, s[42:43]
	s_cbranch_execz .LBB8_3723
.LBB8_3700:                             ;   Parent Loop BB8_47 Depth=1
                                        ;     Parent Loop BB8_1939 Depth=2
                                        ; =>    This Loop Header: Depth=3
                                        ;         Child Loop BB8_3701 Depth 4
                                        ;         Child Loop BB8_3714 Depth 4
	s_lshr_b32 s44, s33, 6
	s_add_i32 s44, s44, 64
	s_mov_b64 s[94:95], -1
	s_mov_b64 s[30:31], 0
.LBB8_3701:                             ;   Parent Loop BB8_47 Depth=1
                                        ;     Parent Loop BB8_1939 Depth=2
                                        ;       Parent Loop BB8_3700 Depth=3
                                        ; =>      This Inner Loop Header: Depth=4
	s_cmp_eq_u32 s30, 1
	s_cselect_b64 s[28:29], -1, 0
	v_cndmask_b32_e64 v9, v6, v4, s[28:29]
	v_cndmask_b32_e64 v8, v7, v5, s[28:29]
	flat_load_ushort v10, v[8:9] glc slc
	v_add_co_u32_e32 v8, vcc, 0x80, v8
	v_addc_co_u32_e32 v9, vcc, 0, v9, vcc
	s_cmp_eq_u32 s30, 0
	v_mov_b32_e32 v11, s44
	s_cselect_b64 vcc, -1, 0
	s_lshr_b32 s44, s33, 6
	s_addk_i32 s44, 0x60
	v_cndmask_b32_e64 v4, v4, v9, s[28:29]
	v_cndmask_b32_e64 v5, v5, v8, s[28:29]
	v_cndmask_b32_e32 v6, v6, v9, vcc
	v_cndmask_b32_e32 v7, v7, v8, vcc
	s_mov_b64 s[30:31], 1
	s_and_b64 vcc, exec, s[94:95]
	s_mov_b64 s[94:95], 0
	s_waitcnt vmcnt(0) lgkmcnt(0)
	buffer_store_short v10, v11, s[0:3], 0 offen
	s_cbranch_vccnz .LBB8_3701
; %bb.3702:                             ;   in Loop: Header=BB8_3700 Depth=3
	s_and_saveexec_b64 s[28:29], s[92:93]
	s_cbranch_execz .LBB8_3712
; %bb.3703:                             ;   in Loop: Header=BB8_3700 Depth=3
	s_trap 2
	buffer_load_ushort v8, off, s[0:3], s33 offset:56
	ds_read_b32 v9, v0
	s_waitcnt lgkmcnt(0)
	v_lshlrev_b32_e32 v9, 16, v9
	s_waitcnt vmcnt(0)
	v_lshlrev_b32_e32 v8, 16, v8
	v_mul_f32_e32 v9, v9, v8
	v_and_b32_e32 v8, 0x7f800000, v9
	v_cmp_ne_u32_e32 vcc, s87, v8
                                        ; implicit-def: $vgpr8
	s_and_saveexec_b64 s[44:45], vcc
	s_xor_b64 s[92:93], exec, s[44:45]
; %bb.3704:                             ;   in Loop: Header=BB8_3700 Depth=3
	v_bfe_u32 v8, v9, 16, 1
	v_add3_u32 v8, v9, v8, s96
                                        ; implicit-def: $vgpr9
; %bb.3705:                             ;   in Loop: Header=BB8_3700 Depth=3
	s_andn2_saveexec_b64 s[92:93], s[92:93]
; %bb.3706:                             ;   in Loop: Header=BB8_3700 Depth=3
	v_or_b32_e32 v8, 0x10000, v9
	v_cmp_eq_u32_sdwa vcc, v9, v2 src0_sel:WORD_0 src1_sel:DWORD
	v_cndmask_b32_e32 v8, v8, v9, vcc
; %bb.3707:                             ;   in Loop: Header=BB8_3700 Depth=3
	s_or_b64 exec, exec, s[92:93]
	buffer_load_ushort v9, off, s[0:3], s33 offset:58
	v_and_b32_e32 v8, 0xffff0000, v8
	s_waitcnt vmcnt(0)
	v_lshlrev_b32_e32 v9, 16, v9
	v_add_f32_e32 v8, v8, v9
	v_and_b32_e32 v9, 0x7f800000, v8
	v_cmp_ne_u32_e32 vcc, s87, v9
                                        ; implicit-def: $vgpr9
	s_and_saveexec_b64 s[44:45], vcc
	s_xor_b64 s[92:93], exec, s[44:45]
; %bb.3708:                             ;   in Loop: Header=BB8_3700 Depth=3
	v_bfe_u32 v9, v8, 16, 1
	v_add3_u32 v9, v8, v9, s96
                                        ; implicit-def: $vgpr8
; %bb.3709:                             ;   in Loop: Header=BB8_3700 Depth=3
	s_andn2_saveexec_b64 s[92:93], s[92:93]
; %bb.3710:                             ;   in Loop: Header=BB8_3700 Depth=3
	v_or_b32_e32 v9, 0x10000, v8
	v_cmp_eq_u32_sdwa vcc, v8, v2 src0_sel:WORD_0 src1_sel:DWORD
	v_cndmask_b32_e32 v9, v9, v8, vcc
; %bb.3711:                             ;   in Loop: Header=BB8_3700 Depth=3
	s_or_b64 exec, exec, s[92:93]
	v_lshrrev_b32_e32 v8, 16, v9
	buffer_store_short v8, off, s[0:3], s33 offset:56
	flat_store_short v[0:1], v8 glc slc
	buffer_load_dword v8, off, s[0:3], s33 offset:192 ; 4-byte Folded Reload
	s_waitcnt vmcnt(0)
	v_add_co_u32_e32 v0, vcc, v0, v8
	buffer_load_dword v8, off, s[0:3], s33 offset:196 ; 4-byte Folded Reload
	s_waitcnt vmcnt(0)
	v_addc_co_u32_e32 v1, vcc, v1, v8, vcc
.LBB8_3712:                             ;   in Loop: Header=BB8_3700 Depth=3
	s_or_b64 exec, exec, s[28:29]
	buffer_load_dword v8, off, s[0:3], s33 offset:184 ; 4-byte Folded Reload
	buffer_load_dword v9, off, s[0:3], s33 offset:188 ; 4-byte Folded Reload
	s_waitcnt vmcnt(0)
	v_add_co_u32_e32 v7, vcc, v7, v8
	v_addc_co_u32_e32 v6, vcc, v6, v9, vcc
	v_add_co_u32_e32 v5, vcc, v5, v8
	buffer_load_dword v8, off, s[0:3], s33 offset:168 ; 4-byte Folded Reload
	v_addc_co_u32_e32 v4, vcc, v4, v9, vcc
	s_waitcnt vmcnt(0)
	v_sub_u32_e32 v3, v3, v8
	v_cmp_lt_i32_e64 s[92:93], 1, v3
	s_and_saveexec_b64 s[94:95], s[92:93]
	s_cbranch_execz .LBB8_3715
; %bb.3713:                             ;   in Loop: Header=BB8_3700 Depth=3
	s_lshr_b32 s44, s33, 6
	s_add_i32 s44, s44, 56
	s_mov_b64 s[34:35], 0
	s_mov_b64 s[30:31], -1
.LBB8_3714:                             ;   Parent Loop BB8_47 Depth=1
                                        ;     Parent Loop BB8_1939 Depth=2
                                        ;       Parent Loop BB8_3700 Depth=3
                                        ; =>      This Inner Loop Header: Depth=4
	s_cmp_eq_u32 s34, 1
	s_cselect_b64 s[28:29], -1, 0
	v_cndmask_b32_e64 v9, v6, v4, s[28:29]
	v_cndmask_b32_e64 v8, v7, v5, s[28:29]
	flat_load_ushort v10, v[8:9] glc slc
	v_add_co_u32_e32 v8, vcc, 0x80, v8
	v_addc_co_u32_e32 v9, vcc, 0, v9, vcc
	s_cmp_eq_u32 s34, 0
	v_mov_b32_e32 v11, s44
	s_cselect_b64 vcc, -1, 0
	s_lshr_b32 s44, s33, 6
	s_add_i32 s44, s44, 58
	v_cndmask_b32_e32 v6, v6, v9, vcc
	v_cndmask_b32_e32 v7, v7, v8, vcc
	v_cndmask_b32_e64 v4, v4, v9, s[28:29]
	v_cndmask_b32_e64 v5, v5, v8, s[28:29]
	s_mov_b64 s[34:35], 1
	s_and_b64 vcc, exec, s[30:31]
	s_mov_b64 s[30:31], 0
	s_waitcnt vmcnt(0) lgkmcnt(0)
	buffer_store_short v10, v11, s[0:3], 0 offen
	s_cbranch_vccnz .LBB8_3714
.LBB8_3715:                             ;   in Loop: Header=BB8_3700 Depth=3
	s_or_b64 exec, exec, s[94:95]
	s_trap 2
	buffer_load_ushort v8, off, s[0:3], s33 offset:64
	ds_read_b32 v9, v0
	s_waitcnt lgkmcnt(0)
	v_lshlrev_b32_e32 v9, 16, v9
	s_waitcnt vmcnt(0)
	v_lshlrev_b32_e32 v8, 16, v8
	v_mul_f32_e32 v8, v9, v8
	v_and_b32_e32 v9, 0x7f800000, v8
	v_cmp_ne_u32_e32 vcc, s87, v9
                                        ; implicit-def: $vgpr9
	s_and_saveexec_b64 s[28:29], vcc
	s_xor_b64 s[28:29], exec, s[28:29]
; %bb.3716:                             ;   in Loop: Header=BB8_3700 Depth=3
	v_bfe_u32 v9, v8, 16, 1
	v_add3_u32 v9, v8, v9, s96
                                        ; implicit-def: $vgpr8
; %bb.3717:                             ;   in Loop: Header=BB8_3700 Depth=3
	s_andn2_saveexec_b64 s[28:29], s[28:29]
; %bb.3718:                             ;   in Loop: Header=BB8_3700 Depth=3
	v_or_b32_e32 v9, 0x10000, v8
	v_cmp_eq_u32_sdwa vcc, v8, v2 src0_sel:WORD_0 src1_sel:DWORD
	v_cndmask_b32_e32 v9, v9, v8, vcc
; %bb.3719:                             ;   in Loop: Header=BB8_3700 Depth=3
	s_or_b64 exec, exec, s[28:29]
	buffer_load_ushort v8, off, s[0:3], s33 offset:96
	v_and_b32_e32 v9, 0xffff0000, v9
	s_waitcnt vmcnt(0)
	v_lshlrev_b32_e32 v8, 16, v8
	v_add_f32_e32 v8, v9, v8
	v_and_b32_e32 v9, 0x7f800000, v8
	v_cmp_ne_u32_e32 vcc, s87, v9
                                        ; implicit-def: $vgpr9
	s_and_saveexec_b64 s[28:29], vcc
	s_xor_b64 s[28:29], exec, s[28:29]
; %bb.3720:                             ;   in Loop: Header=BB8_3700 Depth=3
	v_bfe_u32 v9, v8, 16, 1
	v_add3_u32 v9, v8, v9, s96
                                        ; implicit-def: $vgpr8
; %bb.3721:                             ;   in Loop: Header=BB8_3700 Depth=3
	s_andn2_saveexec_b64 s[28:29], s[28:29]
	s_cbranch_execz .LBB8_3699
; %bb.3722:                             ;   in Loop: Header=BB8_3700 Depth=3
	v_or_b32_e32 v9, 0x10000, v8
	v_cmp_eq_u32_sdwa vcc, v8, v2 src0_sel:WORD_0 src1_sel:DWORD
	v_cndmask_b32_e32 v9, v9, v8, vcc
	s_branch .LBB8_3699
.LBB8_3723:                             ;   in Loop: Header=BB8_1939 Depth=2
	s_or_b64 exec, exec, s[42:43]
	s_and_b64 exec, exec, s[90:91]
	s_cbranch_execz .LBB8_3733
; %bb.3724:                             ;   in Loop: Header=BB8_1939 Depth=2
	s_trap 2
	buffer_load_ushort v3, off, s[0:3], s33 offset:56
	ds_read_b32 v4, v0
	s_waitcnt lgkmcnt(0)
	v_lshlrev_b32_e32 v4, 16, v4
	s_waitcnt vmcnt(0)
	v_lshlrev_b32_e32 v3, 16, v3
	v_mul_f32_e32 v4, v4, v3
	v_and_b32_e32 v3, 0x7f800000, v4
	v_cmp_ne_u32_e32 vcc, s87, v3
                                        ; implicit-def: $vgpr3
	s_and_saveexec_b64 s[28:29], vcc
	s_xor_b64 s[28:29], exec, s[28:29]
; %bb.3725:                             ;   in Loop: Header=BB8_1939 Depth=2
	v_bfe_u32 v3, v4, 16, 1
	v_add3_u32 v3, v4, v3, s96
                                        ; implicit-def: $vgpr4
; %bb.3726:                             ;   in Loop: Header=BB8_1939 Depth=2
	s_andn2_saveexec_b64 s[28:29], s[28:29]
; %bb.3727:                             ;   in Loop: Header=BB8_1939 Depth=2
	v_or_b32_e32 v3, 0x10000, v4
	v_cmp_eq_u32_sdwa vcc, v4, v2 src0_sel:WORD_0 src1_sel:DWORD
	v_cndmask_b32_e32 v3, v3, v4, vcc
; %bb.3728:                             ;   in Loop: Header=BB8_1939 Depth=2
	s_or_b64 exec, exec, s[28:29]
	buffer_load_ushort v4, off, s[0:3], s33 offset:58
	v_and_b32_e32 v3, 0xffff0000, v3
	s_waitcnt vmcnt(0)
	v_lshlrev_b32_e32 v4, 16, v4
	v_add_f32_e32 v3, v3, v4
	v_and_b32_e32 v4, 0x7f800000, v3
	v_cmp_ne_u32_e32 vcc, s87, v4
                                        ; implicit-def: $vgpr4
	s_and_saveexec_b64 s[28:29], vcc
	s_xor_b64 s[28:29], exec, s[28:29]
; %bb.3729:                             ;   in Loop: Header=BB8_1939 Depth=2
	v_bfe_u32 v4, v3, 16, 1
	v_add3_u32 v4, v3, v4, s96
                                        ; implicit-def: $vgpr3
; %bb.3730:                             ;   in Loop: Header=BB8_1939 Depth=2
	s_andn2_saveexec_b64 s[28:29], s[28:29]
; %bb.3731:                             ;   in Loop: Header=BB8_1939 Depth=2
	v_or_b32_e32 v4, 0x10000, v3
	v_cmp_eq_u32_sdwa vcc, v3, v2 src0_sel:WORD_0 src1_sel:DWORD
	v_cndmask_b32_e32 v4, v4, v3, vcc
; %bb.3732:                             ;   in Loop: Header=BB8_1939 Depth=2
	s_or_b64 exec, exec, s[28:29]
	flat_store_short_d16_hi v[0:1], v4 glc slc
.LBB8_3733:                             ;   in Loop: Header=BB8_1939 Depth=2
	s_or_b64 exec, exec, s[40:41]
.LBB8_3734:                             ;   in Loop: Header=BB8_1939 Depth=2
	buffer_load_dword v0, off, s[0:3], s33 offset:336 ; 4-byte Folded Reload
	s_waitcnt vmcnt(0)
	v_cmp_lt_i32_e64 s[28:29], 0, v0
	s_and_saveexec_b64 s[40:41], s[10:11]
	s_cbranch_execz .LBB8_3753
.LBB8_3735:                             ;   in Loop: Header=BB8_1939 Depth=2
	s_and_saveexec_b64 s[42:43], s[56:57]
	s_xor_b64 s[42:43], exec, s[42:43]
	s_cbranch_execz .LBB8_3750
; %bb.3736:                             ;   in Loop: Header=BB8_1939 Depth=2
	s_and_saveexec_b64 s[90:91], s[16:17]
	s_cbranch_execz .LBB8_3749
; %bb.3737:                             ;   in Loop: Header=BB8_1939 Depth=2
	s_mov_b64 s[94:95], exec
	v_mbcnt_lo_u32_b32 v0, s94, 0
	v_mbcnt_hi_u32_b32 v0, s95, v0
	v_cmp_eq_u32_e32 vcc, 0, v0
	s_waitcnt vmcnt(0) lgkmcnt(0)
	buffer_wbinvl1_vol
	s_and_saveexec_b64 s[92:93], vcc
	s_cbranch_execz .LBB8_3739
; %bb.3738:                             ;   in Loop: Header=BB8_1939 Depth=2
	s_bcnt1_i32_b64 s44, s[94:95]
	v_mov_b32_e32 v0, s44
	v_mov_b32_e32 v1, v2
	ds_add_u64 v0, v[0:1]
	s_trap 2
.LBB8_3739:                             ;   in Loop: Header=BB8_1939 Depth=2
	s_or_b64 exec, exec, s[92:93]
	s_trap 2
	ds_read_b64 v[0:1], v0
	s_waitcnt lgkmcnt(0)
	buffer_load_dword v3, off, s[0:3], s33 offset:128 ; 4-byte Folded Reload
	buffer_load_dword v4, off, s[0:3], s33 offset:144 ; 4-byte Folded Reload
	;; [unrolled: 1-line block ×3, first 2 shown]
	s_waitcnt vmcnt(1)
	v_add_co_u32_e32 v4, vcc, v4, v3
	s_waitcnt vmcnt(0)
	v_addc_co_u32_e32 v5, vcc, 0, v5, vcc
	buffer_store_dword v4, off, s[0:3], s33 offset:144 ; 4-byte Folded Spill
	s_nop 0
	buffer_store_dword v5, off, s[0:3], s33 offset:148 ; 4-byte Folded Spill
	v_cmp_lt_u64_e32 vcc, v[0:1], v[4:5]
	s_and_saveexec_b64 s[92:93], vcc
	s_cbranch_execz .LBB8_3748
; %bb.3740:                             ;   in Loop: Header=BB8_1939 Depth=2
	s_mov_b32 s44, 0
	s_mov_b64 s[94:95], 0
                                        ; implicit-def: $sgpr30_sgpr31
                                        ; implicit-def: $sgpr34_sgpr35
	s_branch .LBB8_3742
.LBB8_3741:                             ;   in Loop: Header=BB8_3742 Depth=3
	s_or_b64 exec, exec, s[38:39]
	s_and_b64 vcc, exec, vcc
	s_or_b64 s[94:95], vcc, s[94:95]
	s_andn2_b64 vcc, s[30:31], exec
	s_and_b64 s[30:31], s[34:35], exec
	s_or_b64 s[30:31], vcc, s[30:31]
	s_andn2_b64 exec, exec, s[94:95]
	s_cbranch_execz .LBB8_3746
.LBB8_3742:                             ;   Parent Loop BB8_47 Depth=1
                                        ;     Parent Loop BB8_1939 Depth=2
                                        ; =>    This Inner Loop Header: Depth=3
	s_add_i32 s44, s44, 1
	s_cmpk_lg_i32 s44, 0x2710
	s_cselect_b64 s[36:37], -1, 0
	s_and_b64 vcc, exec, s[36:37]
	s_cbranch_vccz .LBB8_3744
; %bb.3743:                             ;   in Loop: Header=BB8_3742 Depth=3
	s_mov_b64 vcc, -1
	s_or_b64 s[34:35], s[34:35], exec
	s_and_saveexec_b64 s[38:39], s[36:37]
	s_cbranch_execz .LBB8_3741
	s_branch .LBB8_3745
.LBB8_3744:                             ;   in Loop: Header=BB8_3742 Depth=3
	s_trap 2
	ds_read_b64 v[0:1], v0
	s_andn2_b64 s[36:37], s[36:37], exec
	s_mov_b32 s44, 0
	s_waitcnt vmcnt(0) lgkmcnt(0)
	flat_load_dword v0, v[0:1] glc
	s_waitcnt vmcnt(0) lgkmcnt(0)
	buffer_wbinvl1_vol
	v_cmp_eq_u32_e32 vcc, 0, v0
	s_and_b64 vcc, vcc, exec
	s_or_b64 s[36:37], s[36:37], vcc
	s_mov_b64 vcc, -1
	s_or_b64 s[34:35], s[34:35], exec
	s_and_saveexec_b64 s[38:39], s[36:37]
	s_cbranch_execz .LBB8_3741
.LBB8_3745:                             ;   in Loop: Header=BB8_3742 Depth=3
	s_sleep 1
	s_trap 2
	ds_read_b64 v[0:1], v0
	s_waitcnt lgkmcnt(0)
	buffer_load_dword v3, off, s[0:3], s33 offset:144 ; 4-byte Folded Reload
	buffer_load_dword v4, off, s[0:3], s33 offset:148 ; 4-byte Folded Reload
	s_andn2_b64 s[34:35], s[34:35], exec
	s_waitcnt vmcnt(0)
	v_cmp_ge_u64_e32 vcc, v[0:1], v[3:4]
	s_orn2_b64 vcc, vcc, exec
	s_branch .LBB8_3741
.LBB8_3746:                             ;   in Loop: Header=BB8_1939 Depth=2
	s_or_b64 exec, exec, s[94:95]
	s_and_saveexec_b64 s[44:45], s[30:31]
	s_xor_b64 s[44:45], exec, s[44:45]
	s_cbranch_execz .LBB8_3748
; %bb.3747:                             ;   in Loop: Header=BB8_1939 Depth=2
	v_mov_b32_e32 v0, 1
	ds_write_b32 v0, v0
	s_trap 2
.LBB8_3748:                             ;   in Loop: Header=BB8_1939 Depth=2
	s_or_b64 exec, exec, s[92:93]
	;;#ASMSTART
	s_wakeup
	;;#ASMEND
.LBB8_3749:                             ;   in Loop: Header=BB8_1939 Depth=2
	s_or_b64 exec, exec, s[90:91]
.LBB8_3750:                             ;   in Loop: Header=BB8_1939 Depth=2
	s_andn2_saveexec_b64 s[42:43], s[42:43]
	s_cbranch_execz .LBB8_3752
; %bb.3751:                             ;   in Loop: Header=BB8_1939 Depth=2
	s_waitcnt vmcnt(0) lgkmcnt(0)
	buffer_wbinvl1_vol
	s_barrier
.LBB8_3752:                             ;   in Loop: Header=BB8_1939 Depth=2
	s_or_b64 exec, exec, s[42:43]
.LBB8_3753:                             ;   in Loop: Header=BB8_1939 Depth=2
	s_or_b64 exec, exec, s[40:41]
	buffer_load_dword v0, off, s[0:3], s33 offset:132 ; 4-byte Folded Reload
	s_waitcnt vmcnt(0)
	v_and_b32_e32 v0, 16, v0
	s_and_saveexec_b64 s[40:41], s[24:25]
	s_xor_b64 s[40:41], exec, s[40:41]
	s_cbranch_execz .LBB8_3757
; %bb.3754:                             ;   in Loop: Header=BB8_1939 Depth=2
	buffer_load_dword v1, off, s[0:3], s33 offset:132 ; 4-byte Folded Reload
	s_waitcnt vmcnt(0)
	v_and_b32_e32 v0, 16, v1
	v_and_b32_e32 v1, 16, v1
	v_cmp_ne_u32_e32 vcc, 0, v1
	s_and_b64 s[42:43], vcc, s[28:29]
	s_and_saveexec_b64 s[28:29], s[42:43]
	s_cbranch_execz .LBB8_3756
; %bb.3755:                             ;   in Loop: Header=BB8_1939 Depth=2
	v_mov_b32_e32 v0, 1
	s_waitcnt lgkmcnt(0)
	buffer_wbinvl1_vol
.LBB8_3756:                             ;   in Loop: Header=BB8_1939 Depth=2
	s_or_b64 exec, exec, s[28:29]
.LBB8_3757:                             ;   in Loop: Header=BB8_1939 Depth=2
	s_andn2_saveexec_b64 s[28:29], s[40:41]
	s_cbranch_execz .LBB8_3776
; %bb.3758:                             ;   in Loop: Header=BB8_1939 Depth=2
	s_and_saveexec_b64 s[40:41], s[56:57]
	s_xor_b64 s[40:41], exec, s[40:41]
	s_cbranch_execz .LBB8_3773
; %bb.3759:                             ;   in Loop: Header=BB8_1939 Depth=2
	s_and_saveexec_b64 s[42:43], s[16:17]
	s_cbranch_execz .LBB8_3772
; %bb.3760:                             ;   in Loop: Header=BB8_1939 Depth=2
	s_mov_b64 s[92:93], exec
	v_mbcnt_lo_u32_b32 v1, s92, 0
	v_mbcnt_hi_u32_b32 v1, s93, v1
	v_cmp_eq_u32_e32 vcc, 0, v1
	;;#ASMSTART
	s_waitcnt lgkmcnt(0) vmcnt(0)
	;;#ASMEND
	s_and_saveexec_b64 s[90:91], vcc
	s_cbranch_execz .LBB8_3762
; %bb.3761:                             ;   in Loop: Header=BB8_1939 Depth=2
	s_bcnt1_i32_b64 s44, s[92:93]
	v_mov_b32_e32 v3, s44
	v_mov_b32_e32 v4, v2
	s_waitcnt lgkmcnt(0)
	ds_add_u64 v0, v[3:4]
	s_trap 2
.LBB8_3762:                             ;   in Loop: Header=BB8_1939 Depth=2
	s_or_b64 exec, exec, s[90:91]
	s_trap 2
	ds_read_b64 v[3:4], v0
	s_waitcnt lgkmcnt(0)
	buffer_load_dword v1, off, s[0:3], s33 offset:128 ; 4-byte Folded Reload
	buffer_load_dword v5, off, s[0:3], s33 offset:144 ; 4-byte Folded Reload
	;; [unrolled: 1-line block ×3, first 2 shown]
	s_waitcnt vmcnt(1)
	v_add_co_u32_e32 v5, vcc, v5, v1
	s_waitcnt vmcnt(0)
	v_addc_co_u32_e32 v6, vcc, 0, v6, vcc
	buffer_store_dword v5, off, s[0:3], s33 offset:144 ; 4-byte Folded Spill
	s_nop 0
	buffer_store_dword v6, off, s[0:3], s33 offset:148 ; 4-byte Folded Spill
	v_cmp_lt_u64_e32 vcc, v[3:4], v[5:6]
	s_and_saveexec_b64 s[90:91], vcc
	s_cbranch_execz .LBB8_3771
; %bb.3763:                             ;   in Loop: Header=BB8_1939 Depth=2
	s_mov_b32 s44, 0
	s_mov_b64 s[92:93], 0
                                        ; implicit-def: $sgpr94_sgpr95
                                        ; implicit-def: $sgpr30_sgpr31
	s_branch .LBB8_3765
.LBB8_3764:                             ;   in Loop: Header=BB8_3765 Depth=3
	s_or_b64 exec, exec, s[36:37]
	s_and_b64 vcc, exec, vcc
	s_or_b64 s[92:93], vcc, s[92:93]
	s_andn2_b64 s[94:95], s[94:95], exec
	s_and_b64 vcc, s[30:31], exec
	s_or_b64 s[94:95], s[94:95], vcc
	s_andn2_b64 exec, exec, s[92:93]
	s_cbranch_execz .LBB8_3769
.LBB8_3765:                             ;   Parent Loop BB8_47 Depth=1
                                        ;     Parent Loop BB8_1939 Depth=2
                                        ; =>    This Inner Loop Header: Depth=3
	s_add_i32 s44, s44, 1
	s_cmpk_lg_i32 s44, 0x2710
	s_cselect_b64 s[34:35], -1, 0
	s_and_b64 vcc, exec, s[34:35]
	s_cbranch_vccz .LBB8_3767
; %bb.3766:                             ;   in Loop: Header=BB8_3765 Depth=3
	s_mov_b64 vcc, -1
	s_or_b64 s[30:31], s[30:31], exec
	s_and_saveexec_b64 s[36:37], s[34:35]
	s_cbranch_execz .LBB8_3764
	s_branch .LBB8_3768
.LBB8_3767:                             ;   in Loop: Header=BB8_3765 Depth=3
	s_trap 2
	ds_read_b64 v[3:4], v0
	s_andn2_b64 s[34:35], s[34:35], exec
	s_mov_b32 s44, 0
	s_waitcnt vmcnt(0) lgkmcnt(0)
	flat_load_dword v1, v[3:4] glc
	s_waitcnt vmcnt(0) lgkmcnt(0)
	buffer_wbinvl1_vol
	v_cmp_eq_u32_e32 vcc, 0, v1
	s_and_b64 vcc, vcc, exec
	s_or_b64 s[34:35], s[34:35], vcc
	s_mov_b64 vcc, -1
	s_or_b64 s[30:31], s[30:31], exec
	s_and_saveexec_b64 s[36:37], s[34:35]
	s_cbranch_execz .LBB8_3764
.LBB8_3768:                             ;   in Loop: Header=BB8_3765 Depth=3
	s_sleep 1
	s_trap 2
	ds_read_b64 v[3:4], v0
	s_waitcnt lgkmcnt(0)
	buffer_load_dword v5, off, s[0:3], s33 offset:144 ; 4-byte Folded Reload
	buffer_load_dword v6, off, s[0:3], s33 offset:148 ; 4-byte Folded Reload
	s_andn2_b64 s[30:31], s[30:31], exec
	s_waitcnt vmcnt(0)
	v_cmp_ge_u64_e32 vcc, v[3:4], v[5:6]
	s_orn2_b64 vcc, vcc, exec
	s_branch .LBB8_3764
.LBB8_3769:                             ;   in Loop: Header=BB8_1939 Depth=2
	s_or_b64 exec, exec, s[92:93]
	s_and_saveexec_b64 s[44:45], s[94:95]
	s_xor_b64 s[44:45], exec, s[44:45]
	s_cbranch_execz .LBB8_3771
; %bb.3770:                             ;   in Loop: Header=BB8_1939 Depth=2
	v_mov_b32_e32 v1, 1
	ds_write_b32 v0, v1
	s_trap 2
.LBB8_3771:                             ;   in Loop: Header=BB8_1939 Depth=2
	s_or_b64 exec, exec, s[90:91]
	;;#ASMSTART
	s_wakeup
	;;#ASMEND
.LBB8_3772:                             ;   in Loop: Header=BB8_1939 Depth=2
	s_or_b64 exec, exec, s[42:43]
.LBB8_3773:                             ;   in Loop: Header=BB8_1939 Depth=2
	s_andn2_saveexec_b64 s[40:41], s[40:41]
	s_cbranch_execz .LBB8_3775
; %bb.3774:                             ;   in Loop: Header=BB8_1939 Depth=2
	;;#ASMSTART
	s_waitcnt lgkmcnt(0) vmcnt(0)
	;;#ASMEND
	s_waitcnt vmcnt(0) lgkmcnt(0)
	s_barrier
.LBB8_3775:                             ;   in Loop: Header=BB8_1939 Depth=2
	s_or_b64 exec, exec, s[40:41]
.LBB8_3776:                             ;   in Loop: Header=BB8_1939 Depth=2
	s_or_b64 exec, exec, s[28:29]
	v_cmp_ne_u32_e32 vcc, 0, v0
	s_xor_b64 s[28:29], s[12:13], -1
	s_and_b64 s[40:41], vcc, s[28:29]
	s_and_saveexec_b64 s[28:29], s[40:41]
	s_cbranch_execz .LBB8_3778
; %bb.3777:                             ;   in Loop: Header=BB8_1939 Depth=2
	buffer_load_dword v0, off, s[0:3], s33 offset:232 ; 4-byte Folded Reload
	buffer_load_dword v1, off, s[0:3], s33 offset:236 ; 4-byte Folded Reload
	v_mov_b32_e32 v3, 1
	s_waitcnt vmcnt(0)
	flat_store_dword v[0:1], v3
.LBB8_3778:                             ;   in Loop: Header=BB8_1939 Depth=2
	s_or_b64 exec, exec, s[28:29]
	buffer_load_dword v0, off, s[0:3], s33 offset:132 ; 4-byte Folded Reload
	s_waitcnt vmcnt(0)
	v_and_b32_e32 v0, 48, v0
	v_cmp_ne_u32_e32 vcc, 0, v0
	s_and_saveexec_b64 s[28:29], vcc
	s_cbranch_execz .LBB8_1938
; %bb.3779:                             ;   in Loop: Header=BB8_1939 Depth=2
	buffer_load_dword v0, off, s[0:3], s33 offset:160 ; 4-byte Folded Reload
	buffer_load_dword v1, off, s[0:3], s33 offset:164 ; 4-byte Folded Reload
	s_waitcnt vmcnt(0)
	v_add_co_u32_e32 v0, vcc, 2, v0
	v_addc_co_u32_e32 v1, vcc, 0, v1, vcc
	buffer_store_dword v0, off, s[0:3], s33 offset:160 ; 4-byte Folded Spill
	s_nop 0
	buffer_store_dword v1, off, s[0:3], s33 offset:164 ; 4-byte Folded Spill
	flat_store_dwordx2 v[40:41], v[0:1]
	s_branch .LBB8_1938
.LBB8_3780:                             ;   in Loop: Header=BB8_47 Depth=1
	s_or_b64 exec, exec, s[76:77]
	v_cmp_gt_i32_e32 vcc, 2, v3
	s_and_saveexec_b64 s[40:41], vcc
	s_cbranch_execz .LBB8_3856
.LBB8_3781:                             ;   in Loop: Header=BB8_47 Depth=1
	v_cmp_eq_u32_e64 s[76:77], 0, v3
	s_mov_b64 s[42:43], 0
	s_branch .LBB8_3783
.LBB8_3782:                             ;   in Loop: Header=BB8_3783 Depth=2
	s_or_b64 exec, exec, s[28:29]
	v_add_u32_e32 v31, v29, v31
	s_mov_b64 s[76:77], 0
	s_andn2_b64 exec, exec, s[42:43]
	s_cbranch_execz .LBB8_3857
.LBB8_3783:                             ;   Parent Loop BB8_47 Depth=1
                                        ; =>  This Loop Header: Depth=2
                                        ;       Child Loop BB8_3789 Depth 3
                                        ;       Child Loop BB8_3817 Depth 3
	;; [unrolled: 1-line block ×3, first 2 shown]
	v_sub_u32_e32 v0, v56, v31
	v_min_i32_e32 v29, v29, v0
	buffer_load_dword v0, off, s[0:3], s33 offset:132 ; 4-byte Folded Reload
	s_waitcnt vmcnt(0)
	v_and_b32_e32 v0, 12, v0
	v_cmp_ne_u32_e32 vcc, 0, v0
	s_and_saveexec_b64 s[78:79], vcc
	s_cbranch_execz .LBB8_3809
; %bb.3784:                             ;   in Loop: Header=BB8_3783 Depth=2
	buffer_load_dword v0, off, s[0:3], s33 offset:132 ; 4-byte Folded Reload
	s_waitcnt vmcnt(0)
	v_and_b32_e32 v3, 8, v0
	buffer_load_dword v0, off, s[0:3], s33 offset:160 ; 4-byte Folded Reload
	buffer_load_dword v1, off, s[0:3], s33 offset:164 ; 4-byte Folded Reload
	s_waitcnt lgkmcnt(0)
	v_add_co_u32_e32 v4, vcc, v46, v3
	v_addc_co_u32_e32 v5, vcc, 0, v47, vcc
	s_waitcnt vmcnt(1)
	v_add_co_u32_e32 v0, vcc, 2, v0
	s_waitcnt vmcnt(0)
	v_addc_co_u32_e32 v1, vcc, 0, v1, vcc
	v_cmp_lt_u64_e32 vcc, v[4:5], v[0:1]
	s_and_saveexec_b64 s[88:89], vcc
	s_cbranch_execz .LBB8_3796
; %bb.3785:                             ;   in Loop: Header=BB8_3783 Depth=2
	buffer_load_dword v4, off, s[0:3], s33 offset:132 ; 4-byte Folded Reload
	s_mov_b32 s47, 0
	s_mov_b64 s[90:91], 0
                                        ; implicit-def: $sgpr92_sgpr93
                                        ; implicit-def: $sgpr94_sgpr95
                                        ; implicit-def: $sgpr30_sgpr31
	s_waitcnt vmcnt(0)
	v_and_b32_e32 v4, 64, v4
	v_cmp_eq_u32_e32 vcc, 0, v4
	s_branch .LBB8_3789
.LBB8_3786:                             ;   in Loop: Header=BB8_3789 Depth=3
	s_waitcnt vmcnt(0) lgkmcnt(0)
	v_add_co_u32_e64 v5, s[28:29], v46, v3
	v_addc_co_u32_e64 v6, s[28:29], 0, v47, s[28:29]
	v_cmp_ge_u64_e64 s[28:29], v[5:6], v[0:1]
	s_or_b64 s[38:39], s[38:39], exec
	s_orn2_b64 s[36:37], s[28:29], exec
.LBB8_3787:                             ;   in Loop: Header=BB8_3789 Depth=3
	s_or_b64 exec, exec, s[50:51]
	s_andn2_b64 s[28:29], s[30:31], exec
	s_and_b64 s[44:45], s[38:39], exec
	s_or_b64 s[30:31], s[28:29], s[44:45]
	s_andn2_b64 s[28:29], s[94:95], exec
	s_and_b64 s[44:45], s[36:37], exec
	s_or_b64 s[94:95], s[28:29], s[44:45]
.LBB8_3788:                             ;   in Loop: Header=BB8_3789 Depth=3
	s_or_b64 exec, exec, s[34:35]
	s_and_b64 s[28:29], exec, s[94:95]
	s_or_b64 s[90:91], s[28:29], s[90:91]
	s_andn2_b64 s[28:29], s[92:93], exec
	s_and_b64 s[44:45], s[30:31], exec
	s_or_b64 s[92:93], s[28:29], s[44:45]
	s_andn2_b64 exec, exec, s[90:91]
	s_cbranch_execz .LBB8_3793
.LBB8_3789:                             ;   Parent Loop BB8_47 Depth=1
                                        ;     Parent Loop BB8_3783 Depth=2
                                        ; =>    This Inner Loop Header: Depth=3
	s_sleep 1
	s_waitcnt vmcnt(0) lgkmcnt(0)
	flat_load_dwordx2 v[46:47], v[40:41] glc
	s_or_b64 s[30:31], s[30:31], exec
	s_or_b64 s[94:95], s[94:95], exec
                                        ; implicit-def: $vgpr4
	s_and_saveexec_b64 s[34:35], vcc
	s_cbranch_execz .LBB8_3788
; %bb.3790:                             ;   in Loop: Header=BB8_3789 Depth=3
	s_cmpk_lt_i32 s47, 0x270f
	s_cselect_b64 s[48:49], -1, 0
	s_cmpk_gt_i32 s47, 0x270e
	s_mov_b64 s[36:37], -1
	s_cbranch_scc0 .LBB8_3792
; %bb.3791:                             ;   in Loop: Header=BB8_3789 Depth=3
	s_trap 2
	ds_read_b64 v[4:5], v0
	s_andn2_b64 s[44:45], s[48:49], exec
	s_mov_b32 s47, 0
	s_mov_b64 s[38:39], 0
	s_waitcnt vmcnt(0) lgkmcnt(0)
	flat_load_dword v4, v[4:5] glc
	s_waitcnt vmcnt(0) lgkmcnt(0)
	buffer_wbinvl1_vol
	v_cmp_eq_u32_e64 s[28:29], 0, v4
	s_and_b64 s[28:29], s[28:29], exec
	s_or_b64 s[48:49], s[44:45], s[28:29]
	s_and_saveexec_b64 s[50:51], s[48:49]
	s_cbranch_execz .LBB8_3787
	s_branch .LBB8_3786
.LBB8_3792:                             ;   in Loop: Header=BB8_3789 Depth=3
	s_add_i32 s47, s47, 1
	s_mov_b64 s[38:39], -1
                                        ; implicit-def: $vgpr4
	s_and_saveexec_b64 s[50:51], s[48:49]
	s_cbranch_execz .LBB8_3787
	s_branch .LBB8_3786
.LBB8_3793:                             ;   in Loop: Header=BB8_3783 Depth=2
	s_or_b64 exec, exec, s[90:91]
	s_xor_b64 s[28:29], s[92:93], -1
	s_and_saveexec_b64 s[44:45], s[28:29]
	s_xor_b64 s[28:29], exec, s[44:45]
	s_cbranch_execz .LBB8_3795
; %bb.3794:                             ;   in Loop: Header=BB8_3783 Depth=2
	s_waitcnt lgkmcnt(0)
	ds_write_b32 v0, v4
	s_trap 2
	buffer_load_dword v4, off, s[0:3], s33 offset:132 ; 4-byte Folded Reload
	s_waitcnt vmcnt(0)
	v_or_b32_e32 v4, 64, v4
	buffer_store_dword v4, off, s[0:3], s33 offset:132 ; 4-byte Folded Spill
.LBB8_3795:                             ;   in Loop: Header=BB8_3783 Depth=2
	s_or_b64 exec, exec, s[28:29]
.LBB8_3796:                             ;   in Loop: Header=BB8_3783 Depth=2
	s_or_b64 exec, exec, s[88:89]
	;;#ASMSTART
	s_wakeup
	;;#ASMEND
	buffer_load_dword v4, off, s[0:3], s33 offset:132 ; 4-byte Folded Reload
	s_waitcnt vmcnt(0)
	v_and_b32_e32 v4, 0x108, v4
	v_cmp_ne_u32_e32 vcc, s46, v4
	buffer_load_dword v4, off, s[0:3], s33 offset:160 ; 4-byte Folded Reload
	buffer_load_dword v5, off, s[0:3], s33 offset:164 ; 4-byte Folded Reload
	s_waitcnt vmcnt(0)
	v_and_b32_e32 v8, 7, v4
	s_and_saveexec_b64 s[28:29], vcc
	s_xor_b64 s[28:29], exec, s[28:29]
                                        ; implicit-def: $vgpr9
; %bb.3797:                             ;   in Loop: Header=BB8_3783 Depth=2
	v_mov_b32_e32 v9, v2
; %bb.3798:                             ;   in Loop: Header=BB8_3783 Depth=2
	s_andn2_saveexec_b64 s[28:29], s[28:29]
	s_cbranch_execz .LBB8_3800
; %bb.3799:                             ;   in Loop: Header=BB8_3783 Depth=2
	buffer_load_dword v4, off, s[0:3], s33 offset:216 ; 4-byte Folded Reload
	buffer_load_dword v5, off, s[0:3], s33 offset:220 ; 4-byte Folded Reload
	;; [unrolled: 1-line block ×4, first 2 shown]
	v_ashrrev_i32_e32 v30, 31, v29
	s_waitcnt vmcnt(0)
	v_lshlrev_b64 v[6:7], 1, v[29:30]
	v_mov_b32_e32 v9, v2
	v_mad_u64_u32 v[4:5], s[44:45], v8, 24, v[4:5]
	flat_store_dwordx2 v[4:5], v[6:7] offset:8
.LBB8_3800:                             ;   in Loop: Header=BB8_3783 Depth=2
	s_or_b64 exec, exec, s[28:29]
	buffer_load_dword v4, off, s[0:3], s33 offset:132 ; 4-byte Folded Reload
	s_mov_b64 s[28:29], -1
	s_waitcnt vmcnt(0)
	v_and_b32_e32 v4, 0x100, v4
	v_cmp_ne_u32_e32 vcc, 0, v4
                                        ; implicit-def: $vgpr4_vgpr5
	s_and_saveexec_b64 s[88:89], vcc
	s_cbranch_execz .LBB8_3804
; %bb.3801:                             ;   in Loop: Header=BB8_3783 Depth=2
	buffer_load_dword v4, off, s[0:3], s33 offset:216 ; 4-byte Folded Reload
	buffer_load_dword v5, off, s[0:3], s33 offset:220 ; 4-byte Folded Reload
	;; [unrolled: 1-line block ×4, first 2 shown]
	s_waitcnt vmcnt(0)
	v_mad_u64_u32 v[6:7], s[28:29], v8, 24, v[4:5]
	v_mov_b32_e32 v4, v7
	v_mad_u64_u32 v[4:5], s[28:29], v9, 24, v[4:5]
	v_mov_b32_e32 v7, v4
	flat_load_dword v4, v[6:7]
	s_waitcnt vmcnt(0) lgkmcnt(0)
	v_cmp_ne_u32_e32 vcc, 1, v4
	v_cmp_eq_u32_e64 s[28:29], 1, v4
                                        ; implicit-def: $vgpr4_vgpr5
	s_and_saveexec_b64 s[90:91], s[28:29]
	s_cbranch_execz .LBB8_3803
; %bb.3802:                             ;   in Loop: Header=BB8_3783 Depth=2
	flat_load_dword v4, v[6:7] offset:4 glc
	s_waitcnt vmcnt(0) lgkmcnt(0)
	v_ashrrev_i32_e32 v5, 31, v4
	v_lshrrev_b64 v[4:5], 1, v[4:5]
.LBB8_3803:                             ;   in Loop: Header=BB8_3783 Depth=2
	s_or_b64 exec, exec, s[90:91]
	s_orn2_b64 s[28:29], vcc, exec
.LBB8_3804:                             ;   in Loop: Header=BB8_3783 Depth=2
	s_or_b64 exec, exec, s[88:89]
	s_and_saveexec_b64 s[88:89], s[28:29]
	s_cbranch_execz .LBB8_3806
; %bb.3805:                             ;   in Loop: Header=BB8_3783 Depth=2
	buffer_load_dword v4, off, s[0:3], s33 offset:256 ; 4-byte Folded Reload
	buffer_load_dword v5, off, s[0:3], s33 offset:268 ; 4-byte Folded Reload
	s_waitcnt vmcnt(0)
	v_mul_lo_u32 v6, v9, v4
	v_mul_lo_u32 v7, v8, v5
	v_mad_u64_u32 v[4:5], s[28:29], v8, v4, 0
	v_add3_u32 v5, v5, v7, v6
.LBB8_3806:                             ;   in Loop: Header=BB8_3783 Depth=2
	s_or_b64 exec, exec, s[88:89]
	buffer_load_dword v7, off, s[0:3], s33 offset:208 ; 4-byte Folded Reload
	buffer_load_dword v8, off, s[0:3], s33 offset:212 ; 4-byte Folded Reload
	v_cmp_eq_u32_e32 vcc, 0, v3
	v_mov_b32_e32 v3, 0x90
	v_mov_b32_e32 v6, 0xd0
	v_cndmask_b32_e32 v6, v6, v3, vcc
	v_lshlrev_b64 v[3:4], 1, v[4:5]
	v_add_u32_e32 v5, v0, v6
	s_waitcnt vmcnt(0)
	v_add_co_u32_e32 v3, vcc, v7, v3
	v_addc_co_u32_e32 v4, vcc, v8, v4, vcc
	ds_write_b64 v5, v[3:4] offset:584
	buffer_load_dword v3, off, s[0:3], s33 offset:132 ; 4-byte Folded Reload
	s_waitcnt vmcnt(0)
	v_and_b32_e32 v3, 0x2000, v3
	v_cmp_ne_u32_e32 vcc, 0, v3
	s_and_saveexec_b64 s[28:29], vcc
	s_cbranch_execz .LBB8_3808
; %bb.3807:                             ;   in Loop: Header=BB8_3783 Depth=2
	ds_read_b64 v[3:4], v0 offset:872
	s_waitcnt lgkmcnt(0)
	v_add_co_u32_e32 v3, vcc, 1, v3
	v_addc_co_u32_e32 v4, vcc, 0, v4, vcc
	ds_write_b64 v0, v[3:4] offset:872
.LBB8_3808:                             ;   in Loop: Header=BB8_3783 Depth=2
	s_or_b64 exec, exec, s[28:29]
	buffer_store_dword v0, off, s[0:3], s33 offset:160 ; 4-byte Folded Spill
	s_nop 0
	buffer_store_dword v1, off, s[0:3], s33 offset:164 ; 4-byte Folded Spill
.LBB8_3809:                             ;   in Loop: Header=BB8_3783 Depth=2
	s_or_b64 exec, exec, s[78:79]
	s_xor_b64 s[28:29], s[76:77], -1
	s_and_b64 s[28:29], exec, s[28:29]
	s_or_b64 s[42:43], s[28:29], s[42:43]
	s_and_saveexec_b64 s[28:29], s[10:11]
	s_cbranch_execz .LBB8_3828
; %bb.3810:                             ;   in Loop: Header=BB8_3783 Depth=2
	s_and_saveexec_b64 s[44:45], s[56:57]
	s_xor_b64 s[76:77], exec, s[44:45]
	s_cbranch_execz .LBB8_3825
; %bb.3811:                             ;   in Loop: Header=BB8_3783 Depth=2
	s_and_saveexec_b64 s[78:79], s[16:17]
	s_cbranch_execz .LBB8_3824
; %bb.3812:                             ;   in Loop: Header=BB8_3783 Depth=2
	s_mov_b64 s[90:91], exec
	v_mbcnt_lo_u32_b32 v0, s90, 0
	v_mbcnt_hi_u32_b32 v0, s91, v0
	v_cmp_eq_u32_e32 vcc, 0, v0
	s_waitcnt vmcnt(0) lgkmcnt(0)
	buffer_wbinvl1_vol
	s_and_saveexec_b64 s[88:89], vcc
	s_cbranch_execz .LBB8_3814
; %bb.3813:                             ;   in Loop: Header=BB8_3783 Depth=2
	s_bcnt1_i32_b64 s44, s[90:91]
	v_mov_b32_e32 v0, s44
	v_mov_b32_e32 v1, v2
	ds_add_u64 v0, v[0:1]
	s_trap 2
.LBB8_3814:                             ;   in Loop: Header=BB8_3783 Depth=2
	s_or_b64 exec, exec, s[88:89]
	s_trap 2
	ds_read_b64 v[0:1], v0
	s_waitcnt lgkmcnt(0)
	buffer_load_dword v3, off, s[0:3], s33 offset:128 ; 4-byte Folded Reload
	buffer_load_dword v4, off, s[0:3], s33 offset:144 ; 4-byte Folded Reload
	buffer_load_dword v5, off, s[0:3], s33 offset:148 ; 4-byte Folded Reload
	s_waitcnt vmcnt(1)
	v_add_co_u32_e32 v4, vcc, v4, v3
	s_waitcnt vmcnt(0)
	v_addc_co_u32_e32 v5, vcc, 0, v5, vcc
	buffer_store_dword v4, off, s[0:3], s33 offset:144 ; 4-byte Folded Spill
	s_nop 0
	buffer_store_dword v5, off, s[0:3], s33 offset:148 ; 4-byte Folded Spill
	v_cmp_lt_u64_e32 vcc, v[0:1], v[4:5]
	s_and_saveexec_b64 s[88:89], vcc
	s_cbranch_execz .LBB8_3823
; %bb.3815:                             ;   in Loop: Header=BB8_3783 Depth=2
	s_mov_b32 s44, 0
	s_mov_b64 s[90:91], 0
                                        ; implicit-def: $sgpr92_sgpr93
                                        ; implicit-def: $sgpr94_sgpr95
	s_branch .LBB8_3817
.LBB8_3816:                             ;   in Loop: Header=BB8_3817 Depth=3
	s_or_b64 exec, exec, s[34:35]
	s_and_b64 vcc, exec, vcc
	s_or_b64 s[90:91], vcc, s[90:91]
	s_andn2_b64 s[92:93], s[92:93], exec
	s_and_b64 vcc, s[94:95], exec
	s_or_b64 s[92:93], s[92:93], vcc
	s_andn2_b64 exec, exec, s[90:91]
	s_cbranch_execz .LBB8_3821
.LBB8_3817:                             ;   Parent Loop BB8_47 Depth=1
                                        ;     Parent Loop BB8_3783 Depth=2
                                        ; =>    This Inner Loop Header: Depth=3
	s_add_i32 s44, s44, 1
	s_cmpk_lg_i32 s44, 0x2710
	s_cselect_b64 s[30:31], -1, 0
	s_and_b64 vcc, exec, s[30:31]
	s_cbranch_vccz .LBB8_3819
; %bb.3818:                             ;   in Loop: Header=BB8_3817 Depth=3
	s_mov_b64 vcc, -1
	s_or_b64 s[94:95], s[94:95], exec
	s_and_saveexec_b64 s[34:35], s[30:31]
	s_cbranch_execz .LBB8_3816
	s_branch .LBB8_3820
.LBB8_3819:                             ;   in Loop: Header=BB8_3817 Depth=3
	s_trap 2
	ds_read_b64 v[0:1], v0
	s_andn2_b64 s[30:31], s[30:31], exec
	s_mov_b32 s44, 0
	s_waitcnt vmcnt(0) lgkmcnt(0)
	flat_load_dword v0, v[0:1] glc
	s_waitcnt vmcnt(0) lgkmcnt(0)
	buffer_wbinvl1_vol
	v_cmp_eq_u32_e32 vcc, 0, v0
	s_and_b64 vcc, vcc, exec
	s_or_b64 s[30:31], s[30:31], vcc
	s_mov_b64 vcc, -1
	s_or_b64 s[94:95], s[94:95], exec
	s_and_saveexec_b64 s[34:35], s[30:31]
	s_cbranch_execz .LBB8_3816
.LBB8_3820:                             ;   in Loop: Header=BB8_3817 Depth=3
	s_sleep 1
	s_trap 2
	ds_read_b64 v[0:1], v0
	s_waitcnt lgkmcnt(0)
	buffer_load_dword v3, off, s[0:3], s33 offset:144 ; 4-byte Folded Reload
	buffer_load_dword v4, off, s[0:3], s33 offset:148 ; 4-byte Folded Reload
	s_andn2_b64 s[94:95], s[94:95], exec
	s_waitcnt vmcnt(0)
	v_cmp_ge_u64_e32 vcc, v[0:1], v[3:4]
	s_orn2_b64 vcc, vcc, exec
	s_branch .LBB8_3816
.LBB8_3821:                             ;   in Loop: Header=BB8_3783 Depth=2
	s_or_b64 exec, exec, s[90:91]
	s_and_saveexec_b64 s[44:45], s[92:93]
	s_xor_b64 s[44:45], exec, s[44:45]
	s_cbranch_execz .LBB8_3823
; %bb.3822:                             ;   in Loop: Header=BB8_3783 Depth=2
	v_mov_b32_e32 v0, 1
	ds_write_b32 v0, v0
	s_trap 2
.LBB8_3823:                             ;   in Loop: Header=BB8_3783 Depth=2
	s_or_b64 exec, exec, s[88:89]
	;;#ASMSTART
	s_wakeup
	;;#ASMEND
.LBB8_3824:                             ;   in Loop: Header=BB8_3783 Depth=2
	s_or_b64 exec, exec, s[78:79]
.LBB8_3825:                             ;   in Loop: Header=BB8_3783 Depth=2
	s_andn2_saveexec_b64 s[76:77], s[76:77]
	s_cbranch_execz .LBB8_3827
; %bb.3826:                             ;   in Loop: Header=BB8_3783 Depth=2
	s_waitcnt vmcnt(0) lgkmcnt(0)
	buffer_wbinvl1_vol
	s_barrier
.LBB8_3827:                             ;   in Loop: Header=BB8_3783 Depth=2
	s_or_b64 exec, exec, s[76:77]
.LBB8_3828:                             ;   in Loop: Header=BB8_3783 Depth=2
	s_or_b64 exec, exec, s[28:29]
	buffer_load_dword v0, off, s[0:3], s33 offset:132 ; 4-byte Folded Reload
	s_waitcnt vmcnt(0)
	v_and_b32_e32 v0, 16, v0
	s_and_saveexec_b64 s[28:29], s[24:25]
	s_xor_b64 s[28:29], exec, s[28:29]
	s_cbranch_execz .LBB8_3832
; %bb.3829:                             ;   in Loop: Header=BB8_3783 Depth=2
	s_trap 2
	buffer_load_dword v1, off, s[0:3], s33 offset:132 ; 4-byte Folded Reload
	ds_read_b32 v0, v0
	v_cmp_lt_i32_e32 vcc, 0, v29
	s_waitcnt lgkmcnt(0)
	v_readfirstlane_b32 s44, v0
	s_cmp_eq_u32 s44, 0
	s_cselect_b64 s[44:45], -1, 0
	s_and_b64 s[44:45], vcc, s[44:45]
	s_waitcnt vmcnt(0)
	v_and_b32_e32 v0, 16, v1
	v_and_b32_e32 v1, 16, v1
	v_cmp_ne_u32_e32 vcc, 0, v1
	s_and_b64 s[44:45], vcc, s[44:45]
	s_and_saveexec_b64 s[76:77], s[44:45]
	s_cbranch_execz .LBB8_3831
; %bb.3830:                             ;   in Loop: Header=BB8_3783 Depth=2
	v_mov_b32_e32 v0, 1
	buffer_wbinvl1_vol
.LBB8_3831:                             ;   in Loop: Header=BB8_3783 Depth=2
	s_or_b64 exec, exec, s[76:77]
.LBB8_3832:                             ;   in Loop: Header=BB8_3783 Depth=2
	s_andn2_saveexec_b64 s[28:29], s[28:29]
	s_cbranch_execz .LBB8_3851
; %bb.3833:                             ;   in Loop: Header=BB8_3783 Depth=2
	s_and_saveexec_b64 s[44:45], s[56:57]
	s_xor_b64 s[76:77], exec, s[44:45]
	s_cbranch_execz .LBB8_3848
; %bb.3834:                             ;   in Loop: Header=BB8_3783 Depth=2
	s_and_saveexec_b64 s[78:79], s[16:17]
	s_cbranch_execz .LBB8_3847
; %bb.3835:                             ;   in Loop: Header=BB8_3783 Depth=2
	s_mov_b64 s[90:91], exec
	v_mbcnt_lo_u32_b32 v1, s90, 0
	v_mbcnt_hi_u32_b32 v1, s91, v1
	v_cmp_eq_u32_e32 vcc, 0, v1
	;;#ASMSTART
	s_waitcnt lgkmcnt(0) vmcnt(0)
	;;#ASMEND
	s_and_saveexec_b64 s[88:89], vcc
	s_cbranch_execz .LBB8_3837
; %bb.3836:                             ;   in Loop: Header=BB8_3783 Depth=2
	s_bcnt1_i32_b64 s44, s[90:91]
	v_mov_b32_e32 v3, s44
	v_mov_b32_e32 v4, v2
	s_waitcnt lgkmcnt(0)
	ds_add_u64 v0, v[3:4]
	s_trap 2
.LBB8_3837:                             ;   in Loop: Header=BB8_3783 Depth=2
	s_or_b64 exec, exec, s[88:89]
	s_trap 2
	ds_read_b64 v[3:4], v0
	s_waitcnt lgkmcnt(0)
	buffer_load_dword v1, off, s[0:3], s33 offset:128 ; 4-byte Folded Reload
	buffer_load_dword v5, off, s[0:3], s33 offset:144 ; 4-byte Folded Reload
	;; [unrolled: 1-line block ×3, first 2 shown]
	s_waitcnt vmcnt(1)
	v_add_co_u32_e32 v5, vcc, v5, v1
	s_waitcnt vmcnt(0)
	v_addc_co_u32_e32 v6, vcc, 0, v6, vcc
	buffer_store_dword v5, off, s[0:3], s33 offset:144 ; 4-byte Folded Spill
	s_nop 0
	buffer_store_dword v6, off, s[0:3], s33 offset:148 ; 4-byte Folded Spill
	v_cmp_lt_u64_e32 vcc, v[3:4], v[5:6]
	s_and_saveexec_b64 s[88:89], vcc
	s_cbranch_execz .LBB8_3846
; %bb.3838:                             ;   in Loop: Header=BB8_3783 Depth=2
	s_mov_b32 s44, 0
	s_mov_b64 s[90:91], 0
                                        ; implicit-def: $sgpr92_sgpr93
                                        ; implicit-def: $sgpr94_sgpr95
	s_branch .LBB8_3840
.LBB8_3839:                             ;   in Loop: Header=BB8_3840 Depth=3
	s_or_b64 exec, exec, s[34:35]
	s_and_b64 vcc, exec, vcc
	s_or_b64 s[90:91], vcc, s[90:91]
	s_andn2_b64 s[92:93], s[92:93], exec
	s_and_b64 vcc, s[94:95], exec
	s_or_b64 s[92:93], s[92:93], vcc
	s_andn2_b64 exec, exec, s[90:91]
	s_cbranch_execz .LBB8_3844
.LBB8_3840:                             ;   Parent Loop BB8_47 Depth=1
                                        ;     Parent Loop BB8_3783 Depth=2
                                        ; =>    This Inner Loop Header: Depth=3
	s_add_i32 s44, s44, 1
	s_cmpk_lg_i32 s44, 0x2710
	s_cselect_b64 s[30:31], -1, 0
	s_and_b64 vcc, exec, s[30:31]
	s_cbranch_vccz .LBB8_3842
; %bb.3841:                             ;   in Loop: Header=BB8_3840 Depth=3
	s_mov_b64 vcc, -1
	s_or_b64 s[94:95], s[94:95], exec
	s_and_saveexec_b64 s[34:35], s[30:31]
	s_cbranch_execz .LBB8_3839
	s_branch .LBB8_3843
.LBB8_3842:                             ;   in Loop: Header=BB8_3840 Depth=3
	s_trap 2
	ds_read_b64 v[3:4], v0
	s_andn2_b64 s[30:31], s[30:31], exec
	s_mov_b32 s44, 0
	s_waitcnt vmcnt(0) lgkmcnt(0)
	flat_load_dword v1, v[3:4] glc
	s_waitcnt vmcnt(0) lgkmcnt(0)
	buffer_wbinvl1_vol
	v_cmp_eq_u32_e32 vcc, 0, v1
	s_and_b64 vcc, vcc, exec
	s_or_b64 s[30:31], s[30:31], vcc
	s_mov_b64 vcc, -1
	s_or_b64 s[94:95], s[94:95], exec
	s_and_saveexec_b64 s[34:35], s[30:31]
	s_cbranch_execz .LBB8_3839
.LBB8_3843:                             ;   in Loop: Header=BB8_3840 Depth=3
	s_sleep 1
	s_trap 2
	ds_read_b64 v[3:4], v0
	s_waitcnt lgkmcnt(0)
	buffer_load_dword v5, off, s[0:3], s33 offset:144 ; 4-byte Folded Reload
	buffer_load_dword v6, off, s[0:3], s33 offset:148 ; 4-byte Folded Reload
	s_andn2_b64 s[94:95], s[94:95], exec
	s_waitcnt vmcnt(0)
	v_cmp_ge_u64_e32 vcc, v[3:4], v[5:6]
	s_orn2_b64 vcc, vcc, exec
	s_branch .LBB8_3839
.LBB8_3844:                             ;   in Loop: Header=BB8_3783 Depth=2
	s_or_b64 exec, exec, s[90:91]
	s_and_saveexec_b64 s[44:45], s[92:93]
	s_xor_b64 s[44:45], exec, s[44:45]
	s_cbranch_execz .LBB8_3846
; %bb.3845:                             ;   in Loop: Header=BB8_3783 Depth=2
	v_mov_b32_e32 v1, 1
	ds_write_b32 v0, v1
	s_trap 2
.LBB8_3846:                             ;   in Loop: Header=BB8_3783 Depth=2
	s_or_b64 exec, exec, s[88:89]
	;;#ASMSTART
	s_wakeup
	;;#ASMEND
.LBB8_3847:                             ;   in Loop: Header=BB8_3783 Depth=2
	s_or_b64 exec, exec, s[78:79]
.LBB8_3848:                             ;   in Loop: Header=BB8_3783 Depth=2
	s_andn2_saveexec_b64 s[76:77], s[76:77]
	s_cbranch_execz .LBB8_3850
; %bb.3849:                             ;   in Loop: Header=BB8_3783 Depth=2
	;;#ASMSTART
	s_waitcnt lgkmcnt(0) vmcnt(0)
	;;#ASMEND
	s_waitcnt vmcnt(0) lgkmcnt(0)
	s_barrier
.LBB8_3850:                             ;   in Loop: Header=BB8_3783 Depth=2
	s_or_b64 exec, exec, s[76:77]
.LBB8_3851:                             ;   in Loop: Header=BB8_3783 Depth=2
	s_or_b64 exec, exec, s[28:29]
	v_cmp_ne_u32_e32 vcc, 0, v0
	s_xor_b64 s[28:29], s[12:13], -1
	s_and_b64 s[44:45], vcc, s[28:29]
	s_and_saveexec_b64 s[28:29], s[44:45]
	s_cbranch_execz .LBB8_3853
; %bb.3852:                             ;   in Loop: Header=BB8_3783 Depth=2
	buffer_load_dword v0, off, s[0:3], s33 offset:232 ; 4-byte Folded Reload
	buffer_load_dword v1, off, s[0:3], s33 offset:236 ; 4-byte Folded Reload
	v_mov_b32_e32 v3, 1
	s_waitcnt vmcnt(0)
	flat_store_dword v[0:1], v3
.LBB8_3853:                             ;   in Loop: Header=BB8_3783 Depth=2
	s_or_b64 exec, exec, s[28:29]
	buffer_load_dword v0, off, s[0:3], s33 offset:132 ; 4-byte Folded Reload
	s_waitcnt vmcnt(0)
	v_and_b32_e32 v0, 48, v0
	v_cmp_ne_u32_e32 vcc, 0, v0
	s_and_saveexec_b64 s[28:29], vcc
	s_cbranch_execz .LBB8_3782
; %bb.3854:                             ;   in Loop: Header=BB8_3783 Depth=2
	buffer_load_dword v0, off, s[0:3], s33 offset:160 ; 4-byte Folded Reload
	buffer_load_dword v1, off, s[0:3], s33 offset:164 ; 4-byte Folded Reload
	s_waitcnt vmcnt(0)
	v_add_co_u32_e32 v0, vcc, 2, v0
	v_addc_co_u32_e32 v1, vcc, 0, v1, vcc
	buffer_store_dword v0, off, s[0:3], s33 offset:160 ; 4-byte Folded Spill
	s_nop 0
	buffer_store_dword v1, off, s[0:3], s33 offset:164 ; 4-byte Folded Spill
	flat_store_dwordx2 v[40:41], v[0:1]
	s_branch .LBB8_3782
.LBB8_3855:                             ;   in Loop: Header=BB8_47 Depth=1
	s_or_b64 exec, exec, s[78:79]
	s_or_b64 exec, exec, s[76:77]
	v_cmp_gt_i32_e32 vcc, 2, v3
	s_and_saveexec_b64 s[40:41], vcc
	s_cbranch_execnz .LBB8_3781
.LBB8_3856:                             ;   in Loop: Header=BB8_47 Depth=1
	s_or_b64 exec, exec, s[40:41]
	s_and_b64 vcc, exec, s[26:27]
	s_cbranch_vccz .LBB8_3858
	s_branch .LBB8_4180
.LBB8_3857:                             ;   in Loop: Header=BB8_47 Depth=1
	s_or_b64 exec, exec, s[42:43]
	s_or_b64 exec, exec, s[40:41]
	s_and_b64 vcc, exec, s[26:27]
	s_cbranch_vccnz .LBB8_4180
.LBB8_3858:                             ;   in Loop: Header=BB8_47 Depth=1
	s_mov_b32 s47, 1
.LBB8_3859:                             ;   Parent Loop BB8_47 Depth=1
                                        ; =>  This Loop Header: Depth=2
                                        ;       Child Loop BB8_3862 Depth 3
                                        ;         Child Loop BB8_3870 Depth 4
                                        ;         Child Loop BB8_3898 Depth 4
                                        ;         Child Loop BB8_3917 Depth 4
                                        ;         Child Loop BB8_3940 Depth 4
                                        ;         Child Loop BB8_3958 Depth 4
                                        ;           Child Loop BB8_3960 Depth 5
                                        ;           Child Loop BB8_3965 Depth 5
                                        ;         Child Loop BB8_3971 Depth 4
                                        ;         Child Loop BB8_3979 Depth 4
	;; [unrolled: 1-line block ×3, first 2 shown]
                                        ;           Child Loop BB8_3991 Depth 5
                                        ;           Child Loop BB8_3996 Depth 5
                                        ;         Child Loop BB8_4000 Depth 4
                                        ;         Child Loop BB8_4012 Depth 4
	;; [unrolled: 1-line block ×7, first 2 shown]
                                        ;       Child Loop BB8_4104 Depth 3
                                        ;         Child Loop BB8_4110 Depth 4
                                        ;         Child Loop BB8_4138 Depth 4
	;; [unrolled: 1-line block ×3, first 2 shown]
	buffer_load_dword v5, off, s[0:3], s33 offset:364 ; 4-byte Folded Reload
	buffer_load_dword v6, off, s[0:3], s33 offset:368 ; 4-byte Folded Reload
	s_sub_i32 s26, s66, s47
	s_cmp_ge_i32 s26, s52
	s_cselect_b32 s27, s52, 0
	s_sub_i32 s26, s26, s27
	s_ashr_i32 s28, s26, 31
	v_mov_b32_e32 v28, 0
	s_waitcnt vmcnt(0)
	v_mul_lo_u32 v1, v5, s28
	v_mul_lo_u32 v0, v6, s26
	v_mad_u64_u32 v[3:4], s[26:27], v5, s26, 0
	v_add3_u32 v4, v4, v1, v0
	buffer_load_dword v0, off, s[0:3], s33 offset:356 ; 4-byte Folded Reload
	buffer_load_dword v1, off, s[0:3], s33 offset:360 ; 4-byte Folded Reload
	s_waitcnt vmcnt(0)
	v_sub_co_u32_e32 v0, vcc, v0, v3
	v_subb_co_u32_e32 v1, vcc, v1, v4, vcc
	v_cmp_lt_i64_e32 vcc, v[5:6], v[0:1]
	v_cndmask_b32_e32 v1, v0, v5, vcc
	v_max_i32_e32 v5, 0, v1
	v_add_u32_e32 v0, 31, v5
	v_lshrrev_b32_e32 v0, 1, v0
	v_and_b32_e32 v0, 0x3ffffff0, v0
	v_cmp_lt_i32_e32 vcc, 0, v1
	v_max_i32_e32 v0, s69, v0
	s_and_b64 s[26:27], s[72:73], vcc
	v_mov_b32_e32 v1, 0
	s_and_saveexec_b64 s[42:43], s[26:27]
	s_cbranch_execz .LBB8_4101
; %bb.3860:                             ;   in Loop: Header=BB8_3859 Depth=2
	buffer_load_dword v6, off, s[0:3], s33 offset:292 ; 4-byte Folded Reload
	buffer_load_dword v7, off, s[0:3], s33 offset:296 ; 4-byte Folded Reload
	s_mov_b32 s75, 1
	s_mov_b64 s[78:79], -1
	v_mov_b32_e32 v28, 0
	s_mov_b64 s[76:77], 0
	s_waitcnt vmcnt(0)
	v_add_co_u32_e32 v3, vcc, v3, v6
	v_addc_co_u32_e32 v4, vcc, v4, v7, vcc
	v_lshlrev_b64 v[44:45], 1, v[3:4]
	s_branch .LBB8_3862
.LBB8_3861:                             ;   in Loop: Header=BB8_3862 Depth=3
	s_or_b64 exec, exec, s[26:27]
	v_add_u32_e32 v28, v0, v28
	v_cmp_ge_i32_e32 vcc, v28, v5
	s_xor_b64 s[26:27], s[78:79], -1
	s_or_b64 s[26:27], s[26:27], vcc
	s_and_b64 s[26:27], exec, s[26:27]
	s_or_b64 s[76:77], s[26:27], s[76:77]
	s_mov_b64 s[78:79], 0
	v_mov_b32_e32 v1, s75
	s_mov_b32 s75, 2
	s_andn2_b64 exec, exec, s[76:77]
	s_cbranch_execz .LBB8_4176
.LBB8_3862:                             ;   Parent Loop BB8_47 Depth=1
                                        ;     Parent Loop BB8_3859 Depth=2
                                        ; =>    This Loop Header: Depth=3
                                        ;         Child Loop BB8_3870 Depth 4
                                        ;         Child Loop BB8_3898 Depth 4
                                        ;         Child Loop BB8_3917 Depth 4
                                        ;         Child Loop BB8_3940 Depth 4
                                        ;         Child Loop BB8_3958 Depth 4
                                        ;           Child Loop BB8_3960 Depth 5
                                        ;           Child Loop BB8_3965 Depth 5
                                        ;         Child Loop BB8_3971 Depth 4
                                        ;         Child Loop BB8_3979 Depth 4
	;; [unrolled: 1-line block ×3, first 2 shown]
                                        ;           Child Loop BB8_3991 Depth 5
                                        ;           Child Loop BB8_3996 Depth 5
                                        ;         Child Loop BB8_4000 Depth 4
                                        ;         Child Loop BB8_4012 Depth 4
	;; [unrolled: 1-line block ×7, first 2 shown]
	s_and_saveexec_b64 s[26:27], s[4:5]
	s_cbranch_execz .LBB8_3864
; %bb.3863:                             ;   in Loop: Header=BB8_3862 Depth=3
	s_trap 2
	ds_read_b128 v[6:9], v0
	v_ashrrev_i32_e32 v29, 31, v28
	v_lshlrev_b64 v[3:4], 1, v[28:29]
	s_waitcnt lgkmcnt(0)
	v_add_co_u32_e32 v1, vcc, v6, v44
	v_addc_co_u32_e32 v7, vcc, v7, v45, vcc
	v_add_co_u32_e32 v6, vcc, v1, v3
	v_addc_co_u32_e32 v7, vcc, v7, v4, vcc
	v_add_co_u32_e32 v1, vcc, v8, v44
	ds_write_b64 v0, v[6:7]
	v_addc_co_u32_e32 v6, vcc, v9, v45, vcc
	v_add_co_u32_e32 v1, vcc, v1, v3
	v_addc_co_u32_e32 v3, vcc, v6, v4, vcc
	v_cmp_ne_u64_e32 vcc, 0, v[8:9]
	v_cndmask_b32_e32 v4, 0, v3, vcc
	v_cndmask_b32_e32 v3, 0, v1, vcc
	ds_write_b64 v0, v[3:4]
.LBB8_3864:                             ;   in Loop: Header=BB8_3862 Depth=3
	s_or_b64 exec, exec, s[26:27]
	v_sub_u32_e32 v1, v5, v28
	v_min_i32_e32 v0, v0, v1
	buffer_load_dword v1, off, s[0:3], s33 offset:132 ; 4-byte Folded Reload
	s_waitcnt vmcnt(0)
	v_and_b32_e32 v1, 12, v1
	v_cmp_ne_u32_e32 vcc, 0, v1
	s_and_saveexec_b64 s[28:29], vcc
	s_cbranch_execz .LBB8_3890
; %bb.3865:                             ;   in Loop: Header=BB8_3862 Depth=3
	buffer_load_dword v1, off, s[0:3], s33 offset:132 ; 4-byte Folded Reload
	buffer_load_dword v6, off, s[0:3], s33 offset:160 ; 4-byte Folded Reload
	;; [unrolled: 1-line block ×3, first 2 shown]
	s_waitcnt vmcnt(0)
	v_and_b32_e32 v12, 8, v1
	s_waitcnt lgkmcnt(0)
	v_add_co_u32_e32 v3, vcc, v46, v12
	v_addc_co_u32_e32 v4, vcc, 0, v47, vcc
	v_add_co_u32_e32 v6, vcc, 2, v6
	v_addc_co_u32_e32 v7, vcc, 0, v7, vcc
	v_cmp_lt_u64_e32 vcc, v[3:4], v[6:7]
	s_and_saveexec_b64 s[40:41], vcc
	s_cbranch_execz .LBB8_3877
; %bb.3866:                             ;   in Loop: Header=BB8_3862 Depth=3
	buffer_load_dword v1, off, s[0:3], s33 offset:132 ; 4-byte Folded Reload
	s_mov_b32 s44, 0
	s_mov_b64 s[88:89], 0
                                        ; implicit-def: $sgpr90_sgpr91
                                        ; implicit-def: $sgpr92_sgpr93
                                        ; implicit-def: $sgpr94_sgpr95
	s_waitcnt vmcnt(0)
	v_and_b32_e32 v1, 64, v1
	v_cmp_eq_u32_e32 vcc, 0, v1
	s_branch .LBB8_3870
.LBB8_3867:                             ;   in Loop: Header=BB8_3870 Depth=4
	s_waitcnt vmcnt(0) lgkmcnt(0)
	v_add_co_u32_e64 v3, s[26:27], v46, v12
	v_addc_co_u32_e64 v4, s[26:27], 0, v47, s[26:27]
	v_cmp_ge_u64_e64 s[26:27], v[3:4], v[6:7]
	s_or_b64 s[36:37], s[36:37], exec
	s_orn2_b64 s[34:35], s[26:27], exec
.LBB8_3868:                             ;   in Loop: Header=BB8_3870 Depth=4
	s_or_b64 exec, exec, s[48:49]
	s_andn2_b64 s[26:27], s[94:95], exec
	s_and_b64 s[94:95], s[36:37], exec
	s_or_b64 s[94:95], s[26:27], s[94:95]
	s_andn2_b64 s[26:27], s[92:93], exec
	s_and_b64 s[92:93], s[34:35], exec
	s_or_b64 s[92:93], s[26:27], s[92:93]
.LBB8_3869:                             ;   in Loop: Header=BB8_3870 Depth=4
	s_or_b64 exec, exec, s[30:31]
	s_and_b64 s[26:27], exec, s[92:93]
	s_or_b64 s[88:89], s[26:27], s[88:89]
	s_andn2_b64 s[26:27], s[90:91], exec
	s_and_b64 s[90:91], s[94:95], exec
	s_or_b64 s[90:91], s[26:27], s[90:91]
	s_andn2_b64 exec, exec, s[88:89]
	s_cbranch_execz .LBB8_3874
.LBB8_3870:                             ;   Parent Loop BB8_47 Depth=1
                                        ;     Parent Loop BB8_3859 Depth=2
                                        ;       Parent Loop BB8_3862 Depth=3
                                        ; =>      This Inner Loop Header: Depth=4
	s_sleep 1
	s_waitcnt vmcnt(0) lgkmcnt(0)
	flat_load_dwordx2 v[46:47], v[40:41] glc
	s_or_b64 s[94:95], s[94:95], exec
	s_or_b64 s[92:93], s[92:93], exec
                                        ; implicit-def: $vgpr1
	s_and_saveexec_b64 s[30:31], vcc
	s_cbranch_execz .LBB8_3869
; %bb.3871:                             ;   in Loop: Header=BB8_3870 Depth=4
	s_cmpk_lt_i32 s44, 0x270f
	s_cselect_b64 s[38:39], -1, 0
	s_cmpk_gt_i32 s44, 0x270e
	s_mov_b64 s[34:35], -1
	s_cbranch_scc0 .LBB8_3873
; %bb.3872:                             ;   in Loop: Header=BB8_3870 Depth=4
	s_trap 2
	ds_read_b64 v[3:4], v0
	s_andn2_b64 s[38:39], s[38:39], exec
	s_mov_b32 s44, 0
	s_mov_b64 s[36:37], 0
	s_waitcnt vmcnt(0) lgkmcnt(0)
	flat_load_dword v1, v[3:4] glc
	s_waitcnt vmcnt(0) lgkmcnt(0)
	buffer_wbinvl1_vol
	v_cmp_eq_u32_e64 s[26:27], 0, v1
	s_and_b64 s[26:27], s[26:27], exec
	s_or_b64 s[38:39], s[38:39], s[26:27]
	s_and_saveexec_b64 s[48:49], s[38:39]
	s_cbranch_execz .LBB8_3868
	s_branch .LBB8_3867
.LBB8_3873:                             ;   in Loop: Header=BB8_3870 Depth=4
	s_add_i32 s44, s44, 1
	s_mov_b64 s[36:37], -1
                                        ; implicit-def: $vgpr1
	s_and_saveexec_b64 s[48:49], s[38:39]
	s_cbranch_execz .LBB8_3868
	s_branch .LBB8_3867
.LBB8_3874:                             ;   in Loop: Header=BB8_3862 Depth=3
	s_or_b64 exec, exec, s[88:89]
	s_xor_b64 s[26:27], s[90:91], -1
	s_and_saveexec_b64 s[44:45], s[26:27]
	s_xor_b64 s[26:27], exec, s[44:45]
	s_cbranch_execz .LBB8_3876
; %bb.3875:                             ;   in Loop: Header=BB8_3862 Depth=3
	s_waitcnt lgkmcnt(0)
	ds_write_b32 v0, v1
	s_trap 2
	buffer_load_dword v1, off, s[0:3], s33 offset:132 ; 4-byte Folded Reload
	s_waitcnt vmcnt(0)
	v_or_b32_e32 v1, 64, v1
	buffer_store_dword v1, off, s[0:3], s33 offset:132 ; 4-byte Folded Spill
.LBB8_3876:                             ;   in Loop: Header=BB8_3862 Depth=3
	s_or_b64 exec, exec, s[26:27]
.LBB8_3877:                             ;   in Loop: Header=BB8_3862 Depth=3
	s_or_b64 exec, exec, s[40:41]
	;;#ASMSTART
	s_wakeup
	;;#ASMEND
	buffer_load_dword v1, off, s[0:3], s33 offset:132 ; 4-byte Folded Reload
                                        ; implicit-def: $vgpr8_vgpr9
	s_waitcnt vmcnt(0)
	v_and_b32_e32 v1, 0x108, v1
	v_cmp_ne_u32_e32 vcc, s46, v1
	s_and_saveexec_b64 s[26:27], vcc
	s_xor_b64 s[26:27], exec, s[26:27]
	s_cbranch_execz .LBB8_3879
; %bb.3878:                             ;   in Loop: Header=BB8_3862 Depth=3
	buffer_load_dword v3, off, s[0:3], s33 offset:160 ; 4-byte Folded Reload
	buffer_load_dword v4, off, s[0:3], s33 offset:164 ; 4-byte Folded Reload
	v_mov_b32_e32 v9, v2
	s_waitcnt vmcnt(0)
	v_and_b32_e32 v8, 7, v3
                                        ; implicit-def: $vgpr3_vgpr4
                                        ; kill: killed $vgpr3_vgpr4
.LBB8_3879:                             ;   in Loop: Header=BB8_3862 Depth=3
	s_andn2_saveexec_b64 s[26:27], s[26:27]
	s_cbranch_execz .LBB8_3881
; %bb.3880:                             ;   in Loop: Header=BB8_3862 Depth=3
	buffer_load_dword v3, off, s[0:3], s33 offset:160 ; 4-byte Folded Reload
	buffer_load_dword v4, off, s[0:3], s33 offset:164 ; 4-byte Folded Reload
	;; [unrolled: 1-line block ×6, first 2 shown]
	v_ashrrev_i32_e32 v1, 31, v0
	v_lshlrev_b64 v[10:11], 1, v[0:1]
	v_mov_b32_e32 v9, v2
	s_waitcnt vmcnt(0)
	v_and_b32_e32 v8, 7, v3
	v_mad_u64_u32 v[3:4], s[40:41], v8, 24, v[13:14]
	flat_store_dwordx2 v[3:4], v[10:11] offset:8
.LBB8_3881:                             ;   in Loop: Header=BB8_3862 Depth=3
	s_or_b64 exec, exec, s[26:27]
	buffer_load_dword v1, off, s[0:3], s33 offset:132 ; 4-byte Folded Reload
	s_mov_b64 s[26:27], -1
                                        ; implicit-def: $vgpr3_vgpr4
	s_waitcnt vmcnt(0)
	v_and_b32_e32 v1, 0x100, v1
	v_cmp_ne_u32_e32 vcc, 0, v1
	s_and_saveexec_b64 s[40:41], vcc
	s_cbranch_execz .LBB8_3885
; %bb.3882:                             ;   in Loop: Header=BB8_3862 Depth=3
	buffer_load_dword v13, off, s[0:3], s33 offset:216 ; 4-byte Folded Reload
	buffer_load_dword v14, off, s[0:3], s33 offset:220 ; 4-byte Folded Reload
	;; [unrolled: 1-line block ×4, first 2 shown]
	s_waitcnt vmcnt(0)
	v_mad_u64_u32 v[10:11], s[26:27], v8, 24, v[13:14]
	v_mov_b32_e32 v1, v11
	v_mad_u64_u32 v[3:4], s[26:27], v9, 24, v[1:2]
	v_mov_b32_e32 v11, v3
	flat_load_dword v1, v[10:11]
                                        ; implicit-def: $vgpr3_vgpr4
	s_waitcnt vmcnt(0) lgkmcnt(0)
	v_cmp_ne_u32_e32 vcc, 1, v1
	v_cmp_eq_u32_e64 s[26:27], 1, v1
	s_and_saveexec_b64 s[88:89], s[26:27]
	s_cbranch_execz .LBB8_3884
; %bb.3883:                             ;   in Loop: Header=BB8_3862 Depth=3
	flat_load_dword v3, v[10:11] offset:4 glc
	s_waitcnt vmcnt(0) lgkmcnt(0)
	v_ashrrev_i32_e32 v4, 31, v3
	v_lshrrev_b64 v[3:4], 1, v[3:4]
.LBB8_3884:                             ;   in Loop: Header=BB8_3862 Depth=3
	s_or_b64 exec, exec, s[88:89]
	s_orn2_b64 s[26:27], vcc, exec
.LBB8_3885:                             ;   in Loop: Header=BB8_3862 Depth=3
	s_or_b64 exec, exec, s[40:41]
	s_and_saveexec_b64 s[40:41], s[26:27]
	s_cbranch_execz .LBB8_3887
; %bb.3886:                             ;   in Loop: Header=BB8_3862 Depth=3
	buffer_load_dword v3, off, s[0:3], s33 offset:256 ; 4-byte Folded Reload
	buffer_load_dword v4, off, s[0:3], s33 offset:268 ; 4-byte Folded Reload
	s_waitcnt vmcnt(0)
	v_mul_lo_u32 v1, v9, v3
	v_mul_lo_u32 v9, v8, v4
	v_mad_u64_u32 v[3:4], s[26:27], v8, v3, 0
	v_add3_u32 v4, v4, v9, v1
.LBB8_3887:                             ;   in Loop: Header=BB8_3862 Depth=3
	s_or_b64 exec, exec, s[40:41]
	v_cmp_eq_u32_e32 vcc, 0, v12
	v_mov_b32_e32 v1, 0xd0
	v_mov_b32_e32 v8, 0x88
	v_cndmask_b32_e32 v1, v1, v8, vcc
	buffer_load_dword v8, off, s[0:3], s33 offset:208 ; 4-byte Folded Reload
	buffer_load_dword v9, off, s[0:3], s33 offset:212 ; 4-byte Folded Reload
	v_lshlrev_b64 v[3:4], 1, v[3:4]
	v_add_u32_e32 v1, v0, v1
	s_waitcnt vmcnt(0)
	v_add_co_u32_e32 v3, vcc, v8, v3
	v_addc_co_u32_e32 v4, vcc, v9, v4, vcc
	ds_write_b64 v1, v[3:4] offset:584
	buffer_load_dword v1, off, s[0:3], s33 offset:132 ; 4-byte Folded Reload
	s_waitcnt vmcnt(0)
	v_and_b32_e32 v1, 0x2000, v1
	v_cmp_ne_u32_e32 vcc, 0, v1
	s_and_saveexec_b64 s[26:27], vcc
	s_cbranch_execz .LBB8_3889
; %bb.3888:                             ;   in Loop: Header=BB8_3862 Depth=3
	ds_read_b64 v[3:4], v0 offset:872
	s_waitcnt lgkmcnt(0)
	v_add_co_u32_e32 v3, vcc, 1, v3
	v_addc_co_u32_e32 v4, vcc, 0, v4, vcc
	ds_write_b64 v0, v[3:4] offset:872
.LBB8_3889:                             ;   in Loop: Header=BB8_3862 Depth=3
	s_or_b64 exec, exec, s[26:27]
	buffer_store_dword v6, off, s[0:3], s33 offset:160 ; 4-byte Folded Spill
	s_nop 0
	buffer_store_dword v7, off, s[0:3], s33 offset:164 ; 4-byte Folded Spill
.LBB8_3890:                             ;   in Loop: Header=BB8_3862 Depth=3
	s_or_b64 exec, exec, s[28:29]
	s_and_saveexec_b64 s[26:27], s[10:11]
	s_cbranch_execz .LBB8_3909
; %bb.3891:                             ;   in Loop: Header=BB8_3862 Depth=3
	s_and_saveexec_b64 s[28:29], s[56:57]
	s_xor_b64 s[28:29], exec, s[28:29]
	s_cbranch_execz .LBB8_3906
; %bb.3892:                             ;   in Loop: Header=BB8_3862 Depth=3
	s_and_saveexec_b64 s[40:41], s[16:17]
	s_cbranch_execz .LBB8_3905
; %bb.3893:                             ;   in Loop: Header=BB8_3862 Depth=3
	s_mov_b64 s[90:91], exec
	v_mbcnt_lo_u32_b32 v1, s90, 0
	v_mbcnt_hi_u32_b32 v1, s91, v1
	v_cmp_eq_u32_e32 vcc, 0, v1
	s_waitcnt vmcnt(0) lgkmcnt(0)
	buffer_wbinvl1_vol
	s_and_saveexec_b64 s[88:89], vcc
	s_cbranch_execz .LBB8_3895
; %bb.3894:                             ;   in Loop: Header=BB8_3862 Depth=3
	s_bcnt1_i32_b64 s44, s[90:91]
	v_mov_b32_e32 v3, s44
	v_mov_b32_e32 v4, v2
	ds_add_u64 v0, v[3:4]
	s_trap 2
.LBB8_3895:                             ;   in Loop: Header=BB8_3862 Depth=3
	s_or_b64 exec, exec, s[88:89]
	s_trap 2
	ds_read_b64 v[3:4], v0
	s_waitcnt lgkmcnt(0)
	buffer_load_dword v1, off, s[0:3], s33 offset:128 ; 4-byte Folded Reload
	buffer_load_dword v6, off, s[0:3], s33 offset:144 ; 4-byte Folded Reload
	;; [unrolled: 1-line block ×3, first 2 shown]
	s_waitcnt vmcnt(1)
	v_add_co_u32_e32 v6, vcc, v6, v1
	s_waitcnt vmcnt(0)
	v_addc_co_u32_e32 v7, vcc, 0, v7, vcc
	buffer_store_dword v6, off, s[0:3], s33 offset:144 ; 4-byte Folded Spill
	s_nop 0
	buffer_store_dword v7, off, s[0:3], s33 offset:148 ; 4-byte Folded Spill
	v_cmp_lt_u64_e32 vcc, v[3:4], v[6:7]
	s_and_saveexec_b64 s[88:89], vcc
	s_cbranch_execz .LBB8_3904
; %bb.3896:                             ;   in Loop: Header=BB8_3862 Depth=3
	s_mov_b32 s44, 0
	s_mov_b64 s[90:91], 0
                                        ; implicit-def: $sgpr92_sgpr93
                                        ; implicit-def: $sgpr94_sgpr95
	s_branch .LBB8_3898
.LBB8_3897:                             ;   in Loop: Header=BB8_3898 Depth=4
	s_or_b64 exec, exec, s[34:35]
	s_and_b64 vcc, exec, vcc
	s_or_b64 s[90:91], vcc, s[90:91]
	s_andn2_b64 s[92:93], s[92:93], exec
	s_and_b64 vcc, s[94:95], exec
	s_or_b64 s[92:93], s[92:93], vcc
	s_andn2_b64 exec, exec, s[90:91]
	s_cbranch_execz .LBB8_3902
.LBB8_3898:                             ;   Parent Loop BB8_47 Depth=1
                                        ;     Parent Loop BB8_3859 Depth=2
                                        ;       Parent Loop BB8_3862 Depth=3
                                        ; =>      This Inner Loop Header: Depth=4
	s_add_i32 s44, s44, 1
	s_cmpk_lg_i32 s44, 0x2710
	s_cselect_b64 s[30:31], -1, 0
	s_and_b64 vcc, exec, s[30:31]
	s_cbranch_vccz .LBB8_3900
; %bb.3899:                             ;   in Loop: Header=BB8_3898 Depth=4
	s_mov_b64 vcc, -1
	s_or_b64 s[94:95], s[94:95], exec
	s_and_saveexec_b64 s[34:35], s[30:31]
	s_cbranch_execz .LBB8_3897
	s_branch .LBB8_3901
.LBB8_3900:                             ;   in Loop: Header=BB8_3898 Depth=4
	s_trap 2
	ds_read_b64 v[3:4], v0
	s_andn2_b64 s[30:31], s[30:31], exec
	s_mov_b32 s44, 0
	s_waitcnt vmcnt(0) lgkmcnt(0)
	flat_load_dword v1, v[3:4] glc
	s_waitcnt vmcnt(0) lgkmcnt(0)
	buffer_wbinvl1_vol
	v_cmp_eq_u32_e32 vcc, 0, v1
	s_and_b64 vcc, vcc, exec
	s_or_b64 s[30:31], s[30:31], vcc
	s_mov_b64 vcc, -1
	s_or_b64 s[94:95], s[94:95], exec
	s_and_saveexec_b64 s[34:35], s[30:31]
	s_cbranch_execz .LBB8_3897
.LBB8_3901:                             ;   in Loop: Header=BB8_3898 Depth=4
	s_sleep 1
	s_trap 2
	ds_read_b64 v[3:4], v0
	s_waitcnt lgkmcnt(0)
	buffer_load_dword v6, off, s[0:3], s33 offset:144 ; 4-byte Folded Reload
	buffer_load_dword v7, off, s[0:3], s33 offset:148 ; 4-byte Folded Reload
	s_andn2_b64 s[94:95], s[94:95], exec
	s_waitcnt vmcnt(0)
	v_cmp_ge_u64_e32 vcc, v[3:4], v[6:7]
	s_orn2_b64 vcc, vcc, exec
	s_branch .LBB8_3897
.LBB8_3902:                             ;   in Loop: Header=BB8_3862 Depth=3
	s_or_b64 exec, exec, s[90:91]
	s_and_saveexec_b64 s[44:45], s[92:93]
	s_xor_b64 s[44:45], exec, s[44:45]
	s_cbranch_execz .LBB8_3904
; %bb.3903:                             ;   in Loop: Header=BB8_3862 Depth=3
	v_mov_b32_e32 v1, 1
	ds_write_b32 v0, v1
	s_trap 2
.LBB8_3904:                             ;   in Loop: Header=BB8_3862 Depth=3
	s_or_b64 exec, exec, s[88:89]
	;;#ASMSTART
	s_wakeup
	;;#ASMEND
.LBB8_3905:                             ;   in Loop: Header=BB8_3862 Depth=3
	s_or_b64 exec, exec, s[40:41]
.LBB8_3906:                             ;   in Loop: Header=BB8_3862 Depth=3
	s_andn2_saveexec_b64 s[28:29], s[28:29]
	s_cbranch_execz .LBB8_3908
; %bb.3907:                             ;   in Loop: Header=BB8_3862 Depth=3
	s_waitcnt vmcnt(0) lgkmcnt(0)
	buffer_wbinvl1_vol
	s_barrier
.LBB8_3908:                             ;   in Loop: Header=BB8_3862 Depth=3
	s_or_b64 exec, exec, s[28:29]
.LBB8_3909:                             ;   in Loop: Header=BB8_3862 Depth=3
	s_or_b64 exec, exec, s[26:27]
	s_trap 2
	buffer_load_dword v3, off, s[0:3], s33 offset:132 ; 4-byte Folded Reload
	ds_read_b32 v1, v0
	s_xor_b64 s[26:27], s[6:7], -1
	s_waitcnt vmcnt(0)
	v_and_b32_e32 v3, 0x4000, v3
	v_cmp_ne_u32_e32 vcc, 0, v3
	s_and_b64 s[28:29], s[26:27], vcc
	s_and_saveexec_b64 s[26:27], s[28:29]
	s_cbranch_execz .LBB8_3928
; %bb.3910:                             ;   in Loop: Header=BB8_3862 Depth=3
	s_and_saveexec_b64 s[28:29], s[56:57]
	s_xor_b64 s[28:29], exec, s[28:29]
	s_cbranch_execz .LBB8_3925
; %bb.3911:                             ;   in Loop: Header=BB8_3862 Depth=3
	s_and_saveexec_b64 s[40:41], s[16:17]
	s_cbranch_execz .LBB8_3924
; %bb.3912:                             ;   in Loop: Header=BB8_3862 Depth=3
	s_mov_b64 s[90:91], exec
	v_mbcnt_lo_u32_b32 v3, s90, 0
	v_mbcnt_hi_u32_b32 v3, s91, v3
	v_cmp_eq_u32_e32 vcc, 0, v3
	s_waitcnt lgkmcnt(0)
	buffer_wbinvl1_vol
	s_and_saveexec_b64 s[88:89], vcc
	s_cbranch_execz .LBB8_3914
; %bb.3913:                             ;   in Loop: Header=BB8_3862 Depth=3
	s_bcnt1_i32_b64 s44, s[90:91]
	v_mov_b32_e32 v3, s44
	v_mov_b32_e32 v4, v2
	ds_add_u64 v0, v[3:4]
	s_trap 2
.LBB8_3914:                             ;   in Loop: Header=BB8_3862 Depth=3
	s_or_b64 exec, exec, s[88:89]
	s_trap 2
	ds_read_b64 v[3:4], v0
	s_waitcnt lgkmcnt(0)
	buffer_load_dword v6, off, s[0:3], s33 offset:128 ; 4-byte Folded Reload
	buffer_load_dword v7, off, s[0:3], s33 offset:144 ; 4-byte Folded Reload
	;; [unrolled: 1-line block ×3, first 2 shown]
	s_waitcnt vmcnt(1)
	v_add_co_u32_e32 v7, vcc, v7, v6
	s_waitcnt vmcnt(0)
	v_addc_co_u32_e32 v8, vcc, 0, v8, vcc
	buffer_store_dword v7, off, s[0:3], s33 offset:144 ; 4-byte Folded Spill
	s_nop 0
	buffer_store_dword v8, off, s[0:3], s33 offset:148 ; 4-byte Folded Spill
	v_cmp_lt_u64_e32 vcc, v[3:4], v[7:8]
	s_and_saveexec_b64 s[88:89], vcc
	s_cbranch_execz .LBB8_3923
; %bb.3915:                             ;   in Loop: Header=BB8_3862 Depth=3
	s_mov_b32 s44, 0
	s_mov_b64 s[90:91], 0
                                        ; implicit-def: $sgpr92_sgpr93
                                        ; implicit-def: $sgpr94_sgpr95
	s_branch .LBB8_3917
.LBB8_3916:                             ;   in Loop: Header=BB8_3917 Depth=4
	s_or_b64 exec, exec, s[34:35]
	s_and_b64 vcc, exec, vcc
	s_or_b64 s[90:91], vcc, s[90:91]
	s_andn2_b64 s[92:93], s[92:93], exec
	s_and_b64 vcc, s[94:95], exec
	s_or_b64 s[92:93], s[92:93], vcc
	s_andn2_b64 exec, exec, s[90:91]
	s_cbranch_execz .LBB8_3921
.LBB8_3917:                             ;   Parent Loop BB8_47 Depth=1
                                        ;     Parent Loop BB8_3859 Depth=2
                                        ;       Parent Loop BB8_3862 Depth=3
                                        ; =>      This Inner Loop Header: Depth=4
	s_add_i32 s44, s44, 1
	s_cmpk_lg_i32 s44, 0x2710
	s_cselect_b64 s[30:31], -1, 0
	s_and_b64 vcc, exec, s[30:31]
	s_cbranch_vccz .LBB8_3919
; %bb.3918:                             ;   in Loop: Header=BB8_3917 Depth=4
	s_mov_b64 vcc, -1
	s_or_b64 s[94:95], s[94:95], exec
	s_and_saveexec_b64 s[34:35], s[30:31]
	s_cbranch_execz .LBB8_3916
	s_branch .LBB8_3920
.LBB8_3919:                             ;   in Loop: Header=BB8_3917 Depth=4
	s_trap 2
	ds_read_b64 v[3:4], v0
	s_andn2_b64 s[30:31], s[30:31], exec
	s_mov_b32 s44, 0
	s_waitcnt vmcnt(0) lgkmcnt(0)
	flat_load_dword v3, v[3:4] glc
	s_waitcnt vmcnt(0) lgkmcnt(0)
	buffer_wbinvl1_vol
	v_cmp_eq_u32_e32 vcc, 0, v3
	s_and_b64 vcc, vcc, exec
	s_or_b64 s[30:31], s[30:31], vcc
	s_mov_b64 vcc, -1
	s_or_b64 s[94:95], s[94:95], exec
	s_and_saveexec_b64 s[34:35], s[30:31]
	s_cbranch_execz .LBB8_3916
.LBB8_3920:                             ;   in Loop: Header=BB8_3917 Depth=4
	s_sleep 1
	s_trap 2
	ds_read_b64 v[3:4], v0
	s_waitcnt lgkmcnt(0)
	buffer_load_dword v6, off, s[0:3], s33 offset:144 ; 4-byte Folded Reload
	buffer_load_dword v7, off, s[0:3], s33 offset:148 ; 4-byte Folded Reload
	s_andn2_b64 s[94:95], s[94:95], exec
	s_waitcnt vmcnt(0)
	v_cmp_ge_u64_e32 vcc, v[3:4], v[6:7]
	s_orn2_b64 vcc, vcc, exec
	s_branch .LBB8_3916
.LBB8_3921:                             ;   in Loop: Header=BB8_3862 Depth=3
	s_or_b64 exec, exec, s[90:91]
	s_and_saveexec_b64 s[44:45], s[92:93]
	s_xor_b64 s[44:45], exec, s[44:45]
	s_cbranch_execz .LBB8_3923
; %bb.3922:                             ;   in Loop: Header=BB8_3862 Depth=3
	v_mov_b32_e32 v3, 1
	ds_write_b32 v0, v3
	s_trap 2
.LBB8_3923:                             ;   in Loop: Header=BB8_3862 Depth=3
	s_or_b64 exec, exec, s[88:89]
	;;#ASMSTART
	s_wakeup
	;;#ASMEND
.LBB8_3924:                             ;   in Loop: Header=BB8_3862 Depth=3
	s_or_b64 exec, exec, s[40:41]
.LBB8_3925:                             ;   in Loop: Header=BB8_3862 Depth=3
	s_andn2_saveexec_b64 s[28:29], s[28:29]
	s_cbranch_execz .LBB8_3927
; %bb.3926:                             ;   in Loop: Header=BB8_3862 Depth=3
	s_waitcnt vmcnt(0) lgkmcnt(0)
	buffer_wbinvl1_vol
	s_barrier
.LBB8_3927:                             ;   in Loop: Header=BB8_3862 Depth=3
	s_or_b64 exec, exec, s[28:29]
.LBB8_3928:                             ;   in Loop: Header=BB8_3862 Depth=3
	s_or_b64 exec, exec, s[26:27]
	s_trap 2
	ds_read_b64 v[6:7], v0
	s_waitcnt lgkmcnt(0)
	v_cmp_eq_u64_e32 vcc, 0, v[6:7]
	s_cbranch_vccnz .LBB8_3944
; %bb.3929:                             ;   in Loop: Header=BB8_3862 Depth=3
	s_trap 2
	ds_read_b64 v[58:59], v0
	s_waitcnt lgkmcnt(0)
	v_cmp_eq_u64_e32 vcc, 0, v[58:59]
	s_cbranch_vccnz .LBB8_3944
; %bb.3930:                             ;   in Loop: Header=BB8_3862 Depth=3
	s_trap 2
	ds_read_b64 v[24:25], v0
	v_cmp_eq_u32_e32 vcc, 0, v1
	v_cndmask_b32_e32 v1, 0, v0, vcc
	v_lshlrev_b32_e32 v29, 1, v1
	s_mov_b64 s[26:27], -1
	s_waitcnt lgkmcnt(0)
	v_cmp_ne_u64_e32 vcc, 0, v[24:25]
	s_cbranch_vccz .LBB8_4002
; %bb.3931:                             ;   in Loop: Header=BB8_3862 Depth=3
	s_and_saveexec_b64 s[28:29], s[20:21]
	s_cbranch_execz .LBB8_3933
; %bb.3932:                             ;   in Loop: Header=BB8_3862 Depth=3
	ds_read_b32 v3, v0 offset:720
	s_waitcnt lgkmcnt(0)
	v_and_b32_e32 v3, 15, v3
	v_cmp_eq_u32_e32 vcc, 0, v3
	s_orn2_b64 s[26:27], vcc, exec
.LBB8_3933:                             ;   in Loop: Header=BB8_3862 Depth=3
	s_or_b64 exec, exec, s[28:29]
	s_and_saveexec_b64 s[28:29], s[22:23]
	s_cbranch_execz .LBB8_3935
; %bb.3934:                             ;   in Loop: Header=BB8_3862 Depth=3
	ds_read_b32 v3, v0 offset:784
	s_waitcnt lgkmcnt(0)
	v_and_b32_e32 v3, 15, v3
	v_cmp_eq_u32_e32 vcc, 0, v3
	s_and_b64 s[40:41], s[26:27], vcc
	s_andn2_b64 s[26:27], s[26:27], exec
	s_and_b64 s[40:41], s[40:41], exec
	s_or_b64 s[26:27], s[26:27], s[40:41]
.LBB8_3935:                             ;   in Loop: Header=BB8_3862 Depth=3
	s_or_b64 exec, exec, s[28:29]
	s_xor_b64 s[26:27], s[26:27], -1
	v_cndmask_b32_e64 v3, 0, 1, s[26:27]
	s_mov_b64 s[28:29], -1
	v_cmp_ne_u32_e32 vcc, 0, v3
	s_cbranch_vccz .LBB8_3949
; %bb.3936:                             ;   in Loop: Header=BB8_3862 Depth=3
	s_mov_b64 s[88:89], -1
	v_mov_b32_e32 v16, 0
	s_cbranch_execnz .LBB8_3950
.LBB8_3937:                             ;   in Loop: Header=BB8_3862 Depth=3
	v_ashrrev_i32_e32 v3, 31, v29
	v_lshrrev_b32_e32 v3, 21, v3
	v_add_u32_e32 v3, v29, v3
	v_ashrrev_i32_e32 v30, 11, v3
	buffer_load_dword v3, off, s[0:3], s33 offset:300 ; 4-byte Folded Reload
	s_mov_b64 s[28:29], 0
                                        ; implicit-def: $vgpr8_vgpr9
                                        ; implicit-def: $vgpr12_vgpr13
	s_waitcnt vmcnt(0)
	v_add_co_u32_e32 v32, vcc, v58, v3
	v_addc_co_u32_e32 v33, vcc, 0, v59, vcc
	v_add_co_u32_e32 v26, vcc, v24, v3
	buffer_load_dword v3, off, s[0:3], s33 offset:308 ; 4-byte Folded Reload
	v_addc_co_u32_e32 v27, vcc, 0, v25, vcc
	s_waitcnt vmcnt(0)
	v_sub_u32_e32 v4, v30, v3
	v_cmp_lt_i32_e32 vcc, 0, v4
	s_and_saveexec_b64 s[26:27], vcc
	s_cbranch_execz .LBB8_3952
; %bb.3938:                             ;   in Loop: Header=BB8_3862 Depth=3
	buffer_load_dword v3, off, s[0:3], s33 offset:300 ; 4-byte Folded Reload
	s_mov_b64 s[90:91], 0
                                        ; implicit-def: $sgpr40_sgpr41
                                        ; implicit-def: $vgpr8_vgpr9
                                        ; implicit-def: $vgpr12_vgpr13
	s_waitcnt vmcnt(0)
	v_add_co_u32_e32 v34, vcc, v6, v3
	v_addc_co_u32_e32 v35, vcc, 0, v7, vcc
	s_branch .LBB8_3940
.LBB8_3939:                             ;   in Loop: Header=BB8_3940 Depth=4
	s_or_b64 exec, exec, s[92:93]
	global_store_dwordx4 v[32:33], v[16:19], off glc slc
	global_store_dwordx4 v[32:33], v[20:23], off offset:1024 glc slc
	global_store_dwordx4 v[26:27], v[16:19], off glc slc
	global_store_dwordx4 v[26:27], v[20:23], off offset:1024 glc slc
	buffer_load_dword v20, off, s[0:3], s33 offset:172 ; 4-byte Folded Reload
	s_nop 0
	buffer_load_dword v21, off, s[0:3], s33 offset:176 ; 4-byte Folded Reload
	v_add_co_u32_e32 v32, vcc, 0x800, v32
	v_addc_co_u32_e32 v33, vcc, 0, v33, vcc
	v_add_co_u32_e32 v16, vcc, 0x800, v26
	v_addc_co_u32_e32 v17, vcc, 0, v27, vcc
	s_waitcnt vmcnt(1)
	v_add_co_u32_e32 v18, vcc, v32, v20
	s_waitcnt vmcnt(0)
	v_addc_co_u32_e32 v19, vcc, v33, v21, vcc
	v_add_co_u32_e32 v20, vcc, v16, v20
	v_addc_co_u32_e32 v21, vcc, v17, v21, vcc
	v_add_co_u32_e32 v34, vcc, v34, v3
	v_addc_co_u32_e32 v35, vcc, v35, v4, vcc
	v_sub_u32_e32 v4, v31, v36
	v_cmp_gt_i32_e32 vcc, 1, v4
	s_or_b64 s[28:29], vcc, s[28:29]
	s_andn2_b64 s[40:41], s[40:41], exec
	s_and_b64 s[44:45], s[90:91], exec
	v_cndmask_b32_e64 v33, v33, v19, s[90:91]
	v_cndmask_b32_e64 v32, v32, v18, s[90:91]
	v_cndmask_b32_e64 v27, v17, v21, s[90:91]
	v_cndmask_b32_e64 v26, v16, v20, s[90:91]
	s_or_b64 s[40:41], s[40:41], s[44:45]
	s_andn2_b64 exec, exec, s[28:29]
	s_cbranch_execz .LBB8_3951
.LBB8_3940:                             ;   Parent Loop BB8_47 Depth=1
                                        ;     Parent Loop BB8_3859 Depth=2
                                        ;       Parent Loop BB8_3862 Depth=3
                                        ; =>      This Inner Loop Header: Depth=4
	global_load_dwordx4 v[16:19], v[34:35], off glc slc
	global_load_dwordx4 v[20:23], v[34:35], off offset:1024 glc slc
	s_and_saveexec_b64 s[92:93], s[90:91]
	s_cbranch_execz .LBB8_3942
; %bb.3941:                             ;   in Loop: Header=BB8_3940 Depth=4
	global_store_dwordx4 v[32:33], v[8:11], off glc slc
	global_store_dwordx4 v[32:33], v[12:15], off offset:1024 glc slc
	global_store_dwordx4 v[26:27], v[8:11], off glc slc
	global_store_dwordx4 v[26:27], v[12:15], off offset:1024 glc slc
	buffer_load_dword v3, off, s[0:3], s33 offset:152 ; 4-byte Folded Reload
	buffer_load_dword v31, off, s[0:3], s33 offset:156 ; 4-byte Folded Reload
	s_waitcnt vmcnt(1)
	v_add_co_u32_e32 v32, vcc, v32, v3
	s_waitcnt vmcnt(0)
	v_addc_co_u32_e32 v33, vcc, v33, v31, vcc
	v_add_co_u32_e32 v26, vcc, v26, v3
	v_addc_co_u32_e32 v27, vcc, v27, v31, vcc
.LBB8_3942:                             ;   in Loop: Header=BB8_3940 Depth=4
	s_or_b64 exec, exec, s[92:93]
	buffer_load_dword v3, off, s[0:3], s33 offset:152 ; 4-byte Folded Reload
	v_mov_b32_e32 v36, 0
	s_waitcnt vmcnt(0)
	v_add_co_u32_e32 v34, vcc, v34, v3
	buffer_load_dword v3, off, s[0:3], s33 offset:156 ; 4-byte Folded Reload
	s_waitcnt vmcnt(0)
	v_addc_co_u32_e32 v35, vcc, v35, v3, vcc
	buffer_load_dword v3, off, s[0:3], s33 offset:128 ; 4-byte Folded Reload
	s_waitcnt vmcnt(0)
	v_sub_u32_e32 v31, v4, v3
	v_mov_b32_e32 v3, 0
	v_mov_b32_e32 v4, 0
	v_cmp_lt_i32_e64 s[90:91], 0, v31
	s_and_saveexec_b64 s[92:93], s[90:91]
	s_cbranch_execz .LBB8_3939
; %bb.3943:                             ;   in Loop: Header=BB8_3940 Depth=4
	global_load_dwordx4 v[8:11], v[34:35], off glc slc
	global_load_dwordx4 v[12:15], v[34:35], off offset:1024 glc slc
	buffer_load_dword v36, off, s[0:3], s33 offset:128 ; 4-byte Folded Reload
	buffer_load_dword v3, off, s[0:3], s33 offset:172 ; 4-byte Folded Reload
	;; [unrolled: 1-line block ×3, first 2 shown]
	v_add_co_u32_e32 v34, vcc, 0x800, v34
	v_addc_co_u32_e32 v35, vcc, 0, v35, vcc
	s_branch .LBB8_3939
.LBB8_3944:                             ;   in Loop: Header=BB8_3862 Depth=3
	s_mov_b64 s[26:27], 0
	s_and_saveexec_b64 s[28:29], s[10:11]
	s_cbranch_execnz .LBB8_4060
.LBB8_3945:                             ;   in Loop: Header=BB8_3862 Depth=3
	s_or_b64 exec, exec, s[28:29]
                                        ; implicit-def: $vgpr1
	s_and_saveexec_b64 s[28:29], s[24:25]
	s_xor_b64 s[28:29], exec, s[28:29]
	s_cbranch_execz .LBB8_4078
.LBB8_3946:                             ;   in Loop: Header=BB8_3862 Depth=3
	buffer_load_dword v3, off, s[0:3], s33 offset:132 ; 4-byte Folded Reload
	s_waitcnt vmcnt(0)
	v_and_b32_e32 v1, 16, v3
	v_and_b32_e32 v3, 16, v3
	v_cmp_ne_u32_e32 vcc, 0, v3
	s_and_b64 s[40:41], vcc, s[26:27]
	s_and_saveexec_b64 s[26:27], s[40:41]
	s_cbranch_execz .LBB8_3948
; %bb.3947:                             ;   in Loop: Header=BB8_3862 Depth=3
	v_mov_b32_e32 v1, 1
	s_waitcnt lgkmcnt(0)
	buffer_wbinvl1_vol
.LBB8_3948:                             ;   in Loop: Header=BB8_3862 Depth=3
	s_or_b64 exec, exec, s[26:27]
	s_andn2_saveexec_b64 s[26:27], s[28:29]
	s_cbranch_execz .LBB8_4097
	s_branch .LBB8_4079
.LBB8_3949:                             ;   in Loop: Header=BB8_3862 Depth=3
	s_mov_b64 s[88:89], 0
	s_andn2_b64 vcc, exec, s[28:29]
	v_mov_b32_e32 v16, 0
	s_cbranch_vccz .LBB8_3937
.LBB8_3950:                             ;   in Loop: Header=BB8_3862 Depth=3
	buffer_load_dword v8, off, s[0:3], s33 offset:304 ; 4-byte Folded Reload
	buffer_load_dword v21, off, s[0:3], s33 offset:272 ; 4-byte Folded Reload
	v_mov_b32_e32 v17, v29
	s_and_saveexec_b64 s[40:41], s[88:89]
	s_cbranch_execnz .LBB8_3976
	s_branch .LBB8_4001
.LBB8_3951:                             ;   in Loop: Header=BB8_3862 Depth=3
	s_or_b64 exec, exec, s[28:29]
	s_and_b64 s[28:29], s[40:41], exec
.LBB8_3952:                             ;   in Loop: Header=BB8_3862 Depth=3
	s_or_b64 exec, exec, s[26:27]
	s_and_saveexec_b64 s[26:27], s[28:29]
	s_cbranch_execz .LBB8_3954
; %bb.3953:                             ;   in Loop: Header=BB8_3862 Depth=3
	global_store_dwordx4 v[32:33], v[8:11], off glc slc
	global_store_dwordx4 v[32:33], v[12:15], off offset:1024 glc slc
	global_store_dwordx4 v[26:27], v[8:11], off glc slc
	global_store_dwordx4 v[26:27], v[12:15], off offset:1024 glc slc
.LBB8_3954:                             ;   in Loop: Header=BB8_3862 Depth=3
	s_or_b64 exec, exec, s[26:27]
	v_lshlrev_b32_e32 v3, 11, v30
	v_cmp_ne_u32_e32 vcc, v29, v3
                                        ; implicit-def: $vgpr17
                                        ; implicit-def: $vgpr16
                                        ; implicit-def: $vgpr8
                                        ; implicit-def: $vgpr21
	s_and_saveexec_b64 s[90:91], vcc
	s_cbranch_execz .LBB8_3975
; %bb.3955:                             ;   in Loop: Header=BB8_3862 Depth=3
	buffer_load_dword v9, off, s[0:3], s33 offset:272 ; 4-byte Folded Reload
	v_lshlrev_b32_e32 v4, 6, v4
	v_sub_u32_e32 v8, v29, v3
	s_mov_b64 s[28:29], 0
	s_waitcnt vmcnt(0)
	v_sub_u32_e32 v4, v9, v4
	v_ashrrev_i32_e32 v9, 31, v4
	v_lshrrev_b32_e32 v9, 26, v9
	v_add_u32_e32 v9, v4, v9
	v_ashrrev_i32_e32 v12, 6, v9
	v_and_b32_e32 v9, 0xffffffc0, v9
	v_sub_u32_e32 v4, v4, v9
	v_lshlrev_b32_e32 v9, 4, v4
	v_lshl_add_u32 v9, v12, 10, v9
	v_add_u32_e32 v10, v9, v3
	v_sub_u32_e32 v27, v8, v9
	v_ashrrev_i32_e32 v9, 31, v8
	v_lshrrev_b32_e32 v9, 22, v9
	v_add_u32_e32 v9, v8, v9
	v_and_b32_e32 v18, 0xfffffc00, v9
	v_sub_u32_e32 v19, v8, v18
	v_ashrrev_i32_e32 v11, 10, v9
	v_cmp_lt_i32_e64 s[26:27], 15, v19
	v_addc_co_u32_e64 v8, vcc, 0, v11, s[26:27]
	v_ashrrev_i32_e32 v11, 31, v10
	v_add_co_u32_e32 v21, vcc, v10, v58
	v_addc_co_u32_e32 v22, vcc, v11, v59, vcc
	v_add_co_u32_e32 v23, vcc, v10, v24
	v_addc_co_u32_e32 v26, vcc, v11, v25, vcc
	v_sub_u32_e32 v20, v8, v12
	v_cmp_lt_i32_e32 vcc, 15, v27
                                        ; implicit-def: $vgpr8_vgpr9
	s_and_saveexec_b64 s[92:93], vcc
	s_cbranch_execz .LBB8_3969
; %bb.3956:                             ;   in Loop: Header=BB8_3862 Depth=3
	v_add_co_u32_e32 v16, vcc, v10, v6
	v_addc_co_u32_e32 v17, vcc, v11, v7, vcc
	s_mov_b64 s[34:35], 0
	s_mov_b64 s[94:95], 0
                                        ; implicit-def: $sgpr30_sgpr31
                                        ; implicit-def: $vgpr8_vgpr9
	s_branch .LBB8_3958
.LBB8_3957:                             ;   in Loop: Header=BB8_3958 Depth=4
	s_or_b64 exec, exec, s[28:29]
	v_cmp_gt_i32_e32 vcc, 16, v27
	s_or_b64 s[94:95], vcc, s[94:95]
	s_andn2_b64 s[28:29], s[30:31], exec
	s_and_b64 s[40:41], s[34:35], exec
	s_or_b64 s[30:31], s[28:29], s[40:41]
	s_andn2_b64 exec, exec, s[94:95]
	s_cbranch_execz .LBB8_3968
.LBB8_3958:                             ;   Parent Loop BB8_47 Depth=1
                                        ;     Parent Loop BB8_3859 Depth=2
                                        ;       Parent Loop BB8_3862 Depth=3
                                        ; =>      This Loop Header: Depth=4
                                        ;           Child Loop BB8_3960 Depth 5
                                        ;           Child Loop BB8_3965 Depth 5
	global_load_dwordx4 v[12:15], v[16:17], off glc slc
	s_and_saveexec_b64 s[36:37], s[34:35]
	s_cbranch_execz .LBB8_3962
; %bb.3959:                             ;   in Loop: Header=BB8_3958 Depth=4
	s_mov_b64 s[38:39], 0
	s_mov_b64 s[34:35], -1
.LBB8_3960:                             ;   Parent Loop BB8_47 Depth=1
                                        ;     Parent Loop BB8_3859 Depth=2
                                        ;       Parent Loop BB8_3862 Depth=3
                                        ;         Parent Loop BB8_3958 Depth=4
                                        ; =>        This Inner Loop Header: Depth=5
	s_cmp_eq_u32 s38, 1
	s_cselect_b64 s[28:29], -1, 0
	v_cndmask_b32_e64 v31, v22, v26, s[28:29]
	v_cndmask_b32_e64 v30, v21, v23, s[28:29]
	global_store_dwordx4 v[30:31], v[8:11], off glc slc
	v_add_co_u32_e32 v30, vcc, 0x400, v30
	s_cmp_eq_u32 s38, 0
	v_addc_co_u32_e32 v31, vcc, 0, v31, vcc
	s_cselect_b64 vcc, -1, 0
	s_and_b64 s[40:41], exec, s[34:35]
	s_mov_b64 s[38:39], 1
	v_cndmask_b32_e64 v23, v23, v30, s[28:29]
	s_mov_b64 s[34:35], 0
	v_cndmask_b32_e64 v26, v26, v31, s[28:29]
	v_cndmask_b32_e32 v22, v22, v31, vcc
	v_cndmask_b32_e32 v21, v21, v30, vcc
	s_mov_b64 vcc, s[40:41]
	s_cbranch_vccnz .LBB8_3960
; %bb.3961:                             ;   in Loop: Header=BB8_3958 Depth=4
	v_add_co_u32_e32 v21, vcc, v21, v54
	v_addc_co_u32_e32 v22, vcc, v22, v55, vcc
	v_add_co_u32_e32 v23, vcc, v23, v54
	v_addc_co_u32_e32 v26, vcc, v26, v55, vcc
.LBB8_3962:                             ;   in Loop: Header=BB8_3958 Depth=4
	s_or_b64 exec, exec, s[36:37]
	buffer_load_dword v30, off, s[0:3], s33 offset:136 ; 4-byte Folded Reload
	s_waitcnt vmcnt(0)
	v_add_co_u32_e32 v16, vcc, v30, v16
	buffer_load_dword v30, off, s[0:3], s33 offset:140 ; 4-byte Folded Reload
	s_waitcnt vmcnt(0)
	v_addc_co_u32_e32 v17, vcc, v30, v17, vcc
	buffer_load_dword v30, off, s[0:3], s33 offset:180 ; 4-byte Folded Reload
	s_waitcnt vmcnt(0)
	v_sub_u32_e32 v27, v27, v30
	v_cmp_lt_i32_e64 s[34:35], 15, v27
	s_and_saveexec_b64 s[28:29], s[34:35]
	s_cbranch_execz .LBB8_3964
; %bb.3963:                             ;   in Loop: Header=BB8_3958 Depth=4
	global_load_dwordx4 v[8:11], v[16:17], off glc slc
	v_add_co_u32_e32 v16, vcc, 0x400, v16
	v_addc_co_u32_e32 v17, vcc, 0, v17, vcc
.LBB8_3964:                             ;   in Loop: Header=BB8_3958 Depth=4
	s_or_b64 exec, exec, s[28:29]
	s_mov_b64 s[38:39], 0
	s_mov_b64 s[36:37], -1
.LBB8_3965:                             ;   Parent Loop BB8_47 Depth=1
                                        ;     Parent Loop BB8_3859 Depth=2
                                        ;       Parent Loop BB8_3862 Depth=3
                                        ;         Parent Loop BB8_3958 Depth=4
                                        ; =>        This Inner Loop Header: Depth=5
	s_cmp_eq_u32 s38, 1
	s_cselect_b64 s[28:29], -1, 0
	v_cndmask_b32_e64 v31, v22, v26, s[28:29]
	v_cndmask_b32_e64 v30, v21, v23, s[28:29]
	global_store_dwordx4 v[30:31], v[12:15], off glc slc
	v_add_co_u32_e32 v30, vcc, 0x400, v30
	s_cmp_eq_u32 s38, 0
	v_addc_co_u32_e32 v31, vcc, 0, v31, vcc
	s_cselect_b64 vcc, -1, 0
	s_and_b64 s[40:41], exec, s[36:37]
	s_mov_b64 s[38:39], 1
	v_cndmask_b32_e64 v23, v23, v30, s[28:29]
	s_mov_b64 s[36:37], 0
	v_cndmask_b32_e64 v26, v26, v31, s[28:29]
	v_cndmask_b32_e32 v22, v22, v31, vcc
	v_cndmask_b32_e32 v21, v21, v30, vcc
	s_mov_b64 vcc, s[40:41]
	s_cbranch_vccnz .LBB8_3965
; %bb.3966:                             ;   in Loop: Header=BB8_3958 Depth=4
	buffer_load_dword v12, off, s[0:3], s33 offset:128 ; 4-byte Folded Reload
	s_waitcnt vmcnt(0)
	v_sub_u32_e32 v20, v20, v12
	s_and_saveexec_b64 s[28:29], s[34:35]
	s_cbranch_execz .LBB8_3957
; %bb.3967:                             ;   in Loop: Header=BB8_3958 Depth=4
	buffer_load_dword v12, off, s[0:3], s33 offset:180 ; 4-byte Folded Reload
	v_add_co_u32_e32 v21, vcc, v21, v54
	v_addc_co_u32_e32 v22, vcc, v22, v55, vcc
	v_add_co_u32_e32 v23, vcc, v23, v54
	v_addc_co_u32_e32 v26, vcc, v26, v55, vcc
	;; [unrolled: 2-line block ×3, first 2 shown]
	s_waitcnt vmcnt(0)
	v_sub_u32_e32 v27, v27, v12
	buffer_load_dword v12, off, s[0:3], s33 offset:128 ; 4-byte Folded Reload
	s_waitcnt vmcnt(0)
	v_sub_u32_e32 v20, v20, v12
	s_branch .LBB8_3957
.LBB8_3968:                             ;   in Loop: Header=BB8_3862 Depth=3
	s_or_b64 exec, exec, s[94:95]
	s_and_b64 s[28:29], s[30:31], exec
.LBB8_3969:                             ;   in Loop: Header=BB8_3862 Depth=3
	s_or_b64 exec, exec, s[92:93]
	s_and_saveexec_b64 s[92:93], s[28:29]
	s_cbranch_execz .LBB8_3972
; %bb.3970:                             ;   in Loop: Header=BB8_3862 Depth=3
	s_mov_b64 s[30:31], 0
	s_mov_b64 s[94:95], -1
.LBB8_3971:                             ;   Parent Loop BB8_47 Depth=1
                                        ;     Parent Loop BB8_3859 Depth=2
                                        ;       Parent Loop BB8_3862 Depth=3
                                        ; =>      This Inner Loop Header: Depth=4
	s_cmp_eq_u32 s30, 1
	s_cselect_b64 s[28:29], -1, 0
	v_cndmask_b32_e64 v13, v22, v26, s[28:29]
	v_cndmask_b32_e64 v12, v21, v23, s[28:29]
	global_store_dwordx4 v[12:13], v[8:11], off glc slc
	v_add_co_u32_e32 v12, vcc, 0x400, v12
	s_cmp_eq_u32 s30, 0
	v_addc_co_u32_e32 v13, vcc, 0, v13, vcc
	s_cselect_b64 vcc, -1, 0
	s_and_b64 s[40:41], exec, s[94:95]
	s_mov_b64 s[30:31], 1
	v_cndmask_b32_e64 v23, v23, v12, s[28:29]
	s_mov_b64 s[94:95], 0
	v_cndmask_b32_e64 v26, v26, v13, s[28:29]
	v_cndmask_b32_e32 v22, v22, v13, vcc
	v_cndmask_b32_e32 v21, v21, v12, vcc
	s_mov_b64 vcc, s[40:41]
	s_cbranch_vccnz .LBB8_3971
.LBB8_3972:                             ;   in Loop: Header=BB8_3862 Depth=3
	s_or_b64 exec, exec, s[92:93]
	v_and_b32_e32 v9, 14, v29
	v_cndmask_b32_e64 v17, v19, v9, s[26:27]
	v_cmp_ne_u32_e32 vcc, 0, v17
	s_mov_b64 s[28:29], s[88:89]
                                        ; implicit-def: $vgpr16
                                        ; implicit-def: $vgpr8
                                        ; implicit-def: $vgpr21
	s_and_saveexec_b64 s[40:41], vcc
	s_cbranch_execz .LBB8_3974
; %bb.3973:                             ;   in Loop: Header=BB8_3862 Depth=3
	v_sub_u32_e32 v8, v19, v9
	v_cndmask_b32_e64 v8, 0, v8, s[26:27]
	v_add3_u32 v16, v18, v3, v8
	buffer_load_dword v3, off, s[0:3], s33 offset:128 ; 4-byte Folded Reload
	v_cmp_lt_i32_e32 vcc, 0, v20
	s_or_b64 s[28:29], s[88:89], exec
	s_waitcnt vmcnt(0)
	v_cndmask_b32_e32 v3, 0, v3, vcc
	v_sub_u32_e32 v3, v3, v20
	v_lshl_add_u32 v8, v3, 6, v4
	v_ashrrev_i32_e32 v3, 31, v8
	v_lshrrev_b32_e32 v3, 26, v3
	v_add_u32_e32 v3, v8, v3
	v_and_b32_e32 v3, 0xffffffc0, v3
	v_sub_u32_e32 v21, v8, v3
.LBB8_3974:                             ;   in Loop: Header=BB8_3862 Depth=3
	s_or_b64 exec, exec, s[40:41]
	s_andn2_b64 s[26:27], s[88:89], exec
	s_and_b64 s[28:29], s[28:29], exec
	s_or_b64 s[88:89], s[26:27], s[28:29]
.LBB8_3975:                             ;   in Loop: Header=BB8_3862 Depth=3
	s_or_b64 exec, exec, s[90:91]
	s_and_saveexec_b64 s[40:41], s[88:89]
	s_cbranch_execz .LBB8_4001
.LBB8_3976:                             ;   in Loop: Header=BB8_3862 Depth=3
	s_waitcnt vmcnt(1)
	v_ashrrev_i32_e32 v3, 31, v8
	v_lshrrev_b32_e32 v3, 26, v3
	v_add_u32_e32 v3, v8, v3
	v_ashrrev_i32_e32 v4, 6, v3
	v_lshlrev_b32_e32 v3, 10, v4
	s_waitcnt vmcnt(0)
	v_lshlrev_b32_e32 v8, 1, v21
	v_add3_u32 v12, v16, v8, v3
	v_ashrrev_i32_e32 v3, 31, v17
	v_lshrrev_b32_e32 v3, 22, v3
	v_ashrrev_i32_e32 v13, 31, v12
	v_add_co_u32_e32 v10, vcc, v58, v12
	v_add_u32_e32 v3, v17, v3
	v_addc_co_u32_e32 v11, vcc, v59, v13, vcc
	v_ashrrev_i32_e32 v3, 10, v3
	v_add_co_u32_e32 v8, vcc, v24, v12
	v_addc_co_u32_e32 v9, vcc, v25, v13, vcc
	v_sub_u32_e32 v14, v3, v4
	v_cmp_lt_i32_e32 vcc, 0, v14
	s_mov_b64 s[28:29], 0
                                        ; implicit-def: $vgpr4
                                        ; implicit-def: $vgpr18
                                        ; implicit-def: $vgpr19
                                        ; implicit-def: $vgpr20
                                        ; implicit-def: $vgpr22
                                        ; implicit-def: $vgpr23
                                        ; implicit-def: $vgpr26
                                        ; implicit-def: $vgpr27
	s_and_saveexec_b64 s[26:27], vcc
	s_cbranch_execz .LBB8_3984
; %bb.3977:                             ;   in Loop: Header=BB8_3862 Depth=3
	v_add_co_u32_e32 v12, vcc, v12, v6
	v_addc_co_u32_e32 v13, vcc, v13, v7, vcc
	s_mov_b64 s[90:91], 0
                                        ; implicit-def: $sgpr88_sgpr89
                                        ; implicit-def: $vgpr4
                                        ; implicit-def: $vgpr18
                                        ; implicit-def: $vgpr19
                                        ; implicit-def: $vgpr20
                                        ; implicit-def: $vgpr22
                                        ; implicit-def: $vgpr23
                                        ; implicit-def: $vgpr26
                                        ; implicit-def: $vgpr27
	s_branch .LBB8_3979
.LBB8_3978:                             ;   in Loop: Header=BB8_3979 Depth=4
	s_or_b64 exec, exec, s[92:93]
	s_waitcnt lgkmcnt(0)
	flat_store_short v[10:11], v30 glc slc
	flat_store_short v[10:11], v31 offset:128 glc slc
	flat_store_short v[10:11], v32 offset:256 glc slc
	;; [unrolled: 1-line block ×7, first 2 shown]
	v_add_co_u32_e32 v10, vcc, s55, v10
	v_addc_co_u32_e32 v11, vcc, 0, v11, vcc
	flat_store_short v[8:9], v30 glc slc
	flat_store_short v[8:9], v31 offset:128 glc slc
	flat_store_short v[8:9], v32 offset:256 glc slc
	;; [unrolled: 1-line block ×7, first 2 shown]
	v_add_co_u32_e32 v8, vcc, s55, v8
	v_addc_co_u32_e32 v9, vcc, 0, v9, vcc
	v_add_co_u32_e32 v30, vcc, v10, v54
	v_addc_co_u32_e32 v31, vcc, v11, v55, vcc
	;; [unrolled: 2-line block ×4, first 2 shown]
	s_waitcnt vmcnt(0)
	v_sub_u32_e32 v14, v38, v39
	v_cmp_gt_i32_e32 vcc, 1, v14
	s_or_b64 s[28:29], vcc, s[28:29]
	s_andn2_b64 s[44:45], s[88:89], exec
	s_and_b64 s[88:89], s[90:91], exec
	v_cndmask_b32_e64 v11, v11, v31, s[90:91]
	v_cndmask_b32_e64 v10, v10, v30, s[90:91]
	;; [unrolled: 1-line block ×4, first 2 shown]
	s_or_b64 s[88:89], s[44:45], s[88:89]
	s_andn2_b64 exec, exec, s[28:29]
	s_cbranch_execz .LBB8_3983
.LBB8_3979:                             ;   Parent Loop BB8_47 Depth=1
                                        ;     Parent Loop BB8_3859 Depth=2
                                        ;       Parent Loop BB8_3862 Depth=3
                                        ; =>      This Inner Loop Header: Depth=4
	flat_load_ushort v30, v[12:13] glc slc
	flat_load_ushort v31, v[12:13] offset:128 glc slc
	flat_load_ushort v32, v[12:13] offset:256 glc slc
	;; [unrolled: 1-line block ×7, first 2 shown]
	s_and_saveexec_b64 s[92:93], s[90:91]
	s_cbranch_execz .LBB8_3981
; %bb.3980:                             ;   in Loop: Header=BB8_3979 Depth=4
	flat_store_short v[10:11], v4 glc slc
	flat_store_short v[10:11], v18 offset:128 glc slc
	flat_store_short v[10:11], v19 offset:256 glc slc
	;; [unrolled: 1-line block ×7, first 2 shown]
	flat_store_short v[8:9], v4 glc slc
	flat_store_short v[8:9], v18 offset:128 glc slc
	flat_store_short v[8:9], v19 offset:256 glc slc
	;; [unrolled: 1-line block ×7, first 2 shown]
	buffer_load_dword v15, off, s[0:3], s33 offset:136 ; 4-byte Folded Reload
	buffer_load_dword v38, off, s[0:3], s33 offset:140 ; 4-byte Folded Reload
	s_waitcnt vmcnt(0)
	v_add_co_u32_e32 v10, vcc, v10, v15
	v_addc_co_u32_e32 v11, vcc, v11, v38, vcc
	v_add_co_u32_e32 v8, vcc, v8, v15
	v_addc_co_u32_e32 v9, vcc, v9, v38, vcc
.LBB8_3981:                             ;   in Loop: Header=BB8_3979 Depth=4
	s_or_b64 exec, exec, s[92:93]
	buffer_load_dword v15, off, s[0:3], s33 offset:136 ; 4-byte Folded Reload
	v_mov_b32_e32 v39, 0
	s_waitcnt vmcnt(0)
	v_add_co_u32_e32 v12, vcc, v12, v15
	buffer_load_dword v15, off, s[0:3], s33 offset:140 ; 4-byte Folded Reload
	s_waitcnt vmcnt(0)
	v_addc_co_u32_e32 v13, vcc, v13, v15, vcc
	buffer_load_dword v15, off, s[0:3], s33 offset:128 ; 4-byte Folded Reload
	s_waitcnt vmcnt(0)
	v_sub_u32_e32 v38, v14, v15
	v_mov_b32_e32 v14, 0
	v_mov_b32_e32 v15, 0
	v_cmp_lt_i32_e64 s[90:91], 0, v38
	s_and_saveexec_b64 s[92:93], s[90:91]
	s_cbranch_execz .LBB8_3978
; %bb.3982:                             ;   in Loop: Header=BB8_3979 Depth=4
	flat_load_ushort v4, v[12:13] glc slc
	flat_load_ushort v18, v[12:13] offset:128 glc slc
	flat_load_ushort v19, v[12:13] offset:256 glc slc
	;; [unrolled: 1-line block ×7, first 2 shown]
	buffer_load_dword v39, off, s[0:3], s33 offset:128 ; 4-byte Folded Reload
	v_add_co_u32_e32 v12, vcc, 0x400, v12
	v_mov_b32_e32 v14, v54
	v_addc_co_u32_e32 v13, vcc, 0, v13, vcc
	v_mov_b32_e32 v15, v55
	s_branch .LBB8_3978
.LBB8_3983:                             ;   in Loop: Header=BB8_3862 Depth=3
	s_or_b64 exec, exec, s[28:29]
	s_and_b64 s[28:29], s[88:89], exec
.LBB8_3984:                             ;   in Loop: Header=BB8_3862 Depth=3
	s_or_b64 exec, exec, s[26:27]
	s_and_saveexec_b64 s[26:27], s[28:29]
	s_cbranch_execz .LBB8_3986
; %bb.3985:                             ;   in Loop: Header=BB8_3862 Depth=3
	flat_store_short v[10:11], v4 glc slc
	flat_store_short v[10:11], v18 offset:128 glc slc
	flat_store_short v[10:11], v19 offset:256 glc slc
	;; [unrolled: 1-line block ×7, first 2 shown]
	flat_store_short v[8:9], v4 glc slc
	flat_store_short v[8:9], v18 offset:128 glc slc
	flat_store_short v[8:9], v19 offset:256 glc slc
	;; [unrolled: 1-line block ×7, first 2 shown]
.LBB8_3986:                             ;   in Loop: Header=BB8_3862 Depth=3
	s_or_b64 exec, exec, s[26:27]
	v_lshlrev_b32_e32 v3, 10, v3
	v_cmp_ne_u32_e32 vcc, v17, v3
	s_and_b64 exec, exec, vcc
	s_cbranch_execz .LBB8_4001
; %bb.3987:                             ;   in Loop: Header=BB8_3862 Depth=3
	v_lshlrev_b32_e32 v4, 6, v14
	v_sub_u32_e32 v4, v21, v4
	v_ashrrev_i32_e32 v8, 31, v4
	v_lshrrev_b32_e32 v8, 26, v8
	v_add_u32_e32 v8, v4, v8
	v_and_b32_e32 v9, 0x7fffffc0, v8
	v_sub_u32_e32 v4, v4, v9
	v_lshlrev_b32_e32 v8, 1, v8
	v_and_b32_e32 v8, 0xffffff80, v8
	v_lshlrev_b32_e32 v4, 1, v4
	v_add3_u32 v3, v8, v4, v3
	v_sub_u32_e32 v14, v17, v3
	v_cmp_lt_i32_e32 vcc, 1, v14
	s_and_b64 exec, exec, vcc
	s_cbranch_execz .LBB8_4001
; %bb.3988:                             ;   in Loop: Header=BB8_3862 Depth=3
	v_add_u32_e32 v3, v3, v16
	v_ashrrev_i32_e32 v9, 31, v3
	v_add_co_u32_e32 v4, vcc, v58, v3
	v_addc_co_u32_e32 v10, vcc, v59, v9, vcc
	v_add_co_u32_e32 v11, vcc, v24, v3
	v_addc_co_u32_e32 v12, vcc, v25, v9, vcc
	;; [unrolled: 2-line block ×3, first 2 shown]
	s_mov_b64 s[92:93], 0
	s_mov_b64 s[88:89], 0
                                        ; implicit-def: $sgpr90_sgpr91
                                        ; implicit-def: $vgpr3
.LBB8_3989:                             ;   Parent Loop BB8_47 Depth=1
                                        ;     Parent Loop BB8_3859 Depth=2
                                        ;       Parent Loop BB8_3862 Depth=3
                                        ; =>      This Loop Header: Depth=4
                                        ;           Child Loop BB8_3991 Depth 5
                                        ;           Child Loop BB8_3996 Depth 5
	flat_load_ushort v13, v[8:9] glc slc
	s_and_saveexec_b64 s[94:95], s[92:93]
	s_cbranch_execz .LBB8_3993
; %bb.3990:                             ;   in Loop: Header=BB8_3989 Depth=4
	s_mov_b64 s[30:31], 0
	s_mov_b64 s[92:93], -1
.LBB8_3991:                             ;   Parent Loop BB8_47 Depth=1
                                        ;     Parent Loop BB8_3859 Depth=2
                                        ;       Parent Loop BB8_3862 Depth=3
                                        ;         Parent Loop BB8_3989 Depth=4
                                        ; =>        This Inner Loop Header: Depth=5
	s_cmp_eq_u32 s30, 1
	s_cselect_b64 s[26:27], -1, 0
	v_cndmask_b32_e64 v16, v10, v12, s[26:27]
	v_cndmask_b32_e64 v15, v4, v11, s[26:27]
	flat_store_short v[15:16], v3 glc slc
	v_add_co_u32_e32 v15, vcc, 0x80, v15
	s_cmp_eq_u32 s30, 0
	v_addc_co_u32_e32 v16, vcc, 0, v16, vcc
	s_cselect_b64 vcc, -1, 0
	s_and_b64 s[28:29], exec, s[92:93]
	s_mov_b64 s[30:31], 1
	v_cndmask_b32_e64 v11, v11, v15, s[26:27]
	s_mov_b64 s[92:93], 0
	v_cndmask_b32_e64 v12, v12, v16, s[26:27]
	v_cndmask_b32_e32 v10, v10, v16, vcc
	v_cndmask_b32_e32 v4, v4, v15, vcc
	s_mov_b64 vcc, s[28:29]
	s_cbranch_vccnz .LBB8_3991
; %bb.3992:                             ;   in Loop: Header=BB8_3989 Depth=4
	buffer_load_dword v15, off, s[0:3], s33 offset:184 ; 4-byte Folded Reload
	buffer_load_dword v16, off, s[0:3], s33 offset:188 ; 4-byte Folded Reload
	s_waitcnt vmcnt(0)
	v_add_co_u32_e32 v4, vcc, v4, v15
	v_addc_co_u32_e32 v10, vcc, v10, v16, vcc
	v_add_co_u32_e32 v11, vcc, v11, v15
	v_addc_co_u32_e32 v12, vcc, v12, v16, vcc
.LBB8_3993:                             ;   in Loop: Header=BB8_3989 Depth=4
	s_or_b64 exec, exec, s[94:95]
	buffer_load_dword v15, off, s[0:3], s33 offset:192 ; 4-byte Folded Reload
	s_waitcnt vmcnt(0)
	v_add_co_u32_e32 v8, vcc, v15, v8
	buffer_load_dword v15, off, s[0:3], s33 offset:196 ; 4-byte Folded Reload
	s_waitcnt vmcnt(0)
	v_addc_co_u32_e32 v9, vcc, v15, v9, vcc
	buffer_load_dword v15, off, s[0:3], s33 offset:168 ; 4-byte Folded Reload
	s_waitcnt vmcnt(0)
	v_sub_u32_e32 v14, v14, v15
	v_cmp_lt_i32_e64 s[92:93], 1, v14
	s_and_saveexec_b64 s[26:27], s[92:93]
	s_cbranch_execz .LBB8_3995
; %bb.3994:                             ;   in Loop: Header=BB8_3989 Depth=4
	flat_load_ushort v3, v[8:9] glc slc
	v_add_co_u32_e32 v8, vcc, 0x80, v8
	v_addc_co_u32_e32 v9, vcc, 0, v9, vcc
.LBB8_3995:                             ;   in Loop: Header=BB8_3989 Depth=4
	s_or_b64 exec, exec, s[26:27]
	s_mov_b64 s[30:31], 0
	s_mov_b64 s[94:95], -1
.LBB8_3996:                             ;   Parent Loop BB8_47 Depth=1
                                        ;     Parent Loop BB8_3859 Depth=2
                                        ;       Parent Loop BB8_3862 Depth=3
                                        ;         Parent Loop BB8_3989 Depth=4
                                        ; =>        This Inner Loop Header: Depth=5
	s_cmp_eq_u32 s30, 1
	s_cselect_b64 s[26:27], -1, 0
	v_cndmask_b32_e64 v16, v10, v12, s[26:27]
	v_cndmask_b32_e64 v15, v4, v11, s[26:27]
	s_waitcnt lgkmcnt(0)
	flat_store_short v[15:16], v13 glc slc
	v_add_co_u32_e32 v15, vcc, 0x80, v15
	s_cmp_eq_u32 s30, 0
	v_addc_co_u32_e32 v16, vcc, 0, v16, vcc
	s_cselect_b64 vcc, -1, 0
	s_and_b64 s[28:29], exec, s[94:95]
	s_mov_b64 s[30:31], 1
	v_cndmask_b32_e64 v11, v11, v15, s[26:27]
	s_mov_b64 s[94:95], 0
	v_cndmask_b32_e64 v12, v12, v16, s[26:27]
	v_cndmask_b32_e32 v10, v10, v16, vcc
	v_cndmask_b32_e32 v4, v4, v15, vcc
	s_mov_b64 vcc, s[28:29]
	s_cbranch_vccnz .LBB8_3996
; %bb.3997:                             ;   in Loop: Header=BB8_3989 Depth=4
	buffer_load_dword v19, off, s[0:3], s33 offset:184 ; 4-byte Folded Reload
	buffer_load_dword v20, off, s[0:3], s33 offset:188 ; 4-byte Folded Reload
	s_waitcnt vmcnt(0)
	v_add_co_u32_e32 v13, vcc, v4, v19
	v_addc_co_u32_e32 v15, vcc, v10, v20, vcc
	v_add_co_u32_e32 v16, vcc, v11, v19
	v_addc_co_u32_e32 v17, vcc, v12, v20, vcc
	v_cndmask_b32_e64 v19, 0, v19, s[92:93]
	v_cndmask_b32_e64 v18, 0, v20, s[92:93]
	v_add_co_u32_e32 v8, vcc, v8, v19
	v_addc_co_u32_e32 v9, vcc, v9, v18, vcc
	buffer_load_dword v18, off, s[0:3], s33 offset:168 ; 4-byte Folded Reload
	v_cndmask_b32_e64 v12, v12, v17, s[92:93]
	v_cndmask_b32_e64 v11, v11, v16, s[92:93]
	v_cndmask_b32_e64 v10, v10, v15, s[92:93]
	v_cndmask_b32_e64 v4, v4, v13, s[92:93]
	s_waitcnt vmcnt(0)
	v_cndmask_b32_e64 v18, 0, v18, s[92:93]
	v_sub_u32_e32 v14, v14, v18
	v_cmp_gt_i32_e32 vcc, 2, v14
	s_or_b64 s[88:89], vcc, s[88:89]
	s_andn2_b64 s[26:27], s[90:91], exec
	s_and_b64 s[28:29], s[92:93], exec
	s_or_b64 s[90:91], s[26:27], s[28:29]
	s_andn2_b64 exec, exec, s[88:89]
	s_cbranch_execnz .LBB8_3989
; %bb.3998:                             ;   in Loop: Header=BB8_3862 Depth=3
	s_or_b64 exec, exec, s[88:89]
	s_and_b64 exec, exec, s[90:91]
	s_cbranch_execz .LBB8_4001
; %bb.3999:                             ;   in Loop: Header=BB8_3862 Depth=3
	s_mov_b64 s[90:91], 0
	s_mov_b64 s[88:89], -1
.LBB8_4000:                             ;   Parent Loop BB8_47 Depth=1
                                        ;     Parent Loop BB8_3859 Depth=2
                                        ;       Parent Loop BB8_3862 Depth=3
                                        ; =>      This Inner Loop Header: Depth=4
	s_cmp_eq_u32 s90, 1
	s_cselect_b64 s[26:27], -1, 0
	v_cndmask_b32_e64 v8, v13, v16, s[26:27]
	v_cndmask_b32_e64 v9, v15, v17, s[26:27]
	v_add_co_u32_e32 v4, vcc, 0x80, v8
	s_cmp_eq_u32 s90, 0
	flat_store_short v[8:9], v3 glc slc
	v_addc_co_u32_e32 v8, vcc, 0, v9, vcc
	s_cselect_b64 vcc, -1, 0
	s_and_b64 s[28:29], exec, s[88:89]
	s_mov_b64 s[90:91], 1
	v_cndmask_b32_e64 v16, v16, v4, s[26:27]
	s_mov_b64 s[88:89], 0
	v_cndmask_b32_e32 v15, v15, v8, vcc
	v_cndmask_b32_e32 v13, v13, v4, vcc
	v_cndmask_b32_e64 v17, v17, v8, s[26:27]
	s_mov_b64 vcc, s[28:29]
	s_cbranch_vccnz .LBB8_4000
.LBB8_4001:                             ;   in Loop: Header=BB8_3862 Depth=3
	s_or_b64 exec, exec, s[40:41]
	s_mov_b64 s[26:27], 0
.LBB8_4002:                             ;   in Loop: Header=BB8_3862 Depth=3
	s_and_b64 vcc, exec, s[26:27]
	s_cbranch_vccz .LBB8_4016
; %bb.4003:                             ;   in Loop: Header=BB8_3862 Depth=3
	s_mov_b64 s[26:27], -1
	s_and_saveexec_b64 s[28:29], s[20:21]
	s_cbranch_execz .LBB8_4005
; %bb.4004:                             ;   in Loop: Header=BB8_3862 Depth=3
	ds_read_b32 v3, v0 offset:720
	s_waitcnt lgkmcnt(0)
	v_and_b32_e32 v3, 15, v3
	v_cmp_eq_u32_e32 vcc, 0, v3
	s_orn2_b64 s[26:27], vcc, exec
.LBB8_4005:                             ;   in Loop: Header=BB8_3862 Depth=3
	s_or_b64 exec, exec, s[28:29]
	s_and_saveexec_b64 s[28:29], s[18:19]
	s_cbranch_execz .LBB8_4007
; %bb.4006:                             ;   in Loop: Header=BB8_3862 Depth=3
	ds_read_b32 v3, v0 offset:784
	s_waitcnt lgkmcnt(0)
	v_and_b32_e32 v3, 15, v3
	v_cmp_eq_u32_e32 vcc, 0, v3
	s_and_b64 s[40:41], s[26:27], vcc
	s_andn2_b64 s[26:27], s[26:27], exec
	s_and_b64 s[40:41], s[40:41], exec
	s_or_b64 s[26:27], s[26:27], s[40:41]
.LBB8_4007:                             ;   in Loop: Header=BB8_3862 Depth=3
	s_or_b64 exec, exec, s[28:29]
	s_xor_b64 s[26:27], s[26:27], -1
	v_cndmask_b32_e64 v3, 0, 1, s[26:27]
	s_mov_b64 s[40:41], -1
	v_cmp_ne_u32_e32 vcc, 0, v3
	s_cbranch_vccz .LBB8_4017
; %bb.4008:                             ;   in Loop: Header=BB8_3862 Depth=3
	s_mov_b64 s[28:29], -1
	v_mov_b32_e32 v3, 0
	s_cbranch_execnz .LBB8_4018
.LBB8_4009:                             ;   in Loop: Header=BB8_3862 Depth=3
	v_ashrrev_i32_e32 v3, 31, v29
	v_lshrrev_b32_e32 v3, 20, v3
	v_add_u32_e32 v3, v29, v3
	v_ashrrev_i32_e32 v30, 12, v3
	buffer_load_dword v3, off, s[0:3], s33 offset:308 ; 4-byte Folded Reload
	s_mov_b64 s[40:41], 0
                                        ; implicit-def: $vgpr8_vgpr9
                                        ; implicit-def: $vgpr12_vgpr13
                                        ; implicit-def: $vgpr16_vgpr17
                                        ; implicit-def: $vgpr20_vgpr21
	s_waitcnt vmcnt(0)
	v_sub_u32_e32 v31, v30, v3
	buffer_load_dword v3, off, s[0:3], s33 offset:352 ; 4-byte Folded Reload
	s_waitcnt vmcnt(0)
	v_add_co_u32_e32 v42, vcc, v58, v3
	v_addc_co_u32_e32 v43, vcc, 0, v59, vcc
	v_cmp_lt_i32_e32 vcc, 0, v31
	s_and_saveexec_b64 s[26:27], vcc
	s_cbranch_execz .LBB8_4020
; %bb.4010:                             ;   in Loop: Header=BB8_3862 Depth=3
	buffer_load_dword v3, off, s[0:3], s33 offset:352 ; 4-byte Folded Reload
	s_mov_b64 s[90:91], 0
                                        ; implicit-def: $sgpr88_sgpr89
                                        ; implicit-def: $vgpr8_vgpr9
                                        ; implicit-def: $vgpr12_vgpr13
                                        ; implicit-def: $vgpr16_vgpr17
                                        ; implicit-def: $vgpr20_vgpr21
	s_waitcnt vmcnt(0)
	v_add_co_u32_e32 v60, vcc, v6, v3
	v_addc_co_u32_e32 v61, vcc, 0, v7, vcc
	s_branch .LBB8_4012
.LBB8_4011:                             ;   in Loop: Header=BB8_4012 Depth=4
	s_or_b64 exec, exec, s[92:93]
	global_store_dwordx4 v[42:43], v[24:27], off glc slc
	global_store_dwordx4 v[42:43], v[32:35], off offset:1024 glc slc
	global_store_dwordx4 v[42:43], v[36:39], off offset:2048 glc slc
	;; [unrolled: 1-line block ×3, first 2 shown]
	s_waitcnt vmcnt(0)
	v_add_co_u32_e32 v24, vcc, v42, v3
	v_addc_co_u32_e32 v25, vcc, v43, v4, vcc
	v_add_co_u32_e32 v42, vcc, s54, v24
	v_addc_co_u32_e32 v43, vcc, 0, v25, vcc
	;; [unrolled: 2-line block ×3, first 2 shown]
	v_sub_u32_e32 v31, v31, v52
	v_cmp_gt_i32_e32 vcc, 1, v31
	s_or_b64 s[40:41], vcc, s[40:41]
	s_andn2_b64 s[44:45], s[88:89], exec
	s_and_b64 s[88:89], s[90:91], exec
	s_or_b64 s[88:89], s[44:45], s[88:89]
	s_andn2_b64 exec, exec, s[40:41]
	s_cbranch_execz .LBB8_4019
.LBB8_4012:                             ;   Parent Loop BB8_47 Depth=1
                                        ;     Parent Loop BB8_3859 Depth=2
                                        ;       Parent Loop BB8_3862 Depth=3
                                        ; =>      This Inner Loop Header: Depth=4
	global_load_dwordx4 v[24:27], v[60:61], off glc slc
	global_load_dwordx4 v[32:35], v[60:61], off offset:1024 glc slc
	global_load_dwordx4 v[36:39], v[60:61], off offset:2048 glc slc
	;; [unrolled: 1-line block ×3, first 2 shown]
	s_and_saveexec_b64 s[92:93], s[90:91]
	s_cbranch_execz .LBB8_4014
; %bb.4013:                             ;   in Loop: Header=BB8_4012 Depth=4
	global_store_dwordx4 v[42:43], v[8:11], off glc slc
	global_store_dwordx4 v[42:43], v[12:15], off offset:1024 glc slc
	global_store_dwordx4 v[42:43], v[16:19], off offset:2048 glc slc
	;; [unrolled: 1-line block ×3, first 2 shown]
	buffer_load_dword v3, off, s[0:3], s33 offset:200 ; 4-byte Folded Reload
	s_waitcnt vmcnt(0)
	v_add_co_u32_e32 v42, vcc, v42, v3
	buffer_load_dword v3, off, s[0:3], s33 offset:204 ; 4-byte Folded Reload
	s_waitcnt vmcnt(0)
	v_addc_co_u32_e32 v43, vcc, v43, v3, vcc
.LBB8_4014:                             ;   in Loop: Header=BB8_4012 Depth=4
	s_or_b64 exec, exec, s[92:93]
	buffer_load_dword v3, off, s[0:3], s33 offset:200 ; 4-byte Folded Reload
	v_mov_b32_e32 v52, 0
	s_waitcnt vmcnt(0)
	v_add_co_u32_e32 v60, vcc, v60, v3
	buffer_load_dword v3, off, s[0:3], s33 offset:204 ; 4-byte Folded Reload
	s_waitcnt vmcnt(0)
	v_addc_co_u32_e32 v61, vcc, v61, v3, vcc
	buffer_load_dword v3, off, s[0:3], s33 offset:128 ; 4-byte Folded Reload
	s_waitcnt vmcnt(0)
	v_sub_u32_e32 v31, v31, v3
	v_mov_b32_e32 v3, 0
	v_mov_b32_e32 v4, 0
	v_cmp_lt_i32_e64 s[90:91], 0, v31
	s_and_saveexec_b64 s[92:93], s[90:91]
	s_cbranch_execz .LBB8_4011
; %bb.4015:                             ;   in Loop: Header=BB8_4012 Depth=4
	global_load_dwordx4 v[8:11], v[60:61], off glc slc
	global_load_dwordx4 v[12:15], v[60:61], off offset:1024 glc slc
	global_load_dwordx4 v[16:19], v[60:61], off offset:2048 glc slc
	;; [unrolled: 1-line block ×3, first 2 shown]
	buffer_load_dword v52, off, s[0:3], s33 offset:128 ; 4-byte Folded Reload
	buffer_load_dword v3, off, s[0:3], s33 offset:260 ; 4-byte Folded Reload
	;; [unrolled: 1-line block ×3, first 2 shown]
	v_add_co_u32_e32 v60, vcc, 0x1000, v60
	v_addc_co_u32_e32 v61, vcc, 0, v61, vcc
	s_branch .LBB8_4011
.LBB8_4016:                             ;   in Loop: Header=BB8_3862 Depth=3
	v_cmp_lt_i32_e64 s[26:27], 0, v1
	s_and_saveexec_b64 s[28:29], s[10:11]
	s_cbranch_execnz .LBB8_4060
	s_branch .LBB8_3945
.LBB8_4017:                             ;   in Loop: Header=BB8_3862 Depth=3
	s_mov_b64 s[28:29], 0
	s_andn2_b64 vcc, exec, s[40:41]
	v_mov_b32_e32 v3, 0
	s_cbranch_vccz .LBB8_4009
.LBB8_4018:                             ;   in Loop: Header=BB8_3862 Depth=3
	buffer_load_dword v8, off, s[0:3], s33 offset:304 ; 4-byte Folded Reload
	buffer_load_dword v4, off, s[0:3], s33 offset:272 ; 4-byte Folded Reload
	s_and_saveexec_b64 s[26:27], s[28:29]
	s_cbranch_execnz .LBB8_4039
	s_branch .LBB8_4059
.LBB8_4019:                             ;   in Loop: Header=BB8_3862 Depth=3
	s_or_b64 exec, exec, s[40:41]
	s_and_b64 s[40:41], s[88:89], exec
.LBB8_4020:                             ;   in Loop: Header=BB8_3862 Depth=3
	s_or_b64 exec, exec, s[26:27]
	s_and_saveexec_b64 s[26:27], s[40:41]
	s_cbranch_execz .LBB8_4022
; %bb.4021:                             ;   in Loop: Header=BB8_3862 Depth=3
	global_store_dwordx4 v[42:43], v[8:11], off glc slc
	global_store_dwordx4 v[42:43], v[12:15], off offset:1024 glc slc
	global_store_dwordx4 v[42:43], v[16:19], off offset:2048 glc slc
	;; [unrolled: 1-line block ×3, first 2 shown]
.LBB8_4022:                             ;   in Loop: Header=BB8_3862 Depth=3
	s_or_b64 exec, exec, s[26:27]
	v_lshlrev_b32_e32 v20, 12, v30
	v_cmp_ne_u32_e32 vcc, v29, v20
                                        ; implicit-def: $vgpr3
                                        ; implicit-def: $vgpr8
                                        ; implicit-def: $vgpr4
	s_and_saveexec_b64 s[40:41], vcc
	s_cbranch_execz .LBB8_4038
; %bb.4023:                             ;   in Loop: Header=BB8_3862 Depth=3
	buffer_load_dword v4, off, s[0:3], s33 offset:272 ; 4-byte Folded Reload
	v_lshlrev_b32_e32 v3, 6, v31
	v_sub_u32_e32 v8, v29, v20
	v_ashrrev_i32_e32 v10, 31, v8
	v_lshrrev_b32_e32 v10, 22, v10
	v_add_u32_e32 v10, v8, v10
	v_and_b32_e32 v22, 0xfffffc00, v10
	v_sub_u32_e32 v24, v8, v22
	v_ashrrev_i32_e32 v11, 10, v10
	v_cmp_lt_i32_e64 s[26:27], 15, v24
	s_mov_b64 s[90:91], 0
	s_waitcnt vmcnt(0)
	v_sub_u32_e32 v3, v4, v3
	v_ashrrev_i32_e32 v4, 31, v3
	v_lshrrev_b32_e32 v4, 26, v4
	v_add_u32_e32 v4, v3, v4
	v_ashrrev_i32_e32 v9, 6, v4
	v_and_b32_e32 v4, 0xffffffc0, v4
	v_sub_u32_e32 v21, v3, v4
	v_lshlrev_b32_e32 v3, 4, v21
	v_lshl_add_u32 v3, v9, 10, v3
	v_add_u32_e32 v4, v3, v20
	v_sub_u32_e32 v3, v8, v3
	v_addc_co_u32_e64 v8, vcc, 0, v11, s[26:27]
	v_ashrrev_i32_e32 v10, 31, v4
	v_add_co_u32_e32 v16, vcc, v4, v58
	v_addc_co_u32_e32 v17, vcc, v10, v59, vcc
	v_sub_u32_e32 v23, v8, v9
	v_cmp_lt_i32_e32 vcc, 15, v3
                                        ; implicit-def: $vgpr8_vgpr9
	s_and_saveexec_b64 s[88:89], vcc
	s_cbranch_execz .LBB8_4033
; %bb.4024:                             ;   in Loop: Header=BB8_3862 Depth=3
	v_add_co_u32_e32 v18, vcc, v4, v6
	v_addc_co_u32_e32 v19, vcc, v10, v7, vcc
	s_mov_b64 s[94:95], 0
                                        ; implicit-def: $sgpr92_sgpr93
                                        ; implicit-def: $vgpr8_vgpr9
	s_branch .LBB8_4026
.LBB8_4025:                             ;   in Loop: Header=BB8_4026 Depth=4
	s_or_b64 exec, exec, s[30:31]
	v_cmp_gt_i32_e32 vcc, 16, v3
	s_or_b64 s[90:91], vcc, s[90:91]
	s_andn2_b64 s[44:45], s[92:93], exec
	s_and_b64 s[92:93], s[94:95], exec
	s_or_b64 s[92:93], s[44:45], s[92:93]
	s_andn2_b64 exec, exec, s[90:91]
	s_cbranch_execz .LBB8_4032
.LBB8_4026:                             ;   Parent Loop BB8_47 Depth=1
                                        ;     Parent Loop BB8_3859 Depth=2
                                        ;       Parent Loop BB8_3862 Depth=3
                                        ; =>      This Inner Loop Header: Depth=4
	global_load_dwordx4 v[12:15], v[18:19], off glc slc
	s_and_saveexec_b64 s[30:31], s[94:95]
	s_cbranch_execz .LBB8_4028
; %bb.4027:                             ;   in Loop: Header=BB8_4026 Depth=4
	buffer_load_dword v4, off, s[0:3], s33 offset:136 ; 4-byte Folded Reload
	s_waitcnt vmcnt(0)
	v_add_co_u32_e32 v25, vcc, v16, v4
	buffer_load_dword v4, off, s[0:3], s33 offset:140 ; 4-byte Folded Reload
	s_waitcnt vmcnt(0)
	v_addc_co_u32_e32 v26, vcc, v17, v4, vcc
	global_store_dwordx4 v[16:17], v[8:11], off glc slc
	v_mov_b32_e32 v16, v25
	v_mov_b32_e32 v17, v26
.LBB8_4028:                             ;   in Loop: Header=BB8_4026 Depth=4
	s_or_b64 exec, exec, s[30:31]
	buffer_load_dword v4, off, s[0:3], s33 offset:136 ; 4-byte Folded Reload
	s_waitcnt vmcnt(0)
	v_add_co_u32_e32 v18, vcc, v18, v4
	buffer_load_dword v4, off, s[0:3], s33 offset:140 ; 4-byte Folded Reload
	s_waitcnt vmcnt(0)
	v_addc_co_u32_e32 v19, vcc, v19, v4, vcc
	buffer_load_dword v4, off, s[0:3], s33 offset:180 ; 4-byte Folded Reload
	s_waitcnt vmcnt(0)
	v_sub_u32_e32 v3, v3, v4
	v_cmp_lt_i32_e64 s[94:95], 15, v3
	s_and_saveexec_b64 s[30:31], s[94:95]
	s_cbranch_execz .LBB8_4030
; %bb.4029:                             ;   in Loop: Header=BB8_4026 Depth=4
	global_load_dwordx4 v[8:11], v[18:19], off glc slc
	v_add_co_u32_e32 v18, vcc, 0x400, v18
	v_addc_co_u32_e32 v19, vcc, 0, v19, vcc
.LBB8_4030:                             ;   in Loop: Header=BB8_4026 Depth=4
	s_or_b64 exec, exec, s[30:31]
	buffer_load_dword v4, off, s[0:3], s33 offset:128 ; 4-byte Folded Reload
	s_waitcnt vmcnt(0)
	v_sub_u32_e32 v23, v23, v4
	global_store_dwordx4 v[16:17], v[12:15], off glc slc
	v_add_co_u32_e32 v16, vcc, 0x400, v16
	v_addc_co_u32_e32 v17, vcc, 0, v17, vcc
	s_and_saveexec_b64 s[30:31], s[94:95]
	s_cbranch_execz .LBB8_4025
; %bb.4031:                             ;   in Loop: Header=BB8_4026 Depth=4
	buffer_load_dword v4, off, s[0:3], s33 offset:128 ; 4-byte Folded Reload
	v_add_co_u32_e32 v18, vcc, v18, v54
	v_addc_co_u32_e32 v19, vcc, v19, v55, vcc
	v_add_co_u32_e32 v16, vcc, v16, v54
	v_addc_co_u32_e32 v17, vcc, v17, v55, vcc
	s_waitcnt vmcnt(0)
	v_sub_u32_e32 v23, v23, v4
	buffer_load_dword v4, off, s[0:3], s33 offset:180 ; 4-byte Folded Reload
	s_waitcnt vmcnt(0)
	v_sub_u32_e32 v3, v3, v4
	s_branch .LBB8_4025
.LBB8_4032:                             ;   in Loop: Header=BB8_3862 Depth=3
	s_or_b64 exec, exec, s[90:91]
	s_and_b64 s[90:91], s[92:93], exec
.LBB8_4033:                             ;   in Loop: Header=BB8_3862 Depth=3
	s_or_b64 exec, exec, s[88:89]
	s_and_saveexec_b64 s[88:89], s[90:91]
	s_cbranch_execz .LBB8_4035
; %bb.4034:                             ;   in Loop: Header=BB8_3862 Depth=3
	global_store_dwordx4 v[16:17], v[8:11], off glc slc
.LBB8_4035:                             ;   in Loop: Header=BB8_3862 Depth=3
	s_or_b64 exec, exec, s[88:89]
	v_and_b32_e32 v9, 14, v29
	v_cndmask_b32_e64 v29, v24, v9, s[26:27]
	v_cmp_ne_u32_e32 vcc, 0, v29
	s_mov_b64 s[90:91], s[28:29]
                                        ; implicit-def: $vgpr3
                                        ; implicit-def: $vgpr8
                                        ; implicit-def: $vgpr4
	s_and_saveexec_b64 s[88:89], vcc
	s_cbranch_execz .LBB8_4037
; %bb.4036:                             ;   in Loop: Header=BB8_3862 Depth=3
	buffer_load_dword v4, off, s[0:3], s33 offset:128 ; 4-byte Folded Reload
	v_cmp_lt_i32_e32 vcc, 0, v23
	v_sub_u32_e32 v3, v24, v9
	v_cndmask_b32_e64 v3, 0, v3, s[26:27]
	v_add3_u32 v3, v22, v20, v3
	s_or_b64 s[90:91], s[28:29], exec
	s_waitcnt vmcnt(0)
	v_cndmask_b32_e32 v4, 0, v4, vcc
	v_sub_u32_e32 v4, v4, v23
	v_lshl_add_u32 v8, v4, 6, v21
	v_ashrrev_i32_e32 v4, 31, v8
	v_lshrrev_b32_e32 v4, 26, v4
	v_add_u32_e32 v4, v8, v4
	v_and_b32_e32 v4, 0xffffffc0, v4
	v_sub_u32_e32 v4, v8, v4
.LBB8_4037:                             ;   in Loop: Header=BB8_3862 Depth=3
	s_or_b64 exec, exec, s[88:89]
	s_andn2_b64 s[26:27], s[28:29], exec
	s_and_b64 s[28:29], s[90:91], exec
	s_or_b64 s[28:29], s[26:27], s[28:29]
.LBB8_4038:                             ;   in Loop: Header=BB8_3862 Depth=3
	s_or_b64 exec, exec, s[40:41]
	s_and_saveexec_b64 s[26:27], s[28:29]
	s_cbranch_execz .LBB8_4059
.LBB8_4039:                             ;   in Loop: Header=BB8_3862 Depth=3
	s_waitcnt vmcnt(0)
	v_ashrrev_i32_e32 v9, 31, v8
	v_lshrrev_b32_e32 v9, 26, v9
	v_add_u32_e32 v8, v8, v9
	v_ashrrev_i32_e32 v8, 6, v8
	v_lshlrev_b32_e32 v9, 10, v8
	v_lshlrev_b32_e32 v10, 1, v4
	v_add3_u32 v10, v3, v10, v9
	v_ashrrev_i32_e32 v9, 31, v29
	v_lshrrev_b32_e32 v9, 22, v9
	v_add_u32_e32 v9, v29, v9
	v_ashrrev_i32_e32 v14, 10, v9
	v_sub_u32_e32 v12, v14, v8
	v_ashrrev_i32_e32 v11, 31, v10
	v_add_co_u32_e32 v8, vcc, v58, v10
	v_addc_co_u32_e32 v9, vcc, v59, v11, vcc
	v_cmp_lt_i32_e32 vcc, 0, v12
	s_mov_b64 s[40:41], 0
                                        ; implicit-def: $vgpr15
                                        ; implicit-def: $vgpr16
                                        ; implicit-def: $vgpr17
                                        ; implicit-def: $vgpr18
                                        ; implicit-def: $vgpr19
                                        ; implicit-def: $vgpr20
                                        ; implicit-def: $vgpr21
                                        ; implicit-def: $vgpr22
	s_and_saveexec_b64 s[28:29], vcc
	s_cbranch_execz .LBB8_4047
; %bb.4040:                             ;   in Loop: Header=BB8_3862 Depth=3
	v_add_co_u32_e32 v10, vcc, v10, v6
	v_addc_co_u32_e32 v11, vcc, v11, v7, vcc
	s_mov_b64 s[90:91], 0
                                        ; implicit-def: $sgpr88_sgpr89
                                        ; implicit-def: $vgpr15
                                        ; implicit-def: $vgpr16
                                        ; implicit-def: $vgpr17
                                        ; implicit-def: $vgpr18
                                        ; implicit-def: $vgpr19
                                        ; implicit-def: $vgpr20
                                        ; implicit-def: $vgpr21
                                        ; implicit-def: $vgpr22
	s_branch .LBB8_4042
.LBB8_4041:                             ;   in Loop: Header=BB8_4042 Depth=4
	s_or_b64 exec, exec, s[92:93]
	s_waitcnt lgkmcnt(0)
	flat_store_short v[8:9], v23 glc slc
	flat_store_short v[8:9], v24 offset:128 glc slc
	flat_store_short v[8:9], v25 offset:256 glc slc
	;; [unrolled: 1-line block ×7, first 2 shown]
	v_add_co_u32_e32 v8, vcc, v8, v12
	v_addc_co_u32_e32 v9, vcc, v9, v13, vcc
	v_add_co_u32_e32 v8, vcc, s55, v8
	v_addc_co_u32_e32 v9, vcc, 0, v9, vcc
	;; [unrolled: 2-line block ×3, first 2 shown]
	s_waitcnt vmcnt(0)
	v_sub_u32_e32 v12, v33, v34
	v_cmp_gt_i32_e32 vcc, 1, v12
	s_or_b64 s[40:41], vcc, s[40:41]
	s_andn2_b64 s[44:45], s[88:89], exec
	s_and_b64 s[88:89], s[90:91], exec
	s_or_b64 s[88:89], s[44:45], s[88:89]
	s_andn2_b64 exec, exec, s[40:41]
	s_cbranch_execz .LBB8_4046
.LBB8_4042:                             ;   Parent Loop BB8_47 Depth=1
                                        ;     Parent Loop BB8_3859 Depth=2
                                        ;       Parent Loop BB8_3862 Depth=3
                                        ; =>      This Inner Loop Header: Depth=4
	flat_load_ushort v23, v[10:11] glc slc
	flat_load_ushort v24, v[10:11] offset:128 glc slc
	flat_load_ushort v25, v[10:11] offset:256 glc slc
	;; [unrolled: 1-line block ×7, first 2 shown]
	s_and_saveexec_b64 s[92:93], s[90:91]
	s_cbranch_execz .LBB8_4044
; %bb.4043:                             ;   in Loop: Header=BB8_4042 Depth=4
	flat_store_short v[8:9], v15 glc slc
	flat_store_short v[8:9], v16 offset:128 glc slc
	flat_store_short v[8:9], v17 offset:256 glc slc
	flat_store_short v[8:9], v18 offset:384 glc slc
	flat_store_short v[8:9], v19 offset:512 glc slc
	flat_store_short v[8:9], v20 offset:640 glc slc
	flat_store_short v[8:9], v21 offset:768 glc slc
	flat_store_short v[8:9], v22 offset:896 glc slc
	buffer_load_dword v13, off, s[0:3], s33 offset:136 ; 4-byte Folded Reload
	s_waitcnt vmcnt(0)
	v_add_co_u32_e32 v8, vcc, v8, v13
	buffer_load_dword v13, off, s[0:3], s33 offset:140 ; 4-byte Folded Reload
	s_waitcnt vmcnt(0)
	v_addc_co_u32_e32 v9, vcc, v9, v13, vcc
.LBB8_4044:                             ;   in Loop: Header=BB8_4042 Depth=4
	s_or_b64 exec, exec, s[92:93]
	buffer_load_dword v13, off, s[0:3], s33 offset:136 ; 4-byte Folded Reload
	v_mov_b32_e32 v34, 0
	s_waitcnt vmcnt(0)
	v_add_co_u32_e32 v10, vcc, v10, v13
	buffer_load_dword v13, off, s[0:3], s33 offset:140 ; 4-byte Folded Reload
	s_waitcnt vmcnt(0)
	v_addc_co_u32_e32 v11, vcc, v11, v13, vcc
	buffer_load_dword v13, off, s[0:3], s33 offset:128 ; 4-byte Folded Reload
	s_waitcnt vmcnt(0)
	v_sub_u32_e32 v33, v12, v13
	v_mov_b32_e32 v12, 0
	v_mov_b32_e32 v13, 0
	v_cmp_lt_i32_e64 s[90:91], 0, v33
	s_and_saveexec_b64 s[92:93], s[90:91]
	s_cbranch_execz .LBB8_4041
; %bb.4045:                             ;   in Loop: Header=BB8_4042 Depth=4
	flat_load_ushort v15, v[10:11] glc slc
	flat_load_ushort v16, v[10:11] offset:128 glc slc
	flat_load_ushort v17, v[10:11] offset:256 glc slc
	;; [unrolled: 1-line block ×7, first 2 shown]
	buffer_load_dword v34, off, s[0:3], s33 offset:128 ; 4-byte Folded Reload
	v_add_co_u32_e32 v10, vcc, 0x400, v10
	v_mov_b32_e32 v12, v54
	v_addc_co_u32_e32 v11, vcc, 0, v11, vcc
	v_mov_b32_e32 v13, v55
	s_branch .LBB8_4041
.LBB8_4046:                             ;   in Loop: Header=BB8_3862 Depth=3
	s_or_b64 exec, exec, s[40:41]
	s_and_b64 s[40:41], s[88:89], exec
.LBB8_4047:                             ;   in Loop: Header=BB8_3862 Depth=3
	s_or_b64 exec, exec, s[28:29]
	s_and_saveexec_b64 s[28:29], s[40:41]
	s_cbranch_execz .LBB8_4049
; %bb.4048:                             ;   in Loop: Header=BB8_3862 Depth=3
	flat_store_short v[8:9], v15 glc slc
	flat_store_short v[8:9], v16 offset:128 glc slc
	flat_store_short v[8:9], v17 offset:256 glc slc
	;; [unrolled: 1-line block ×7, first 2 shown]
.LBB8_4049:                             ;   in Loop: Header=BB8_3862 Depth=3
	s_or_b64 exec, exec, s[28:29]
	v_lshlrev_b32_e32 v8, 10, v14
	v_cmp_ne_u32_e32 vcc, v29, v8
	s_and_b64 exec, exec, vcc
	s_cbranch_execz .LBB8_4059
; %bb.4050:                             ;   in Loop: Header=BB8_3862 Depth=3
	v_lshlrev_b32_e32 v9, 6, v12
	v_sub_u32_e32 v4, v4, v9
	v_ashrrev_i32_e32 v9, 31, v4
	v_lshrrev_b32_e32 v9, 26, v9
	v_add_u32_e32 v9, v4, v9
	v_and_b32_e32 v10, 0x7fffffc0, v9
	v_sub_u32_e32 v4, v4, v10
	v_lshlrev_b32_e32 v9, 1, v9
	v_and_b32_e32 v9, 0xffffff80, v9
	v_lshlrev_b32_e32 v4, 1, v4
	v_add3_u32 v4, v9, v4, v8
	v_sub_u32_e32 v11, v29, v4
	v_cmp_lt_i32_e32 vcc, 1, v11
	s_and_b64 exec, exec, vcc
	s_cbranch_execz .LBB8_4059
; %bb.4051:                             ;   in Loop: Header=BB8_3862 Depth=3
	v_add_u32_e32 v3, v4, v3
	v_ashrrev_i32_e32 v4, 31, v3
	v_add_co_u32_e32 v8, vcc, v58, v3
	v_addc_co_u32_e32 v9, vcc, v59, v4, vcc
	v_add_co_u32_e32 v6, vcc, v3, v6
	v_addc_co_u32_e32 v7, vcc, v4, v7, vcc
	s_mov_b64 s[88:89], 0
	s_mov_b64 s[28:29], 0
                                        ; implicit-def: $sgpr40_sgpr41
                                        ; implicit-def: $vgpr10
	s_branch .LBB8_4053
.LBB8_4052:                             ;   in Loop: Header=BB8_4053 Depth=4
	s_or_b64 exec, exec, s[90:91]
	s_waitcnt lgkmcnt(0)
	flat_store_short v[8:9], v12 glc slc
	s_waitcnt vmcnt(0)
	v_add_co_u32_e32 v8, vcc, v8, v6
	v_addc_co_u32_e32 v9, vcc, v9, v7, vcc
	v_add_co_u32_e32 v6, vcc, v3, v6
	v_addc_co_u32_e32 v7, vcc, v4, v7, vcc
	;; [unrolled: 2-line block ×3, first 2 shown]
	v_sub_u32_e32 v11, v11, v13
	v_cmp_gt_i32_e32 vcc, 2, v11
	s_or_b64 s[28:29], vcc, s[28:29]
	s_andn2_b64 s[40:41], s[40:41], exec
	s_and_b64 s[44:45], s[88:89], exec
	s_or_b64 s[40:41], s[40:41], s[44:45]
	s_andn2_b64 exec, exec, s[28:29]
	s_cbranch_execz .LBB8_4057
.LBB8_4053:                             ;   Parent Loop BB8_47 Depth=1
                                        ;     Parent Loop BB8_3859 Depth=2
                                        ;       Parent Loop BB8_3862 Depth=3
                                        ; =>      This Inner Loop Header: Depth=4
	flat_load_ushort v12, v[6:7] glc slc
	s_and_saveexec_b64 s[90:91], s[88:89]
	s_cbranch_execz .LBB8_4055
; %bb.4054:                             ;   in Loop: Header=BB8_4053 Depth=4
	buffer_load_dword v3, off, s[0:3], s33 offset:192 ; 4-byte Folded Reload
	buffer_load_dword v4, off, s[0:3], s33 offset:196 ; 4-byte Folded Reload
	s_waitcnt vmcnt(0)
	v_add_co_u32_e32 v3, vcc, v8, v3
	v_addc_co_u32_e32 v4, vcc, v9, v4, vcc
	flat_store_short v[8:9], v10 glc slc
	v_mov_b32_e32 v9, v4
	v_mov_b32_e32 v8, v3
.LBB8_4055:                             ;   in Loop: Header=BB8_4053 Depth=4
	s_or_b64 exec, exec, s[90:91]
	buffer_load_dword v3, off, s[0:3], s33 offset:192 ; 4-byte Folded Reload
	buffer_load_dword v4, off, s[0:3], s33 offset:196 ; 4-byte Folded Reload
	v_mov_b32_e32 v13, 0
	s_waitcnt vmcnt(0)
	v_add_co_u32_e32 v3, vcc, v6, v3
	buffer_load_dword v6, off, s[0:3], s33 offset:168 ; 4-byte Folded Reload
	v_addc_co_u32_e32 v4, vcc, v7, v4, vcc
	s_waitcnt vmcnt(0)
	v_sub_u32_e32 v11, v11, v6
	v_mov_b32_e32 v6, 0
	v_cmp_lt_i32_e64 s[88:89], 1, v11
	v_mov_b32_e32 v7, 0
	s_and_saveexec_b64 s[90:91], s[88:89]
	s_cbranch_execz .LBB8_4052
; %bb.4056:                             ;   in Loop: Header=BB8_4053 Depth=4
	flat_load_ushort v10, v[3:4] glc slc
	buffer_load_dword v13, off, s[0:3], s33 offset:168 ; 4-byte Folded Reload
	buffer_load_dword v6, off, s[0:3], s33 offset:184 ; 4-byte Folded Reload
	;; [unrolled: 1-line block ×3, first 2 shown]
	v_add_co_u32_e32 v3, vcc, 0x80, v3
	v_addc_co_u32_e32 v4, vcc, 0, v4, vcc
	s_branch .LBB8_4052
.LBB8_4057:                             ;   in Loop: Header=BB8_3862 Depth=3
	s_or_b64 exec, exec, s[28:29]
	s_and_b64 exec, exec, s[40:41]
	s_cbranch_execz .LBB8_4059
; %bb.4058:                             ;   in Loop: Header=BB8_3862 Depth=3
	flat_store_short v[8:9], v10 glc slc
.LBB8_4059:                             ;   in Loop: Header=BB8_3862 Depth=3
	s_or_b64 exec, exec, s[26:27]
	v_cmp_lt_i32_e64 s[26:27], 0, v1
	s_and_saveexec_b64 s[28:29], s[10:11]
	s_cbranch_execz .LBB8_3945
.LBB8_4060:                             ;   in Loop: Header=BB8_3862 Depth=3
	s_and_saveexec_b64 s[40:41], s[56:57]
	s_xor_b64 s[40:41], exec, s[40:41]
	s_cbranch_execz .LBB8_4075
; %bb.4061:                             ;   in Loop: Header=BB8_3862 Depth=3
	s_and_saveexec_b64 s[88:89], s[16:17]
	s_cbranch_execz .LBB8_4074
; %bb.4062:                             ;   in Loop: Header=BB8_3862 Depth=3
	s_mov_b64 s[92:93], exec
	v_mbcnt_lo_u32_b32 v1, s92, 0
	v_mbcnt_hi_u32_b32 v1, s93, v1
	v_cmp_eq_u32_e32 vcc, 0, v1
	s_waitcnt vmcnt(0) lgkmcnt(0)
	buffer_wbinvl1_vol
	s_and_saveexec_b64 s[90:91], vcc
	s_cbranch_execz .LBB8_4064
; %bb.4063:                             ;   in Loop: Header=BB8_3862 Depth=3
	s_bcnt1_i32_b64 s44, s[92:93]
	v_mov_b32_e32 v3, s44
	v_mov_b32_e32 v4, v2
	ds_add_u64 v0, v[3:4]
	s_trap 2
.LBB8_4064:                             ;   in Loop: Header=BB8_3862 Depth=3
	s_or_b64 exec, exec, s[90:91]
	s_trap 2
	ds_read_b64 v[3:4], v0
	s_waitcnt lgkmcnt(0)
	buffer_load_dword v1, off, s[0:3], s33 offset:128 ; 4-byte Folded Reload
	buffer_load_dword v6, off, s[0:3], s33 offset:144 ; 4-byte Folded Reload
	;; [unrolled: 1-line block ×3, first 2 shown]
	s_waitcnt vmcnt(1)
	v_add_co_u32_e32 v6, vcc, v6, v1
	s_waitcnt vmcnt(0)
	v_addc_co_u32_e32 v7, vcc, 0, v7, vcc
	buffer_store_dword v6, off, s[0:3], s33 offset:144 ; 4-byte Folded Spill
	s_nop 0
	buffer_store_dword v7, off, s[0:3], s33 offset:148 ; 4-byte Folded Spill
	v_cmp_lt_u64_e32 vcc, v[3:4], v[6:7]
	s_and_saveexec_b64 s[90:91], vcc
	s_cbranch_execz .LBB8_4073
; %bb.4065:                             ;   in Loop: Header=BB8_3862 Depth=3
	s_mov_b32 s44, 0
	s_mov_b64 s[92:93], 0
                                        ; implicit-def: $sgpr94_sgpr95
                                        ; implicit-def: $sgpr30_sgpr31
	s_branch .LBB8_4067
.LBB8_4066:                             ;   in Loop: Header=BB8_4067 Depth=4
	s_or_b64 exec, exec, s[36:37]
	s_and_b64 vcc, exec, vcc
	s_or_b64 s[92:93], vcc, s[92:93]
	s_andn2_b64 s[94:95], s[94:95], exec
	s_and_b64 vcc, s[30:31], exec
	s_or_b64 s[94:95], s[94:95], vcc
	s_andn2_b64 exec, exec, s[92:93]
	s_cbranch_execz .LBB8_4071
.LBB8_4067:                             ;   Parent Loop BB8_47 Depth=1
                                        ;     Parent Loop BB8_3859 Depth=2
                                        ;       Parent Loop BB8_3862 Depth=3
                                        ; =>      This Inner Loop Header: Depth=4
	s_add_i32 s44, s44, 1
	s_cmpk_lg_i32 s44, 0x2710
	s_cselect_b64 s[34:35], -1, 0
	s_and_b64 vcc, exec, s[34:35]
	s_cbranch_vccz .LBB8_4069
; %bb.4068:                             ;   in Loop: Header=BB8_4067 Depth=4
	s_mov_b64 vcc, -1
	s_or_b64 s[30:31], s[30:31], exec
	s_and_saveexec_b64 s[36:37], s[34:35]
	s_cbranch_execz .LBB8_4066
	s_branch .LBB8_4070
.LBB8_4069:                             ;   in Loop: Header=BB8_4067 Depth=4
	s_trap 2
	ds_read_b64 v[3:4], v0
	s_andn2_b64 s[34:35], s[34:35], exec
	s_mov_b32 s44, 0
	s_waitcnt vmcnt(0) lgkmcnt(0)
	flat_load_dword v1, v[3:4] glc
	s_waitcnt vmcnt(0) lgkmcnt(0)
	buffer_wbinvl1_vol
	v_cmp_eq_u32_e32 vcc, 0, v1
	s_and_b64 vcc, vcc, exec
	s_or_b64 s[34:35], s[34:35], vcc
	s_mov_b64 vcc, -1
	s_or_b64 s[30:31], s[30:31], exec
	s_and_saveexec_b64 s[36:37], s[34:35]
	s_cbranch_execz .LBB8_4066
.LBB8_4070:                             ;   in Loop: Header=BB8_4067 Depth=4
	s_sleep 1
	s_trap 2
	ds_read_b64 v[3:4], v0
	s_waitcnt lgkmcnt(0)
	buffer_load_dword v6, off, s[0:3], s33 offset:144 ; 4-byte Folded Reload
	buffer_load_dword v7, off, s[0:3], s33 offset:148 ; 4-byte Folded Reload
	s_andn2_b64 s[30:31], s[30:31], exec
	s_waitcnt vmcnt(0)
	v_cmp_ge_u64_e32 vcc, v[3:4], v[6:7]
	s_orn2_b64 vcc, vcc, exec
	s_branch .LBB8_4066
.LBB8_4071:                             ;   in Loop: Header=BB8_3862 Depth=3
	s_or_b64 exec, exec, s[92:93]
	s_and_saveexec_b64 s[44:45], s[94:95]
	s_xor_b64 s[44:45], exec, s[44:45]
	s_cbranch_execz .LBB8_4073
; %bb.4072:                             ;   in Loop: Header=BB8_3862 Depth=3
	v_mov_b32_e32 v1, 1
	ds_write_b32 v0, v1
	s_trap 2
.LBB8_4073:                             ;   in Loop: Header=BB8_3862 Depth=3
	s_or_b64 exec, exec, s[90:91]
	;;#ASMSTART
	s_wakeup
	;;#ASMEND
.LBB8_4074:                             ;   in Loop: Header=BB8_3862 Depth=3
	s_or_b64 exec, exec, s[88:89]
.LBB8_4075:                             ;   in Loop: Header=BB8_3862 Depth=3
	s_andn2_saveexec_b64 s[40:41], s[40:41]
	s_cbranch_execz .LBB8_4077
; %bb.4076:                             ;   in Loop: Header=BB8_3862 Depth=3
	s_waitcnt vmcnt(0) lgkmcnt(0)
	buffer_wbinvl1_vol
	s_barrier
.LBB8_4077:                             ;   in Loop: Header=BB8_3862 Depth=3
	s_or_b64 exec, exec, s[40:41]
	s_or_b64 exec, exec, s[28:29]
                                        ; implicit-def: $vgpr1
	s_and_saveexec_b64 s[28:29], s[24:25]
	s_xor_b64 s[28:29], exec, s[28:29]
	s_cbranch_execnz .LBB8_3946
.LBB8_4078:                             ;   in Loop: Header=BB8_3862 Depth=3
	s_andn2_saveexec_b64 s[26:27], s[28:29]
	s_cbranch_execz .LBB8_4097
.LBB8_4079:                             ;   in Loop: Header=BB8_3862 Depth=3
	s_and_saveexec_b64 s[28:29], s[56:57]
	s_xor_b64 s[28:29], exec, s[28:29]
	s_cbranch_execz .LBB8_4094
; %bb.4080:                             ;   in Loop: Header=BB8_3862 Depth=3
	s_and_saveexec_b64 s[40:41], s[16:17]
	s_cbranch_execz .LBB8_4093
; %bb.4081:                             ;   in Loop: Header=BB8_3862 Depth=3
	s_mov_b64 s[90:91], exec
	v_mbcnt_lo_u32_b32 v1, s90, 0
	v_mbcnt_hi_u32_b32 v1, s91, v1
	v_cmp_eq_u32_e32 vcc, 0, v1
	;;#ASMSTART
	s_waitcnt lgkmcnt(0) vmcnt(0)
	;;#ASMEND
	s_and_saveexec_b64 s[88:89], vcc
	s_cbranch_execz .LBB8_4083
; %bb.4082:                             ;   in Loop: Header=BB8_3862 Depth=3
	s_bcnt1_i32_b64 s44, s[90:91]
	v_mov_b32_e32 v3, s44
	s_waitcnt vmcnt(0)
	v_mov_b32_e32 v4, v2
	s_waitcnt lgkmcnt(0)
	ds_add_u64 v0, v[3:4]
	s_trap 2
.LBB8_4083:                             ;   in Loop: Header=BB8_3862 Depth=3
	s_or_b64 exec, exec, s[88:89]
	s_trap 2
	s_waitcnt vmcnt(0)
	ds_read_b64 v[3:4], v0
	s_waitcnt lgkmcnt(0)
	buffer_load_dword v1, off, s[0:3], s33 offset:128 ; 4-byte Folded Reload
	buffer_load_dword v6, off, s[0:3], s33 offset:144 ; 4-byte Folded Reload
	;; [unrolled: 1-line block ×3, first 2 shown]
	s_waitcnt vmcnt(1)
	v_add_co_u32_e32 v6, vcc, v6, v1
	s_waitcnt vmcnt(0)
	v_addc_co_u32_e32 v7, vcc, 0, v7, vcc
	buffer_store_dword v6, off, s[0:3], s33 offset:144 ; 4-byte Folded Spill
	s_nop 0
	buffer_store_dword v7, off, s[0:3], s33 offset:148 ; 4-byte Folded Spill
	v_cmp_lt_u64_e32 vcc, v[3:4], v[6:7]
	s_and_saveexec_b64 s[88:89], vcc
	s_cbranch_execz .LBB8_4092
; %bb.4084:                             ;   in Loop: Header=BB8_3862 Depth=3
	s_mov_b32 s44, 0
	s_mov_b64 s[90:91], 0
                                        ; implicit-def: $sgpr92_sgpr93
                                        ; implicit-def: $sgpr94_sgpr95
	s_branch .LBB8_4086
.LBB8_4085:                             ;   in Loop: Header=BB8_4086 Depth=4
	s_or_b64 exec, exec, s[34:35]
	s_and_b64 vcc, exec, vcc
	s_or_b64 s[90:91], vcc, s[90:91]
	s_andn2_b64 s[92:93], s[92:93], exec
	s_and_b64 vcc, s[94:95], exec
	s_or_b64 s[92:93], s[92:93], vcc
	s_andn2_b64 exec, exec, s[90:91]
	s_cbranch_execz .LBB8_4090
.LBB8_4086:                             ;   Parent Loop BB8_47 Depth=1
                                        ;     Parent Loop BB8_3859 Depth=2
                                        ;       Parent Loop BB8_3862 Depth=3
                                        ; =>      This Inner Loop Header: Depth=4
	s_add_i32 s44, s44, 1
	s_cmpk_lg_i32 s44, 0x2710
	s_cselect_b64 s[30:31], -1, 0
	s_and_b64 vcc, exec, s[30:31]
	s_cbranch_vccz .LBB8_4088
; %bb.4087:                             ;   in Loop: Header=BB8_4086 Depth=4
	s_mov_b64 vcc, -1
	s_or_b64 s[94:95], s[94:95], exec
	s_and_saveexec_b64 s[34:35], s[30:31]
	s_cbranch_execz .LBB8_4085
	s_branch .LBB8_4089
.LBB8_4088:                             ;   in Loop: Header=BB8_4086 Depth=4
	s_trap 2
	ds_read_b64 v[3:4], v0
	s_andn2_b64 s[30:31], s[30:31], exec
	s_mov_b32 s44, 0
	s_waitcnt vmcnt(0) lgkmcnt(0)
	flat_load_dword v1, v[3:4] glc
	s_waitcnt vmcnt(0) lgkmcnt(0)
	buffer_wbinvl1_vol
	v_cmp_eq_u32_e32 vcc, 0, v1
	s_and_b64 vcc, vcc, exec
	s_or_b64 s[30:31], s[30:31], vcc
	s_mov_b64 vcc, -1
	s_or_b64 s[94:95], s[94:95], exec
	s_and_saveexec_b64 s[34:35], s[30:31]
	s_cbranch_execz .LBB8_4085
.LBB8_4089:                             ;   in Loop: Header=BB8_4086 Depth=4
	s_sleep 1
	s_trap 2
	ds_read_b64 v[3:4], v0
	s_waitcnt lgkmcnt(0)
	buffer_load_dword v6, off, s[0:3], s33 offset:144 ; 4-byte Folded Reload
	buffer_load_dword v7, off, s[0:3], s33 offset:148 ; 4-byte Folded Reload
	s_andn2_b64 s[94:95], s[94:95], exec
	s_waitcnt vmcnt(0)
	v_cmp_ge_u64_e32 vcc, v[3:4], v[6:7]
	s_orn2_b64 vcc, vcc, exec
	s_branch .LBB8_4085
.LBB8_4090:                             ;   in Loop: Header=BB8_3862 Depth=3
	s_or_b64 exec, exec, s[90:91]
	s_and_saveexec_b64 s[44:45], s[92:93]
	s_xor_b64 s[44:45], exec, s[44:45]
	s_cbranch_execz .LBB8_4092
; %bb.4091:                             ;   in Loop: Header=BB8_3862 Depth=3
	v_mov_b32_e32 v1, 1
	ds_write_b32 v0, v1
	s_trap 2
.LBB8_4092:                             ;   in Loop: Header=BB8_3862 Depth=3
	s_or_b64 exec, exec, s[88:89]
	;;#ASMSTART
	s_wakeup
	;;#ASMEND
.LBB8_4093:                             ;   in Loop: Header=BB8_3862 Depth=3
	s_or_b64 exec, exec, s[40:41]
.LBB8_4094:                             ;   in Loop: Header=BB8_3862 Depth=3
	s_andn2_saveexec_b64 s[28:29], s[28:29]
	s_cbranch_execz .LBB8_4096
; %bb.4095:                             ;   in Loop: Header=BB8_3862 Depth=3
	;;#ASMSTART
	s_waitcnt lgkmcnt(0) vmcnt(0)
	;;#ASMEND
	s_waitcnt vmcnt(0) lgkmcnt(0)
	s_barrier
.LBB8_4096:                             ;   in Loop: Header=BB8_3862 Depth=3
	s_or_b64 exec, exec, s[28:29]
	buffer_load_dword v1, off, s[0:3], s33 offset:132 ; 4-byte Folded Reload
	s_waitcnt vmcnt(0)
	v_and_b32_e32 v1, 16, v1
.LBB8_4097:                             ;   in Loop: Header=BB8_3862 Depth=3
	s_or_b64 exec, exec, s[26:27]
	v_cmp_ne_u32_e32 vcc, 0, v1
	s_xor_b64 s[26:27], s[12:13], -1
	s_and_b64 s[28:29], vcc, s[26:27]
	s_and_saveexec_b64 s[26:27], s[28:29]
	s_cbranch_execz .LBB8_4099
; %bb.4098:                             ;   in Loop: Header=BB8_3862 Depth=3
	buffer_load_dword v3, off, s[0:3], s33 offset:232 ; 4-byte Folded Reload
	buffer_load_dword v4, off, s[0:3], s33 offset:236 ; 4-byte Folded Reload
	v_mov_b32_e32 v1, 1
	s_waitcnt vmcnt(0)
	flat_store_dword v[3:4], v1
.LBB8_4099:                             ;   in Loop: Header=BB8_3862 Depth=3
	s_or_b64 exec, exec, s[26:27]
	buffer_load_dword v1, off, s[0:3], s33 offset:132 ; 4-byte Folded Reload
	s_waitcnt vmcnt(0)
	v_and_b32_e32 v1, 48, v1
	v_cmp_ne_u32_e32 vcc, 0, v1
	s_and_saveexec_b64 s[26:27], vcc
	s_cbranch_execz .LBB8_3861
; %bb.4100:                             ;   in Loop: Header=BB8_3862 Depth=3
	buffer_load_dword v3, off, s[0:3], s33 offset:160 ; 4-byte Folded Reload
	buffer_load_dword v4, off, s[0:3], s33 offset:164 ; 4-byte Folded Reload
	s_waitcnt vmcnt(0)
	v_add_co_u32_e32 v3, vcc, 2, v3
	v_addc_co_u32_e32 v4, vcc, 0, v4, vcc
	buffer_store_dword v3, off, s[0:3], s33 offset:160 ; 4-byte Folded Spill
	s_nop 0
	buffer_store_dword v4, off, s[0:3], s33 offset:164 ; 4-byte Folded Spill
	flat_store_dwordx2 v[40:41], v[3:4]
	s_branch .LBB8_3861
.LBB8_4101:                             ;   in Loop: Header=BB8_3859 Depth=2
	s_or_b64 exec, exec, s[42:43]
	v_cmp_gt_i32_e32 vcc, 2, v1
	s_and_saveexec_b64 s[28:29], vcc
	s_cbranch_execz .LBB8_4177
.LBB8_4102:                             ;   in Loop: Header=BB8_3859 Depth=2
	v_cmp_eq_u32_e64 s[42:43], 0, v1
	s_mov_b64 s[40:41], 0
	s_branch .LBB8_4104
.LBB8_4103:                             ;   in Loop: Header=BB8_4104 Depth=3
	s_or_b64 exec, exec, s[26:27]
	v_add_u32_e32 v28, v0, v28
	s_mov_b64 s[42:43], 0
	s_andn2_b64 exec, exec, s[40:41]
	s_cbranch_execz .LBB8_4178
.LBB8_4104:                             ;   Parent Loop BB8_47 Depth=1
                                        ;     Parent Loop BB8_3859 Depth=2
                                        ; =>    This Loop Header: Depth=3
                                        ;         Child Loop BB8_4110 Depth 4
                                        ;         Child Loop BB8_4138 Depth 4
                                        ;         Child Loop BB8_4161 Depth 4
	v_sub_u32_e32 v1, v5, v28
	v_min_i32_e32 v0, v0, v1
	buffer_load_dword v1, off, s[0:3], s33 offset:132 ; 4-byte Folded Reload
	s_waitcnt vmcnt(0)
	v_and_b32_e32 v1, 12, v1
	v_cmp_ne_u32_e32 vcc, 0, v1
	s_and_saveexec_b64 s[76:77], vcc
	s_cbranch_execz .LBB8_4130
; %bb.4105:                             ;   in Loop: Header=BB8_4104 Depth=3
	buffer_load_dword v1, off, s[0:3], s33 offset:132 ; 4-byte Folded Reload
	buffer_load_dword v6, off, s[0:3], s33 offset:160 ; 4-byte Folded Reload
	;; [unrolled: 1-line block ×3, first 2 shown]
	s_waitcnt vmcnt(0)
	v_and_b32_e32 v12, 8, v1
	s_waitcnt lgkmcnt(0)
	v_add_co_u32_e32 v3, vcc, v46, v12
	v_addc_co_u32_e32 v4, vcc, 0, v47, vcc
	v_add_co_u32_e32 v6, vcc, 2, v6
	v_addc_co_u32_e32 v7, vcc, 0, v7, vcc
	v_cmp_lt_u64_e32 vcc, v[3:4], v[6:7]
	s_and_saveexec_b64 s[78:79], vcc
	s_cbranch_execz .LBB8_4117
; %bb.4106:                             ;   in Loop: Header=BB8_4104 Depth=3
	buffer_load_dword v1, off, s[0:3], s33 offset:132 ; 4-byte Folded Reload
	s_mov_b32 s44, 0
	s_mov_b64 s[88:89], 0
                                        ; implicit-def: $sgpr90_sgpr91
                                        ; implicit-def: $sgpr92_sgpr93
                                        ; implicit-def: $sgpr94_sgpr95
	s_waitcnt vmcnt(0)
	v_and_b32_e32 v1, 64, v1
	v_cmp_eq_u32_e32 vcc, 0, v1
	s_branch .LBB8_4110
.LBB8_4107:                             ;   in Loop: Header=BB8_4110 Depth=4
	s_waitcnt vmcnt(0) lgkmcnt(0)
	v_add_co_u32_e64 v3, s[26:27], v46, v12
	v_addc_co_u32_e64 v4, s[26:27], 0, v47, s[26:27]
	v_cmp_ge_u64_e64 s[26:27], v[3:4], v[6:7]
	s_or_b64 s[36:37], s[36:37], exec
	s_orn2_b64 s[34:35], s[26:27], exec
.LBB8_4108:                             ;   in Loop: Header=BB8_4110 Depth=4
	s_or_b64 exec, exec, s[48:49]
	s_andn2_b64 s[26:27], s[94:95], exec
	s_and_b64 s[94:95], s[36:37], exec
	s_or_b64 s[94:95], s[26:27], s[94:95]
	s_andn2_b64 s[26:27], s[92:93], exec
	s_and_b64 s[92:93], s[34:35], exec
	s_or_b64 s[92:93], s[26:27], s[92:93]
.LBB8_4109:                             ;   in Loop: Header=BB8_4110 Depth=4
	s_or_b64 exec, exec, s[30:31]
	s_and_b64 s[26:27], exec, s[92:93]
	s_or_b64 s[88:89], s[26:27], s[88:89]
	s_andn2_b64 s[26:27], s[90:91], exec
	s_and_b64 s[90:91], s[94:95], exec
	s_or_b64 s[90:91], s[26:27], s[90:91]
	s_andn2_b64 exec, exec, s[88:89]
	s_cbranch_execz .LBB8_4114
.LBB8_4110:                             ;   Parent Loop BB8_47 Depth=1
                                        ;     Parent Loop BB8_3859 Depth=2
                                        ;       Parent Loop BB8_4104 Depth=3
                                        ; =>      This Inner Loop Header: Depth=4
	s_sleep 1
	s_waitcnt vmcnt(0) lgkmcnt(0)
	flat_load_dwordx2 v[46:47], v[40:41] glc
	s_or_b64 s[94:95], s[94:95], exec
	s_or_b64 s[92:93], s[92:93], exec
                                        ; implicit-def: $vgpr1
	s_and_saveexec_b64 s[30:31], vcc
	s_cbranch_execz .LBB8_4109
; %bb.4111:                             ;   in Loop: Header=BB8_4110 Depth=4
	s_cmpk_lt_i32 s44, 0x270f
	s_cselect_b64 s[38:39], -1, 0
	s_cmpk_gt_i32 s44, 0x270e
	s_mov_b64 s[34:35], -1
	s_cbranch_scc0 .LBB8_4113
; %bb.4112:                             ;   in Loop: Header=BB8_4110 Depth=4
	s_trap 2
	ds_read_b64 v[3:4], v0
	s_andn2_b64 s[38:39], s[38:39], exec
	s_mov_b32 s44, 0
	s_mov_b64 s[36:37], 0
	s_waitcnt vmcnt(0) lgkmcnt(0)
	flat_load_dword v1, v[3:4] glc
	s_waitcnt vmcnt(0) lgkmcnt(0)
	buffer_wbinvl1_vol
	v_cmp_eq_u32_e64 s[26:27], 0, v1
	s_and_b64 s[26:27], s[26:27], exec
	s_or_b64 s[38:39], s[38:39], s[26:27]
	s_and_saveexec_b64 s[48:49], s[38:39]
	s_cbranch_execz .LBB8_4108
	s_branch .LBB8_4107
.LBB8_4113:                             ;   in Loop: Header=BB8_4110 Depth=4
	s_add_i32 s44, s44, 1
	s_mov_b64 s[36:37], -1
                                        ; implicit-def: $vgpr1
	s_and_saveexec_b64 s[48:49], s[38:39]
	s_cbranch_execz .LBB8_4108
	s_branch .LBB8_4107
.LBB8_4114:                             ;   in Loop: Header=BB8_4104 Depth=3
	s_or_b64 exec, exec, s[88:89]
	s_xor_b64 s[26:27], s[90:91], -1
	s_and_saveexec_b64 s[44:45], s[26:27]
	s_xor_b64 s[26:27], exec, s[44:45]
	s_cbranch_execz .LBB8_4116
; %bb.4115:                             ;   in Loop: Header=BB8_4104 Depth=3
	s_waitcnt lgkmcnt(0)
	ds_write_b32 v0, v1
	s_trap 2
	buffer_load_dword v1, off, s[0:3], s33 offset:132 ; 4-byte Folded Reload
	s_waitcnt vmcnt(0)
	v_or_b32_e32 v1, 64, v1
	buffer_store_dword v1, off, s[0:3], s33 offset:132 ; 4-byte Folded Spill
.LBB8_4116:                             ;   in Loop: Header=BB8_4104 Depth=3
	s_or_b64 exec, exec, s[26:27]
.LBB8_4117:                             ;   in Loop: Header=BB8_4104 Depth=3
	s_or_b64 exec, exec, s[78:79]
	;;#ASMSTART
	s_wakeup
	;;#ASMEND
	buffer_load_dword v1, off, s[0:3], s33 offset:132 ; 4-byte Folded Reload
                                        ; implicit-def: $vgpr8_vgpr9
	s_waitcnt vmcnt(0)
	v_and_b32_e32 v1, 0x108, v1
	v_cmp_ne_u32_e32 vcc, s46, v1
	s_and_saveexec_b64 s[26:27], vcc
	s_xor_b64 s[26:27], exec, s[26:27]
	s_cbranch_execz .LBB8_4119
; %bb.4118:                             ;   in Loop: Header=BB8_4104 Depth=3
	buffer_load_dword v3, off, s[0:3], s33 offset:160 ; 4-byte Folded Reload
	buffer_load_dword v4, off, s[0:3], s33 offset:164 ; 4-byte Folded Reload
	v_mov_b32_e32 v9, v2
	s_waitcnt vmcnt(0)
	v_and_b32_e32 v8, 7, v3
                                        ; implicit-def: $vgpr3_vgpr4
                                        ; kill: killed $vgpr3_vgpr4
.LBB8_4119:                             ;   in Loop: Header=BB8_4104 Depth=3
	s_andn2_saveexec_b64 s[26:27], s[26:27]
	s_cbranch_execz .LBB8_4121
; %bb.4120:                             ;   in Loop: Header=BB8_4104 Depth=3
	buffer_load_dword v3, off, s[0:3], s33 offset:160 ; 4-byte Folded Reload
	buffer_load_dword v4, off, s[0:3], s33 offset:164 ; 4-byte Folded Reload
	;; [unrolled: 1-line block ×6, first 2 shown]
	v_ashrrev_i32_e32 v1, 31, v0
	v_lshlrev_b64 v[10:11], 1, v[0:1]
	v_mov_b32_e32 v9, v2
	s_waitcnt vmcnt(0)
	v_and_b32_e32 v8, 7, v3
	v_mad_u64_u32 v[3:4], s[44:45], v8, 24, v[13:14]
	flat_store_dwordx2 v[3:4], v[10:11] offset:8
.LBB8_4121:                             ;   in Loop: Header=BB8_4104 Depth=3
	s_or_b64 exec, exec, s[26:27]
	buffer_load_dword v1, off, s[0:3], s33 offset:132 ; 4-byte Folded Reload
	s_mov_b64 s[26:27], -1
                                        ; implicit-def: $vgpr3_vgpr4
	s_waitcnt vmcnt(0)
	v_and_b32_e32 v1, 0x100, v1
	v_cmp_ne_u32_e32 vcc, 0, v1
	s_and_saveexec_b64 s[78:79], vcc
	s_cbranch_execz .LBB8_4125
; %bb.4122:                             ;   in Loop: Header=BB8_4104 Depth=3
	buffer_load_dword v13, off, s[0:3], s33 offset:216 ; 4-byte Folded Reload
	buffer_load_dword v14, off, s[0:3], s33 offset:220 ; 4-byte Folded Reload
	;; [unrolled: 1-line block ×4, first 2 shown]
	s_waitcnt vmcnt(0)
	v_mad_u64_u32 v[10:11], s[26:27], v8, 24, v[13:14]
	v_mov_b32_e32 v1, v11
	v_mad_u64_u32 v[3:4], s[26:27], v9, 24, v[1:2]
	v_mov_b32_e32 v11, v3
	flat_load_dword v1, v[10:11]
                                        ; implicit-def: $vgpr3_vgpr4
	s_waitcnt vmcnt(0) lgkmcnt(0)
	v_cmp_ne_u32_e32 vcc, 1, v1
	v_cmp_eq_u32_e64 s[26:27], 1, v1
	s_and_saveexec_b64 s[88:89], s[26:27]
	s_cbranch_execz .LBB8_4124
; %bb.4123:                             ;   in Loop: Header=BB8_4104 Depth=3
	flat_load_dword v3, v[10:11] offset:4 glc
	s_waitcnt vmcnt(0) lgkmcnt(0)
	v_ashrrev_i32_e32 v4, 31, v3
	v_lshrrev_b64 v[3:4], 1, v[3:4]
.LBB8_4124:                             ;   in Loop: Header=BB8_4104 Depth=3
	s_or_b64 exec, exec, s[88:89]
	s_orn2_b64 s[26:27], vcc, exec
.LBB8_4125:                             ;   in Loop: Header=BB8_4104 Depth=3
	s_or_b64 exec, exec, s[78:79]
	s_and_saveexec_b64 s[78:79], s[26:27]
	s_cbranch_execz .LBB8_4127
; %bb.4126:                             ;   in Loop: Header=BB8_4104 Depth=3
	buffer_load_dword v3, off, s[0:3], s33 offset:256 ; 4-byte Folded Reload
	buffer_load_dword v4, off, s[0:3], s33 offset:268 ; 4-byte Folded Reload
	s_waitcnt vmcnt(0)
	v_mul_lo_u32 v1, v9, v3
	v_mul_lo_u32 v9, v8, v4
	v_mad_u64_u32 v[3:4], s[26:27], v8, v3, 0
	v_add3_u32 v4, v4, v9, v1
.LBB8_4127:                             ;   in Loop: Header=BB8_4104 Depth=3
	s_or_b64 exec, exec, s[78:79]
	v_cmp_eq_u32_e32 vcc, 0, v12
	v_mov_b32_e32 v1, 0xd0
	v_mov_b32_e32 v8, 0x88
	v_cndmask_b32_e32 v1, v1, v8, vcc
	buffer_load_dword v8, off, s[0:3], s33 offset:208 ; 4-byte Folded Reload
	buffer_load_dword v9, off, s[0:3], s33 offset:212 ; 4-byte Folded Reload
	v_lshlrev_b64 v[3:4], 1, v[3:4]
	v_add_u32_e32 v1, v0, v1
	s_waitcnt vmcnt(0)
	v_add_co_u32_e32 v3, vcc, v8, v3
	v_addc_co_u32_e32 v4, vcc, v9, v4, vcc
	ds_write_b64 v1, v[3:4] offset:584
	buffer_load_dword v1, off, s[0:3], s33 offset:132 ; 4-byte Folded Reload
	s_waitcnt vmcnt(0)
	v_and_b32_e32 v1, 0x2000, v1
	v_cmp_ne_u32_e32 vcc, 0, v1
	s_and_saveexec_b64 s[26:27], vcc
	s_cbranch_execz .LBB8_4129
; %bb.4128:                             ;   in Loop: Header=BB8_4104 Depth=3
	ds_read_b64 v[3:4], v0 offset:872
	s_waitcnt lgkmcnt(0)
	v_add_co_u32_e32 v3, vcc, 1, v3
	v_addc_co_u32_e32 v4, vcc, 0, v4, vcc
	ds_write_b64 v0, v[3:4] offset:872
.LBB8_4129:                             ;   in Loop: Header=BB8_4104 Depth=3
	s_or_b64 exec, exec, s[26:27]
	buffer_store_dword v6, off, s[0:3], s33 offset:160 ; 4-byte Folded Spill
	s_nop 0
	buffer_store_dword v7, off, s[0:3], s33 offset:164 ; 4-byte Folded Spill
.LBB8_4130:                             ;   in Loop: Header=BB8_4104 Depth=3
	s_or_b64 exec, exec, s[76:77]
	s_xor_b64 s[26:27], s[42:43], -1
	s_and_b64 s[26:27], exec, s[26:27]
	s_or_b64 s[40:41], s[26:27], s[40:41]
	s_and_saveexec_b64 s[26:27], s[10:11]
	s_cbranch_execz .LBB8_4149
; %bb.4131:                             ;   in Loop: Header=BB8_4104 Depth=3
	s_and_saveexec_b64 s[42:43], s[56:57]
	s_xor_b64 s[42:43], exec, s[42:43]
	s_cbranch_execz .LBB8_4146
; %bb.4132:                             ;   in Loop: Header=BB8_4104 Depth=3
	s_and_saveexec_b64 s[76:77], s[16:17]
	s_cbranch_execz .LBB8_4145
; %bb.4133:                             ;   in Loop: Header=BB8_4104 Depth=3
	s_mov_b64 s[88:89], exec
	v_mbcnt_lo_u32_b32 v1, s88, 0
	v_mbcnt_hi_u32_b32 v1, s89, v1
	v_cmp_eq_u32_e32 vcc, 0, v1
	s_waitcnt vmcnt(0) lgkmcnt(0)
	buffer_wbinvl1_vol
	s_and_saveexec_b64 s[78:79], vcc
	s_cbranch_execz .LBB8_4135
; %bb.4134:                             ;   in Loop: Header=BB8_4104 Depth=3
	s_bcnt1_i32_b64 s44, s[88:89]
	v_mov_b32_e32 v3, s44
	v_mov_b32_e32 v4, v2
	ds_add_u64 v0, v[3:4]
	s_trap 2
.LBB8_4135:                             ;   in Loop: Header=BB8_4104 Depth=3
	s_or_b64 exec, exec, s[78:79]
	s_trap 2
	ds_read_b64 v[3:4], v0
	s_waitcnt lgkmcnt(0)
	buffer_load_dword v1, off, s[0:3], s33 offset:128 ; 4-byte Folded Reload
	buffer_load_dword v6, off, s[0:3], s33 offset:144 ; 4-byte Folded Reload
	;; [unrolled: 1-line block ×3, first 2 shown]
	s_waitcnt vmcnt(1)
	v_add_co_u32_e32 v6, vcc, v6, v1
	s_waitcnt vmcnt(0)
	v_addc_co_u32_e32 v7, vcc, 0, v7, vcc
	buffer_store_dword v6, off, s[0:3], s33 offset:144 ; 4-byte Folded Spill
	s_nop 0
	buffer_store_dword v7, off, s[0:3], s33 offset:148 ; 4-byte Folded Spill
	v_cmp_lt_u64_e32 vcc, v[3:4], v[6:7]
	s_and_saveexec_b64 s[78:79], vcc
	s_cbranch_execz .LBB8_4144
; %bb.4136:                             ;   in Loop: Header=BB8_4104 Depth=3
	s_mov_b32 s44, 0
	s_mov_b64 s[88:89], 0
                                        ; implicit-def: $sgpr90_sgpr91
                                        ; implicit-def: $sgpr92_sgpr93
	s_branch .LBB8_4138
.LBB8_4137:                             ;   in Loop: Header=BB8_4138 Depth=4
	s_or_b64 exec, exec, s[30:31]
	s_and_b64 s[94:95], exec, vcc
	s_or_b64 s[88:89], s[94:95], s[88:89]
	s_andn2_b64 s[90:91], s[90:91], exec
	s_and_b64 s[94:95], s[92:93], exec
	s_or_b64 s[90:91], s[90:91], s[94:95]
	s_andn2_b64 exec, exec, s[88:89]
	s_cbranch_execz .LBB8_4142
.LBB8_4138:                             ;   Parent Loop BB8_47 Depth=1
                                        ;     Parent Loop BB8_3859 Depth=2
                                        ;       Parent Loop BB8_4104 Depth=3
                                        ; =>      This Inner Loop Header: Depth=4
	s_add_i32 s44, s44, 1
	s_cmpk_lg_i32 s44, 0x2710
	s_cselect_b64 s[94:95], -1, 0
	s_and_b64 vcc, exec, s[94:95]
	s_cbranch_vccz .LBB8_4140
; %bb.4139:                             ;   in Loop: Header=BB8_4138 Depth=4
	s_mov_b64 vcc, -1
	s_or_b64 s[92:93], s[92:93], exec
	s_and_saveexec_b64 s[30:31], s[94:95]
	s_cbranch_execz .LBB8_4137
	s_branch .LBB8_4141
.LBB8_4140:                             ;   in Loop: Header=BB8_4138 Depth=4
	s_trap 2
	ds_read_b64 v[3:4], v0
	s_andn2_b64 s[94:95], s[94:95], exec
	s_mov_b32 s44, 0
	s_waitcnt vmcnt(0) lgkmcnt(0)
	flat_load_dword v1, v[3:4] glc
	s_waitcnt vmcnt(0) lgkmcnt(0)
	buffer_wbinvl1_vol
	v_cmp_eq_u32_e32 vcc, 0, v1
	s_and_b64 vcc, vcc, exec
	s_or_b64 s[94:95], s[94:95], vcc
	s_mov_b64 vcc, -1
	s_or_b64 s[92:93], s[92:93], exec
	s_and_saveexec_b64 s[30:31], s[94:95]
	s_cbranch_execz .LBB8_4137
.LBB8_4141:                             ;   in Loop: Header=BB8_4138 Depth=4
	s_sleep 1
	s_trap 2
	ds_read_b64 v[3:4], v0
	s_waitcnt lgkmcnt(0)
	buffer_load_dword v6, off, s[0:3], s33 offset:144 ; 4-byte Folded Reload
	buffer_load_dword v7, off, s[0:3], s33 offset:148 ; 4-byte Folded Reload
	s_andn2_b64 s[92:93], s[92:93], exec
	s_waitcnt vmcnt(0)
	v_cmp_ge_u64_e32 vcc, v[3:4], v[6:7]
	s_orn2_b64 vcc, vcc, exec
	s_branch .LBB8_4137
.LBB8_4142:                             ;   in Loop: Header=BB8_4104 Depth=3
	s_or_b64 exec, exec, s[88:89]
	s_and_saveexec_b64 s[44:45], s[90:91]
	s_xor_b64 s[44:45], exec, s[44:45]
	s_cbranch_execz .LBB8_4144
; %bb.4143:                             ;   in Loop: Header=BB8_4104 Depth=3
	v_mov_b32_e32 v1, 1
	ds_write_b32 v0, v1
	s_trap 2
.LBB8_4144:                             ;   in Loop: Header=BB8_4104 Depth=3
	s_or_b64 exec, exec, s[78:79]
	;;#ASMSTART
	s_wakeup
	;;#ASMEND
.LBB8_4145:                             ;   in Loop: Header=BB8_4104 Depth=3
	s_or_b64 exec, exec, s[76:77]
.LBB8_4146:                             ;   in Loop: Header=BB8_4104 Depth=3
	s_andn2_saveexec_b64 s[42:43], s[42:43]
	s_cbranch_execz .LBB8_4148
; %bb.4147:                             ;   in Loop: Header=BB8_4104 Depth=3
	s_waitcnt vmcnt(0) lgkmcnt(0)
	buffer_wbinvl1_vol
	s_barrier
.LBB8_4148:                             ;   in Loop: Header=BB8_4104 Depth=3
	s_or_b64 exec, exec, s[42:43]
.LBB8_4149:                             ;   in Loop: Header=BB8_4104 Depth=3
	s_or_b64 exec, exec, s[26:27]
                                        ; implicit-def: $vgpr1
	s_and_saveexec_b64 s[26:27], s[24:25]
	s_xor_b64 s[26:27], exec, s[26:27]
	s_cbranch_execz .LBB8_4153
; %bb.4150:                             ;   in Loop: Header=BB8_4104 Depth=3
	s_trap 2
	buffer_load_dword v3, off, s[0:3], s33 offset:132 ; 4-byte Folded Reload
	ds_read_b32 v1, v0
	v_cmp_lt_i32_e32 vcc, 0, v0
	s_waitcnt lgkmcnt(0)
	v_readfirstlane_b32 s42, v1
	s_cmp_eq_u32 s42, 0
	s_cselect_b64 s[42:43], -1, 0
	s_and_b64 s[42:43], vcc, s[42:43]
	s_waitcnt vmcnt(0)
	v_and_b32_e32 v1, 16, v3
	v_and_b32_e32 v3, 16, v3
	v_cmp_ne_u32_e32 vcc, 0, v3
	s_and_b64 s[44:45], vcc, s[42:43]
	s_and_saveexec_b64 s[42:43], s[44:45]
	s_cbranch_execz .LBB8_4152
; %bb.4151:                             ;   in Loop: Header=BB8_4104 Depth=3
	v_mov_b32_e32 v1, 1
	buffer_wbinvl1_vol
.LBB8_4152:                             ;   in Loop: Header=BB8_4104 Depth=3
	s_or_b64 exec, exec, s[42:43]
	s_andn2_saveexec_b64 s[26:27], s[26:27]
	s_cbranch_execz .LBB8_4172
	s_branch .LBB8_4154
.LBB8_4153:                             ;   in Loop: Header=BB8_4104 Depth=3
	s_andn2_saveexec_b64 s[26:27], s[26:27]
	s_cbranch_execz .LBB8_4172
.LBB8_4154:                             ;   in Loop: Header=BB8_4104 Depth=3
	s_and_saveexec_b64 s[42:43], s[56:57]
	s_xor_b64 s[42:43], exec, s[42:43]
	s_cbranch_execz .LBB8_4169
; %bb.4155:                             ;   in Loop: Header=BB8_4104 Depth=3
	s_and_saveexec_b64 s[76:77], s[16:17]
	s_cbranch_execz .LBB8_4168
; %bb.4156:                             ;   in Loop: Header=BB8_4104 Depth=3
	s_mov_b64 s[88:89], exec
	v_mbcnt_lo_u32_b32 v1, s88, 0
	v_mbcnt_hi_u32_b32 v1, s89, v1
	v_cmp_eq_u32_e32 vcc, 0, v1
	;;#ASMSTART
	s_waitcnt lgkmcnt(0) vmcnt(0)
	;;#ASMEND
	s_and_saveexec_b64 s[78:79], vcc
	s_cbranch_execz .LBB8_4158
; %bb.4157:                             ;   in Loop: Header=BB8_4104 Depth=3
	s_bcnt1_i32_b64 s44, s[88:89]
	v_mov_b32_e32 v3, s44
	v_mov_b32_e32 v4, v2
	s_waitcnt lgkmcnt(0)
	ds_add_u64 v0, v[3:4]
	s_trap 2
.LBB8_4158:                             ;   in Loop: Header=BB8_4104 Depth=3
	s_or_b64 exec, exec, s[78:79]
	s_trap 2
	ds_read_b64 v[3:4], v0
	s_waitcnt lgkmcnt(0)
	buffer_load_dword v1, off, s[0:3], s33 offset:128 ; 4-byte Folded Reload
	buffer_load_dword v6, off, s[0:3], s33 offset:144 ; 4-byte Folded Reload
	;; [unrolled: 1-line block ×3, first 2 shown]
	s_waitcnt vmcnt(1)
	v_add_co_u32_e32 v6, vcc, v6, v1
	s_waitcnt vmcnt(0)
	v_addc_co_u32_e32 v7, vcc, 0, v7, vcc
	buffer_store_dword v6, off, s[0:3], s33 offset:144 ; 4-byte Folded Spill
	s_nop 0
	buffer_store_dword v7, off, s[0:3], s33 offset:148 ; 4-byte Folded Spill
	v_cmp_lt_u64_e32 vcc, v[3:4], v[6:7]
	s_and_saveexec_b64 s[78:79], vcc
	s_cbranch_execz .LBB8_4167
; %bb.4159:                             ;   in Loop: Header=BB8_4104 Depth=3
	s_mov_b32 s44, 0
	s_mov_b64 s[88:89], 0
                                        ; implicit-def: $sgpr90_sgpr91
                                        ; implicit-def: $sgpr92_sgpr93
	s_branch .LBB8_4161
.LBB8_4160:                             ;   in Loop: Header=BB8_4161 Depth=4
	s_or_b64 exec, exec, s[30:31]
	s_and_b64 s[94:95], exec, vcc
	s_or_b64 s[88:89], s[94:95], s[88:89]
	s_andn2_b64 s[90:91], s[90:91], exec
	s_and_b64 s[94:95], s[92:93], exec
	s_or_b64 s[90:91], s[90:91], s[94:95]
	s_andn2_b64 exec, exec, s[88:89]
	s_cbranch_execz .LBB8_4165
.LBB8_4161:                             ;   Parent Loop BB8_47 Depth=1
                                        ;     Parent Loop BB8_3859 Depth=2
                                        ;       Parent Loop BB8_4104 Depth=3
                                        ; =>      This Inner Loop Header: Depth=4
	s_add_i32 s44, s44, 1
	s_cmpk_lg_i32 s44, 0x2710
	s_cselect_b64 s[94:95], -1, 0
	s_and_b64 vcc, exec, s[94:95]
	s_cbranch_vccz .LBB8_4163
; %bb.4162:                             ;   in Loop: Header=BB8_4161 Depth=4
	s_mov_b64 vcc, -1
	s_or_b64 s[92:93], s[92:93], exec
	s_and_saveexec_b64 s[30:31], s[94:95]
	s_cbranch_execz .LBB8_4160
	s_branch .LBB8_4164
.LBB8_4163:                             ;   in Loop: Header=BB8_4161 Depth=4
	s_trap 2
	ds_read_b64 v[3:4], v0
	s_andn2_b64 s[94:95], s[94:95], exec
	s_mov_b32 s44, 0
	s_waitcnt vmcnt(0) lgkmcnt(0)
	flat_load_dword v1, v[3:4] glc
	s_waitcnt vmcnt(0) lgkmcnt(0)
	buffer_wbinvl1_vol
	v_cmp_eq_u32_e32 vcc, 0, v1
	s_and_b64 vcc, vcc, exec
	s_or_b64 s[94:95], s[94:95], vcc
	s_mov_b64 vcc, -1
	s_or_b64 s[92:93], s[92:93], exec
	s_and_saveexec_b64 s[30:31], s[94:95]
	s_cbranch_execz .LBB8_4160
.LBB8_4164:                             ;   in Loop: Header=BB8_4161 Depth=4
	s_sleep 1
	s_trap 2
	ds_read_b64 v[3:4], v0
	s_waitcnt lgkmcnt(0)
	buffer_load_dword v6, off, s[0:3], s33 offset:144 ; 4-byte Folded Reload
	buffer_load_dword v7, off, s[0:3], s33 offset:148 ; 4-byte Folded Reload
	s_andn2_b64 s[92:93], s[92:93], exec
	s_waitcnt vmcnt(0)
	v_cmp_ge_u64_e32 vcc, v[3:4], v[6:7]
	s_orn2_b64 vcc, vcc, exec
	s_branch .LBB8_4160
.LBB8_4165:                             ;   in Loop: Header=BB8_4104 Depth=3
	s_or_b64 exec, exec, s[88:89]
	s_and_saveexec_b64 s[44:45], s[90:91]
	s_xor_b64 s[44:45], exec, s[44:45]
	s_cbranch_execz .LBB8_4167
; %bb.4166:                             ;   in Loop: Header=BB8_4104 Depth=3
	v_mov_b32_e32 v1, 1
	ds_write_b32 v0, v1
	s_trap 2
.LBB8_4167:                             ;   in Loop: Header=BB8_4104 Depth=3
	s_or_b64 exec, exec, s[78:79]
	;;#ASMSTART
	s_wakeup
	;;#ASMEND
.LBB8_4168:                             ;   in Loop: Header=BB8_4104 Depth=3
	s_or_b64 exec, exec, s[76:77]
.LBB8_4169:                             ;   in Loop: Header=BB8_4104 Depth=3
	s_andn2_saveexec_b64 s[42:43], s[42:43]
	s_cbranch_execz .LBB8_4171
; %bb.4170:                             ;   in Loop: Header=BB8_4104 Depth=3
	;;#ASMSTART
	s_waitcnt lgkmcnt(0) vmcnt(0)
	;;#ASMEND
	s_waitcnt vmcnt(0) lgkmcnt(0)
	s_barrier
.LBB8_4171:                             ;   in Loop: Header=BB8_4104 Depth=3
	s_or_b64 exec, exec, s[42:43]
	buffer_load_dword v1, off, s[0:3], s33 offset:132 ; 4-byte Folded Reload
	s_waitcnt vmcnt(0)
	v_and_b32_e32 v1, 16, v1
.LBB8_4172:                             ;   in Loop: Header=BB8_4104 Depth=3
	s_or_b64 exec, exec, s[26:27]
	v_cmp_ne_u32_e32 vcc, 0, v1
	s_xor_b64 s[26:27], s[12:13], -1
	s_and_b64 s[42:43], vcc, s[26:27]
	s_and_saveexec_b64 s[26:27], s[42:43]
	s_cbranch_execz .LBB8_4174
; %bb.4173:                             ;   in Loop: Header=BB8_4104 Depth=3
	buffer_load_dword v3, off, s[0:3], s33 offset:232 ; 4-byte Folded Reload
	buffer_load_dword v4, off, s[0:3], s33 offset:236 ; 4-byte Folded Reload
	v_mov_b32_e32 v1, 1
	s_waitcnt vmcnt(0)
	flat_store_dword v[3:4], v1
.LBB8_4174:                             ;   in Loop: Header=BB8_4104 Depth=3
	s_or_b64 exec, exec, s[26:27]
	buffer_load_dword v1, off, s[0:3], s33 offset:132 ; 4-byte Folded Reload
	s_waitcnt vmcnt(0)
	v_and_b32_e32 v1, 48, v1
	v_cmp_ne_u32_e32 vcc, 0, v1
	s_and_saveexec_b64 s[26:27], vcc
	s_cbranch_execz .LBB8_4103
; %bb.4175:                             ;   in Loop: Header=BB8_4104 Depth=3
	buffer_load_dword v3, off, s[0:3], s33 offset:160 ; 4-byte Folded Reload
	buffer_load_dword v4, off, s[0:3], s33 offset:164 ; 4-byte Folded Reload
	s_waitcnt vmcnt(0)
	v_add_co_u32_e32 v3, vcc, 2, v3
	v_addc_co_u32_e32 v4, vcc, 0, v4, vcc
	buffer_store_dword v3, off, s[0:3], s33 offset:160 ; 4-byte Folded Spill
	s_nop 0
	buffer_store_dword v4, off, s[0:3], s33 offset:164 ; 4-byte Folded Spill
	flat_store_dwordx2 v[40:41], v[3:4]
	s_branch .LBB8_4103
.LBB8_4176:                             ;   in Loop: Header=BB8_3859 Depth=2
	s_or_b64 exec, exec, s[76:77]
	s_or_b64 exec, exec, s[42:43]
	v_cmp_gt_i32_e32 vcc, 2, v1
	s_and_saveexec_b64 s[28:29], vcc
	s_cbranch_execnz .LBB8_4102
.LBB8_4177:                             ;   in Loop: Header=BB8_3859 Depth=2
	s_or_b64 exec, exec, s[28:29]
	s_add_i32 s26, s47, 1
	s_cmp_eq_u32 s47, s86
	s_cbranch_scc0 .LBB8_4179
	s_branch .LBB8_4180
.LBB8_4178:                             ;   in Loop: Header=BB8_3859 Depth=2
	s_or_b64 exec, exec, s[40:41]
	s_or_b64 exec, exec, s[28:29]
	s_add_i32 s26, s47, 1
	s_cmp_eq_u32 s47, s86
	s_cbranch_scc1 .LBB8_4180
.LBB8_4179:                             ;   in Loop: Header=BB8_3859 Depth=2
	s_mov_b32 s47, s26
	s_branch .LBB8_3859
.LBB8_4180:                             ;   in Loop: Header=BB8_47 Depth=1
	buffer_load_dword v5, off, s[0:3], s33 offset:364 ; 4-byte Folded Reload
	buffer_load_dword v6, off, s[0:3], s33 offset:368 ; 4-byte Folded Reload
	s_waitcnt vmcnt(0)
	v_mul_lo_u32 v1, v5, s85
	v_mul_lo_u32 v0, v6, s84
	v_mad_u64_u32 v[3:4], s[26:27], v5, s84, 0
	v_add3_u32 v4, v4, v1, v0
	buffer_load_dword v0, off, s[0:3], s33 offset:356 ; 4-byte Folded Reload
	buffer_load_dword v1, off, s[0:3], s33 offset:360 ; 4-byte Folded Reload
	s_waitcnt vmcnt(0)
	v_sub_co_u32_e32 v0, vcc, v0, v3
	v_subb_co_u32_e32 v1, vcc, v1, v4, vcc
	v_cmp_lt_i64_e32 vcc, v[5:6], v[0:1]
	v_mov_b32_e32 v1, 0
	v_cndmask_b32_e32 v0, v0, v5, vcc
	v_max_i32_e32 v52, 0, v0
	v_add_u32_e32 v5, 31, v52
	v_lshrrev_b32_e32 v5, 1, v5
	v_and_b32_e32 v5, 0x3ffffff0, v5
	v_cmp_lt_i32_e32 vcc, 0, v0
	v_max_i32_e32 v5, s69, v5
	s_and_b64 s[26:27], s[72:73], vcc
	v_mov_b32_e32 v0, 0
	s_and_saveexec_b64 s[28:29], s[26:27]
	s_cbranch_execz .LBB8_4349
; %bb.4181:                             ;   in Loop: Header=BB8_47 Depth=1
	buffer_load_dword v0, off, s[0:3], s33 offset:292 ; 4-byte Folded Reload
	buffer_load_dword v1, off, s[0:3], s33 offset:296 ; 4-byte Folded Reload
	s_mov_b32 s47, 1
	s_mov_b64 s[42:43], -1
	s_mov_b64 s[40:41], 0
	s_waitcnt vmcnt(0)
	v_add_co_u32_e32 v3, vcc, v3, v0
	v_addc_co_u32_e32 v4, vcc, v4, v1, vcc
	v_lshlrev_b64 v[6:7], 1, v[3:4]
	v_mov_b32_e32 v0, 0
	s_branch .LBB8_4183
.LBB8_4182:                             ;   in Loop: Header=BB8_4183 Depth=2
	s_or_b64 exec, exec, s[26:27]
	v_add_u32_e32 v0, v5, v0
	v_cmp_ge_i32_e32 vcc, v0, v52
	s_xor_b64 s[26:27], s[42:43], -1
	s_or_b64 s[26:27], s[26:27], vcc
	s_and_b64 s[26:27], exec, s[26:27]
	s_or_b64 s[40:41], s[26:27], s[40:41]
	s_mov_b64 s[42:43], 0
	v_mov_b32_e32 v1, s47
	s_mov_b32 s47, 2
	s_andn2_b64 exec, exec, s[40:41]
	s_cbranch_execz .LBB8_4348
.LBB8_4183:                             ;   Parent Loop BB8_47 Depth=1
                                        ; =>  This Loop Header: Depth=2
                                        ;       Child Loop BB8_4191 Depth 3
                                        ;       Child Loop BB8_4215 Depth 3
	;; [unrolled: 1-line block ×9, first 2 shown]
	s_and_saveexec_b64 s[26:27], s[4:5]
	s_cbranch_execz .LBB8_4185
; %bb.4184:                             ;   in Loop: Header=BB8_4183 Depth=2
	s_trap 2
	ds_read_b128 v[8:11], v0
	v_ashrrev_i32_e32 v1, 31, v0
	v_lshlrev_b64 v[3:4], 1, v[0:1]
	s_waitcnt lgkmcnt(0)
	v_add_co_u32_e32 v8, vcc, v8, v6
	v_addc_co_u32_e32 v9, vcc, v9, v7, vcc
	v_add_co_u32_e32 v8, vcc, v8, v3
	v_addc_co_u32_e32 v9, vcc, v9, v4, vcc
	v_add_co_u32_e32 v1, vcc, v10, v6
	ds_write_b64 v0, v[8:9]
	v_addc_co_u32_e32 v8, vcc, v11, v7, vcc
	v_add_co_u32_e32 v1, vcc, v1, v3
	v_addc_co_u32_e32 v3, vcc, v8, v4, vcc
	v_cmp_ne_u64_e32 vcc, 0, v[10:11]
	v_cndmask_b32_e32 v4, 0, v3, vcc
	v_cndmask_b32_e32 v3, 0, v1, vcc
	ds_write_b64 v0, v[3:4]
.LBB8_4185:                             ;   in Loop: Header=BB8_4183 Depth=2
	s_or_b64 exec, exec, s[26:27]
	buffer_load_dword v1, off, s[0:3], s33 offset:132 ; 4-byte Folded Reload
	s_waitcnt vmcnt(0)
	v_and_b32_e32 v1, 4, v1
	v_cmp_ne_u32_e32 vcc, 0, v1
	s_and_saveexec_b64 s[76:77], vcc
	s_cbranch_execz .LBB8_4207
; %bb.4186:                             ;   in Loop: Header=BB8_4183 Depth=2
	buffer_load_dword v3, off, s[0:3], s33 offset:160 ; 4-byte Folded Reload
	buffer_load_dword v4, off, s[0:3], s33 offset:164 ; 4-byte Folded Reload
	s_waitcnt vmcnt(0)
	v_add_co_u32_e32 v8, vcc, 2, v3
	v_addc_co_u32_e32 v9, vcc, 0, v4, vcc
	s_waitcnt lgkmcnt(0)
	v_cmp_lt_u64_e32 vcc, v[46:47], v[8:9]
	s_and_saveexec_b64 s[78:79], vcc
	s_cbranch_execz .LBB8_4198
; %bb.4187:                             ;   in Loop: Header=BB8_4183 Depth=2
	buffer_load_dword v1, off, s[0:3], s33 offset:132 ; 4-byte Folded Reload
	s_mov_b32 s44, 0
	s_mov_b64 s[88:89], 0
                                        ; implicit-def: $sgpr90_sgpr91
                                        ; implicit-def: $sgpr92_sgpr93
                                        ; implicit-def: $sgpr94_sgpr95
	s_waitcnt vmcnt(0)
	v_and_b32_e32 v1, 64, v1
	v_cmp_eq_u32_e32 vcc, 0, v1
	s_branch .LBB8_4191
.LBB8_4188:                             ;   in Loop: Header=BB8_4191 Depth=3
	s_waitcnt vmcnt(0) lgkmcnt(0)
	v_cmp_ge_u64_e64 s[26:27], v[46:47], v[8:9]
	s_or_b64 s[36:37], s[36:37], exec
	s_orn2_b64 s[34:35], s[26:27], exec
.LBB8_4189:                             ;   in Loop: Header=BB8_4191 Depth=3
	s_or_b64 exec, exec, s[48:49]
	s_andn2_b64 s[26:27], s[94:95], exec
	s_and_b64 s[94:95], s[36:37], exec
	s_or_b64 s[94:95], s[26:27], s[94:95]
	s_andn2_b64 s[26:27], s[92:93], exec
	s_and_b64 s[92:93], s[34:35], exec
	s_or_b64 s[92:93], s[26:27], s[92:93]
.LBB8_4190:                             ;   in Loop: Header=BB8_4191 Depth=3
	s_or_b64 exec, exec, s[30:31]
	s_and_b64 s[26:27], exec, s[92:93]
	s_or_b64 s[88:89], s[26:27], s[88:89]
	s_andn2_b64 s[26:27], s[90:91], exec
	s_and_b64 s[90:91], s[94:95], exec
	s_or_b64 s[90:91], s[26:27], s[90:91]
	s_andn2_b64 exec, exec, s[88:89]
	s_cbranch_execz .LBB8_4195
.LBB8_4191:                             ;   Parent Loop BB8_47 Depth=1
                                        ;     Parent Loop BB8_4183 Depth=2
                                        ; =>    This Inner Loop Header: Depth=3
	s_sleep 1
	s_waitcnt vmcnt(0) lgkmcnt(0)
	flat_load_dwordx2 v[46:47], v[40:41] glc
	s_or_b64 s[94:95], s[94:95], exec
	s_or_b64 s[92:93], s[92:93], exec
                                        ; implicit-def: $vgpr1
	s_and_saveexec_b64 s[30:31], vcc
	s_cbranch_execz .LBB8_4190
; %bb.4192:                             ;   in Loop: Header=BB8_4191 Depth=3
	s_cmpk_lt_i32 s44, 0x270f
	s_cselect_b64 s[38:39], -1, 0
	s_cmpk_gt_i32 s44, 0x270e
	s_mov_b64 s[34:35], -1
	s_cbranch_scc0 .LBB8_4194
; %bb.4193:                             ;   in Loop: Header=BB8_4191 Depth=3
	s_trap 2
	ds_read_b64 v[3:4], v0
	s_andn2_b64 s[38:39], s[38:39], exec
	s_mov_b32 s44, 0
	s_mov_b64 s[36:37], 0
	s_waitcnt vmcnt(0) lgkmcnt(0)
	flat_load_dword v1, v[3:4] glc
	s_waitcnt vmcnt(0) lgkmcnt(0)
	buffer_wbinvl1_vol
	v_cmp_eq_u32_e64 s[26:27], 0, v1
	s_and_b64 s[26:27], s[26:27], exec
	s_or_b64 s[38:39], s[38:39], s[26:27]
	s_and_saveexec_b64 s[48:49], s[38:39]
	s_cbranch_execz .LBB8_4189
	s_branch .LBB8_4188
.LBB8_4194:                             ;   in Loop: Header=BB8_4191 Depth=3
	s_add_i32 s44, s44, 1
	s_mov_b64 s[36:37], -1
                                        ; implicit-def: $vgpr1
	s_and_saveexec_b64 s[48:49], s[38:39]
	s_cbranch_execz .LBB8_4189
	s_branch .LBB8_4188
.LBB8_4195:                             ;   in Loop: Header=BB8_4183 Depth=2
	s_or_b64 exec, exec, s[88:89]
	s_xor_b64 s[26:27], s[90:91], -1
	s_and_saveexec_b64 s[44:45], s[26:27]
	s_xor_b64 s[26:27], exec, s[44:45]
	s_cbranch_execz .LBB8_4197
; %bb.4196:                             ;   in Loop: Header=BB8_4183 Depth=2
	s_waitcnt lgkmcnt(0)
	ds_write_b32 v0, v1
	s_trap 2
	buffer_load_dword v1, off, s[0:3], s33 offset:132 ; 4-byte Folded Reload
	s_waitcnt vmcnt(0)
	v_or_b32_e32 v1, 64, v1
	buffer_store_dword v1, off, s[0:3], s33 offset:132 ; 4-byte Folded Spill
.LBB8_4197:                             ;   in Loop: Header=BB8_4183 Depth=2
	s_or_b64 exec, exec, s[26:27]
.LBB8_4198:                             ;   in Loop: Header=BB8_4183 Depth=2
	s_or_b64 exec, exec, s[78:79]
	;;#ASMSTART
	s_wakeup
	;;#ASMEND
	buffer_load_dword v1, off, s[0:3], s33 offset:132 ; 4-byte Folded Reload
	buffer_load_dword v3, off, s[0:3], s33 offset:160 ; 4-byte Folded Reload
	;; [unrolled: 1-line block ×3, first 2 shown]
	s_mov_b64 s[26:27], -1
	s_waitcnt vmcnt(0)
	v_and_b32_e32 v1, 0x100, v1
	v_cmp_ne_u32_e32 vcc, 0, v1
	v_and_b32_e32 v1, 7, v3
                                        ; implicit-def: $vgpr3_vgpr4
	s_and_saveexec_b64 s[78:79], vcc
	s_cbranch_execz .LBB8_4202
; %bb.4199:                             ;   in Loop: Header=BB8_4183 Depth=2
	buffer_load_dword v10, off, s[0:3], s33 offset:216 ; 4-byte Folded Reload
	buffer_load_dword v11, off, s[0:3], s33 offset:220 ; 4-byte Folded Reload
	;; [unrolled: 1-line block ×4, first 2 shown]
	s_waitcnt vmcnt(0)
	v_mad_u64_u32 v[10:11], s[26:27], v1, 24, v[10:11]
	flat_load_dword v3, v[10:11]
	s_waitcnt vmcnt(0) lgkmcnt(0)
	v_cmp_ne_u32_e32 vcc, 1, v3
	v_cmp_eq_u32_e64 s[26:27], 1, v3
                                        ; implicit-def: $vgpr3_vgpr4
	s_and_saveexec_b64 s[88:89], s[26:27]
	s_cbranch_execz .LBB8_4201
; %bb.4200:                             ;   in Loop: Header=BB8_4183 Depth=2
	flat_load_dword v3, v[10:11] offset:4 glc
	s_waitcnt vmcnt(0) lgkmcnt(0)
	v_ashrrev_i32_e32 v4, 31, v3
	v_lshrrev_b64 v[3:4], 1, v[3:4]
.LBB8_4201:                             ;   in Loop: Header=BB8_4183 Depth=2
	s_or_b64 exec, exec, s[88:89]
	s_orn2_b64 s[26:27], vcc, exec
.LBB8_4202:                             ;   in Loop: Header=BB8_4183 Depth=2
	s_or_b64 exec, exec, s[78:79]
	s_and_saveexec_b64 s[78:79], s[26:27]
	s_cbranch_execz .LBB8_4204
; %bb.4203:                             ;   in Loop: Header=BB8_4183 Depth=2
	buffer_load_dword v3, off, s[0:3], s33 offset:256 ; 4-byte Folded Reload
	s_waitcnt vmcnt(0)
	v_mad_i64_i32 v[3:4], s[26:27], v1, v3, 0
.LBB8_4204:                             ;   in Loop: Header=BB8_4183 Depth=2
	s_or_b64 exec, exec, s[78:79]
	buffer_load_dword v10, off, s[0:3], s33 offset:208 ; 4-byte Folded Reload
	buffer_load_dword v11, off, s[0:3], s33 offset:212 ; 4-byte Folded Reload
	;; [unrolled: 1-line block ×3, first 2 shown]
	v_lshlrev_b64 v[3:4], 1, v[3:4]
	s_waitcnt vmcnt(0)
	v_add_co_u32_e32 v3, vcc, v10, v3
	v_addc_co_u32_e32 v4, vcc, v11, v4, vcc
	v_and_b32_e32 v1, 0x2000, v1
	v_cmp_ne_u32_e32 vcc, 0, v1
	ds_write_b64 v0, v[3:4] offset:720
	s_and_saveexec_b64 s[26:27], vcc
	s_cbranch_execz .LBB8_4206
; %bb.4205:                             ;   in Loop: Header=BB8_4183 Depth=2
	ds_read_b64 v[3:4], v0 offset:872
	s_waitcnt lgkmcnt(0)
	v_add_co_u32_e32 v3, vcc, 1, v3
	v_addc_co_u32_e32 v4, vcc, 0, v4, vcc
	ds_write_b64 v0, v[3:4] offset:872
.LBB8_4206:                             ;   in Loop: Header=BB8_4183 Depth=2
	s_or_b64 exec, exec, s[26:27]
	buffer_store_dword v8, off, s[0:3], s33 offset:160 ; 4-byte Folded Spill
	s_nop 0
	buffer_store_dword v9, off, s[0:3], s33 offset:164 ; 4-byte Folded Spill
.LBB8_4207:                             ;   in Loop: Header=BB8_4183 Depth=2
	s_or_b64 exec, exec, s[76:77]
	s_and_saveexec_b64 s[26:27], s[10:11]
	s_cbranch_execz .LBB8_4226
; %bb.4208:                             ;   in Loop: Header=BB8_4183 Depth=2
	s_and_saveexec_b64 s[44:45], s[56:57]
	s_xor_b64 s[76:77], exec, s[44:45]
	s_cbranch_execz .LBB8_4223
; %bb.4209:                             ;   in Loop: Header=BB8_4183 Depth=2
	s_and_saveexec_b64 s[78:79], s[16:17]
	s_cbranch_execz .LBB8_4222
; %bb.4210:                             ;   in Loop: Header=BB8_4183 Depth=2
	s_mov_b64 s[90:91], exec
	v_mbcnt_lo_u32_b32 v1, s90, 0
	v_mbcnt_hi_u32_b32 v1, s91, v1
	v_cmp_eq_u32_e32 vcc, 0, v1
	s_waitcnt vmcnt(0) lgkmcnt(0)
	buffer_wbinvl1_vol
	s_and_saveexec_b64 s[88:89], vcc
	s_cbranch_execz .LBB8_4212
; %bb.4211:                             ;   in Loop: Header=BB8_4183 Depth=2
	s_bcnt1_i32_b64 s44, s[90:91]
	v_mov_b32_e32 v3, s44
	v_mov_b32_e32 v4, v2
	ds_add_u64 v0, v[3:4]
	s_trap 2
.LBB8_4212:                             ;   in Loop: Header=BB8_4183 Depth=2
	s_or_b64 exec, exec, s[88:89]
	s_trap 2
	ds_read_b64 v[3:4], v0
	s_waitcnt lgkmcnt(0)
	buffer_load_dword v1, off, s[0:3], s33 offset:128 ; 4-byte Folded Reload
	buffer_load_dword v8, off, s[0:3], s33 offset:144 ; 4-byte Folded Reload
	buffer_load_dword v9, off, s[0:3], s33 offset:148 ; 4-byte Folded Reload
	s_waitcnt vmcnt(1)
	v_add_co_u32_e32 v8, vcc, v8, v1
	s_waitcnt vmcnt(0)
	v_addc_co_u32_e32 v9, vcc, 0, v9, vcc
	buffer_store_dword v8, off, s[0:3], s33 offset:144 ; 4-byte Folded Spill
	s_nop 0
	buffer_store_dword v9, off, s[0:3], s33 offset:148 ; 4-byte Folded Spill
	v_cmp_lt_u64_e32 vcc, v[3:4], v[8:9]
	s_and_saveexec_b64 s[88:89], vcc
	s_cbranch_execz .LBB8_4221
; %bb.4213:                             ;   in Loop: Header=BB8_4183 Depth=2
	s_mov_b32 s44, 0
	s_mov_b64 s[90:91], 0
                                        ; implicit-def: $sgpr92_sgpr93
                                        ; implicit-def: $sgpr94_sgpr95
	s_branch .LBB8_4215
.LBB8_4214:                             ;   in Loop: Header=BB8_4215 Depth=3
	s_or_b64 exec, exec, s[34:35]
	s_and_b64 vcc, exec, vcc
	s_or_b64 s[90:91], vcc, s[90:91]
	s_andn2_b64 s[92:93], s[92:93], exec
	s_and_b64 vcc, s[94:95], exec
	s_or_b64 s[92:93], s[92:93], vcc
	s_andn2_b64 exec, exec, s[90:91]
	s_cbranch_execz .LBB8_4219
.LBB8_4215:                             ;   Parent Loop BB8_47 Depth=1
                                        ;     Parent Loop BB8_4183 Depth=2
                                        ; =>    This Inner Loop Header: Depth=3
	s_add_i32 s44, s44, 1
	s_cmpk_lg_i32 s44, 0x2710
	s_cselect_b64 s[30:31], -1, 0
	s_and_b64 vcc, exec, s[30:31]
	s_cbranch_vccz .LBB8_4217
; %bb.4216:                             ;   in Loop: Header=BB8_4215 Depth=3
	s_mov_b64 vcc, -1
	s_or_b64 s[94:95], s[94:95], exec
	s_and_saveexec_b64 s[34:35], s[30:31]
	s_cbranch_execz .LBB8_4214
	s_branch .LBB8_4218
.LBB8_4217:                             ;   in Loop: Header=BB8_4215 Depth=3
	s_trap 2
	ds_read_b64 v[3:4], v0
	s_andn2_b64 s[30:31], s[30:31], exec
	s_mov_b32 s44, 0
	s_waitcnt vmcnt(0) lgkmcnt(0)
	flat_load_dword v1, v[3:4] glc
	s_waitcnt vmcnt(0) lgkmcnt(0)
	buffer_wbinvl1_vol
	v_cmp_eq_u32_e32 vcc, 0, v1
	s_and_b64 vcc, vcc, exec
	s_or_b64 s[30:31], s[30:31], vcc
	s_mov_b64 vcc, -1
	s_or_b64 s[94:95], s[94:95], exec
	s_and_saveexec_b64 s[34:35], s[30:31]
	s_cbranch_execz .LBB8_4214
.LBB8_4218:                             ;   in Loop: Header=BB8_4215 Depth=3
	s_sleep 1
	s_trap 2
	ds_read_b64 v[3:4], v0
	s_waitcnt lgkmcnt(0)
	buffer_load_dword v8, off, s[0:3], s33 offset:144 ; 4-byte Folded Reload
	buffer_load_dword v9, off, s[0:3], s33 offset:148 ; 4-byte Folded Reload
	s_andn2_b64 s[94:95], s[94:95], exec
	s_waitcnt vmcnt(0)
	v_cmp_ge_u64_e32 vcc, v[3:4], v[8:9]
	s_orn2_b64 vcc, vcc, exec
	s_branch .LBB8_4214
.LBB8_4219:                             ;   in Loop: Header=BB8_4183 Depth=2
	s_or_b64 exec, exec, s[90:91]
	s_and_saveexec_b64 s[44:45], s[92:93]
	s_xor_b64 s[44:45], exec, s[44:45]
	s_cbranch_execz .LBB8_4221
; %bb.4220:                             ;   in Loop: Header=BB8_4183 Depth=2
	v_mov_b32_e32 v1, 1
	ds_write_b32 v0, v1
	s_trap 2
.LBB8_4221:                             ;   in Loop: Header=BB8_4183 Depth=2
	s_or_b64 exec, exec, s[88:89]
	;;#ASMSTART
	s_wakeup
	;;#ASMEND
.LBB8_4222:                             ;   in Loop: Header=BB8_4183 Depth=2
	s_or_b64 exec, exec, s[78:79]
.LBB8_4223:                             ;   in Loop: Header=BB8_4183 Depth=2
	s_andn2_saveexec_b64 s[76:77], s[76:77]
	s_cbranch_execz .LBB8_4225
; %bb.4224:                             ;   in Loop: Header=BB8_4183 Depth=2
	s_waitcnt vmcnt(0) lgkmcnt(0)
	buffer_wbinvl1_vol
	s_barrier
.LBB8_4225:                             ;   in Loop: Header=BB8_4183 Depth=2
	s_or_b64 exec, exec, s[76:77]
.LBB8_4226:                             ;   in Loop: Header=BB8_4183 Depth=2
	s_or_b64 exec, exec, s[26:27]
	s_trap 2
	buffer_load_dword v3, off, s[0:3], s33 offset:132 ; 4-byte Folded Reload
	ds_read_b32 v1, v0
	s_xor_b64 s[26:27], s[6:7], -1
	s_waitcnt vmcnt(0)
	v_and_b32_e32 v3, 0x4000, v3
	v_cmp_ne_u32_e32 vcc, 0, v3
	s_and_b64 s[44:45], s[26:27], vcc
	s_and_saveexec_b64 s[26:27], s[44:45]
	s_cbranch_execz .LBB8_4245
; %bb.4227:                             ;   in Loop: Header=BB8_4183 Depth=2
	s_and_saveexec_b64 s[44:45], s[56:57]
	s_xor_b64 s[76:77], exec, s[44:45]
	s_cbranch_execz .LBB8_4242
; %bb.4228:                             ;   in Loop: Header=BB8_4183 Depth=2
	s_and_saveexec_b64 s[78:79], s[16:17]
	s_cbranch_execz .LBB8_4241
; %bb.4229:                             ;   in Loop: Header=BB8_4183 Depth=2
	s_mov_b64 s[90:91], exec
	v_mbcnt_lo_u32_b32 v3, s90, 0
	v_mbcnt_hi_u32_b32 v3, s91, v3
	v_cmp_eq_u32_e32 vcc, 0, v3
	s_waitcnt lgkmcnt(0)
	buffer_wbinvl1_vol
	s_and_saveexec_b64 s[88:89], vcc
	s_cbranch_execz .LBB8_4231
; %bb.4230:                             ;   in Loop: Header=BB8_4183 Depth=2
	s_bcnt1_i32_b64 s44, s[90:91]
	v_mov_b32_e32 v3, s44
	v_mov_b32_e32 v4, v2
	ds_add_u64 v0, v[3:4]
	s_trap 2
.LBB8_4231:                             ;   in Loop: Header=BB8_4183 Depth=2
	s_or_b64 exec, exec, s[88:89]
	s_trap 2
	ds_read_b64 v[3:4], v0
	s_waitcnt lgkmcnt(0)
	buffer_load_dword v8, off, s[0:3], s33 offset:128 ; 4-byte Folded Reload
	buffer_load_dword v9, off, s[0:3], s33 offset:144 ; 4-byte Folded Reload
	;; [unrolled: 1-line block ×3, first 2 shown]
	s_waitcnt vmcnt(1)
	v_add_co_u32_e32 v9, vcc, v9, v8
	s_waitcnt vmcnt(0)
	v_addc_co_u32_e32 v10, vcc, 0, v10, vcc
	buffer_store_dword v9, off, s[0:3], s33 offset:144 ; 4-byte Folded Spill
	s_nop 0
	buffer_store_dword v10, off, s[0:3], s33 offset:148 ; 4-byte Folded Spill
	v_cmp_lt_u64_e32 vcc, v[3:4], v[9:10]
	s_and_saveexec_b64 s[88:89], vcc
	s_cbranch_execz .LBB8_4240
; %bb.4232:                             ;   in Loop: Header=BB8_4183 Depth=2
	s_mov_b32 s44, 0
	s_mov_b64 s[90:91], 0
                                        ; implicit-def: $sgpr92_sgpr93
                                        ; implicit-def: $sgpr94_sgpr95
	s_branch .LBB8_4234
.LBB8_4233:                             ;   in Loop: Header=BB8_4234 Depth=3
	s_or_b64 exec, exec, s[34:35]
	s_and_b64 vcc, exec, vcc
	s_or_b64 s[90:91], vcc, s[90:91]
	s_andn2_b64 s[92:93], s[92:93], exec
	s_and_b64 vcc, s[94:95], exec
	s_or_b64 s[92:93], s[92:93], vcc
	s_andn2_b64 exec, exec, s[90:91]
	s_cbranch_execz .LBB8_4238
.LBB8_4234:                             ;   Parent Loop BB8_47 Depth=1
                                        ;     Parent Loop BB8_4183 Depth=2
                                        ; =>    This Inner Loop Header: Depth=3
	s_add_i32 s44, s44, 1
	s_cmpk_lg_i32 s44, 0x2710
	s_cselect_b64 s[30:31], -1, 0
	s_and_b64 vcc, exec, s[30:31]
	s_cbranch_vccz .LBB8_4236
; %bb.4235:                             ;   in Loop: Header=BB8_4234 Depth=3
	s_mov_b64 vcc, -1
	s_or_b64 s[94:95], s[94:95], exec
	s_and_saveexec_b64 s[34:35], s[30:31]
	s_cbranch_execz .LBB8_4233
	s_branch .LBB8_4237
.LBB8_4236:                             ;   in Loop: Header=BB8_4234 Depth=3
	s_trap 2
	ds_read_b64 v[3:4], v0
	s_andn2_b64 s[30:31], s[30:31], exec
	s_mov_b32 s44, 0
	s_waitcnt vmcnt(0) lgkmcnt(0)
	flat_load_dword v3, v[3:4] glc
	s_waitcnt vmcnt(0) lgkmcnt(0)
	buffer_wbinvl1_vol
	v_cmp_eq_u32_e32 vcc, 0, v3
	s_and_b64 vcc, vcc, exec
	s_or_b64 s[30:31], s[30:31], vcc
	s_mov_b64 vcc, -1
	s_or_b64 s[94:95], s[94:95], exec
	s_and_saveexec_b64 s[34:35], s[30:31]
	s_cbranch_execz .LBB8_4233
.LBB8_4237:                             ;   in Loop: Header=BB8_4234 Depth=3
	s_sleep 1
	s_trap 2
	ds_read_b64 v[3:4], v0
	s_waitcnt lgkmcnt(0)
	buffer_load_dword v8, off, s[0:3], s33 offset:144 ; 4-byte Folded Reload
	buffer_load_dword v9, off, s[0:3], s33 offset:148 ; 4-byte Folded Reload
	s_andn2_b64 s[94:95], s[94:95], exec
	s_waitcnt vmcnt(0)
	v_cmp_ge_u64_e32 vcc, v[3:4], v[8:9]
	s_orn2_b64 vcc, vcc, exec
	s_branch .LBB8_4233
.LBB8_4238:                             ;   in Loop: Header=BB8_4183 Depth=2
	s_or_b64 exec, exec, s[90:91]
	s_and_saveexec_b64 s[44:45], s[92:93]
	s_xor_b64 s[44:45], exec, s[44:45]
	s_cbranch_execz .LBB8_4240
; %bb.4239:                             ;   in Loop: Header=BB8_4183 Depth=2
	v_mov_b32_e32 v3, 1
	ds_write_b32 v0, v3
	s_trap 2
.LBB8_4240:                             ;   in Loop: Header=BB8_4183 Depth=2
	s_or_b64 exec, exec, s[88:89]
	;;#ASMSTART
	s_wakeup
	;;#ASMEND
.LBB8_4241:                             ;   in Loop: Header=BB8_4183 Depth=2
	s_or_b64 exec, exec, s[78:79]
.LBB8_4242:                             ;   in Loop: Header=BB8_4183 Depth=2
	s_andn2_saveexec_b64 s[76:77], s[76:77]
	s_cbranch_execz .LBB8_4244
; %bb.4243:                             ;   in Loop: Header=BB8_4183 Depth=2
	s_waitcnt vmcnt(0) lgkmcnt(0)
	buffer_wbinvl1_vol
	s_barrier
.LBB8_4244:                             ;   in Loop: Header=BB8_4183 Depth=2
	s_or_b64 exec, exec, s[76:77]
.LBB8_4245:                             ;   in Loop: Header=BB8_4183 Depth=2
	s_or_b64 exec, exec, s[26:27]
	s_trap 2
	ds_read_b64 v[28:29], v0
	v_sub_u32_e32 v3, v52, v0
	v_min_i32_e32 v5, v5, v3
	s_waitcnt lgkmcnt(0)
	v_cmp_eq_u64_e32 vcc, 0, v[28:29]
	s_cbranch_vccnz .LBB8_4253
; %bb.4246:                             ;   in Loop: Header=BB8_4183 Depth=2
	s_trap 2
	ds_read_b64 v[42:43], v0
	s_waitcnt lgkmcnt(0)
	v_cmp_eq_u64_e32 vcc, 0, v[42:43]
	s_cbranch_vccnz .LBB8_4253
; %bb.4247:                             ;   in Loop: Header=BB8_4183 Depth=2
	s_mov_b64 s[76:77], -1
	s_and_saveexec_b64 s[26:27], s[20:21]
	s_cbranch_execz .LBB8_4249
; %bb.4248:                             ;   in Loop: Header=BB8_4183 Depth=2
	ds_read_b32 v3, v0 offset:720
	s_waitcnt lgkmcnt(0)
	v_and_b32_e32 v3, 15, v3
	v_cmp_eq_u32_e32 vcc, 0, v3
	s_orn2_b64 s[76:77], vcc, exec
.LBB8_4249:                             ;   in Loop: Header=BB8_4183 Depth=2
	s_or_b64 exec, exec, s[26:27]
	s_and_saveexec_b64 s[26:27], s[18:19]
	s_cbranch_execz .LBB8_4251
; %bb.4250:                             ;   in Loop: Header=BB8_4183 Depth=2
	ds_read_b32 v3, v0 offset:784
	s_waitcnt lgkmcnt(0)
	v_and_b32_e32 v3, 15, v3
	v_cmp_eq_u32_e32 vcc, 0, v3
	s_and_b64 s[44:45], s[76:77], vcc
	s_andn2_b64 s[76:77], s[76:77], exec
	s_and_b64 s[44:45], s[44:45], exec
	s_or_b64 s[76:77], s[76:77], s[44:45]
.LBB8_4251:                             ;   in Loop: Header=BB8_4183 Depth=2
	s_or_b64 exec, exec, s[26:27]
	s_xor_b64 s[44:45], s[76:77], -1
	v_cmp_eq_u32_e64 s[26:27], 0, v1
	v_cndmask_b32_e64 v1, 0, 1, s[44:45]
	s_mov_b64 s[78:79], -1
	v_cmp_ne_u32_e32 vcc, 0, v1
	s_cbranch_vccz .LBB8_4258
; %bb.4252:                             ;   in Loop: Header=BB8_4183 Depth=2
	s_mov_b64 s[78:79], 0
	s_mov_b64 s[76:77], -1
	s_branch .LBB8_4259
.LBB8_4253:                             ;   in Loop: Header=BB8_4183 Depth=2
	s_mov_b64 s[26:27], 0
	s_and_saveexec_b64 s[76:77], s[10:11]
	s_cbranch_execnz .LBB8_4309
.LBB8_4254:                             ;   in Loop: Header=BB8_4183 Depth=2
	s_or_b64 exec, exec, s[76:77]
	s_and_saveexec_b64 s[44:45], s[24:25]
	s_xor_b64 s[76:77], exec, s[44:45]
	s_cbranch_execz .LBB8_4327
.LBB8_4255:                             ;   in Loop: Header=BB8_4183 Depth=2
	buffer_load_dword v1, off, s[0:3], s33 offset:132 ; 4-byte Folded Reload
	s_waitcnt vmcnt(0)
	v_and_b32_e32 v1, 16, v1
	v_cmp_ne_u32_e32 vcc, 0, v1
	s_and_b64 s[44:45], vcc, s[26:27]
	s_and_saveexec_b64 s[26:27], s[44:45]
	s_cbranch_execz .LBB8_4257
; %bb.4256:                             ;   in Loop: Header=BB8_4183 Depth=2
	s_waitcnt lgkmcnt(0)
	buffer_wbinvl1_vol
.LBB8_4257:                             ;   in Loop: Header=BB8_4183 Depth=2
	s_or_b64 exec, exec, s[26:27]
	s_andn2_saveexec_b64 s[26:27], s[76:77]
	s_cbranch_execz .LBB8_4346
	s_branch .LBB8_4328
.LBB8_4258:                             ;   in Loop: Header=BB8_4183 Depth=2
	s_mov_b64 s[76:77], 0
.LBB8_4259:                             ;   in Loop: Header=BB8_4183 Depth=2
	v_cndmask_b32_e64 v1, 0, v5, s[26:27]
	v_lshlrev_b32_e32 v3, 1, v1
	s_andn2_b64 vcc, exec, s[78:79]
	v_mov_b32_e32 v4, 0
	s_cbranch_vccnz .LBB8_4267
; %bb.4260:                             ;   in Loop: Header=BB8_4183 Depth=2
	buffer_load_dword v8, off, s[0:3], s33 offset:308 ; 4-byte Folded Reload
	v_ashrrev_i32_e32 v4, 31, v3
	v_lshrrev_b32_e32 v4, 20, v4
	v_add_u32_e32 v4, v3, v4
	v_ashrrev_i32_e32 v4, 12, v4
	s_mov_b64 s[78:79], 0
                                        ; implicit-def: $vgpr12_vgpr13
                                        ; implicit-def: $vgpr16_vgpr17
                                        ; implicit-def: $vgpr20_vgpr21
	s_waitcnt vmcnt(0)
	v_sub_u32_e32 v30, v4, v8
	buffer_load_dword v8, off, s[0:3], s33 offset:352 ; 4-byte Folded Reload
	s_waitcnt vmcnt(0)
	v_add_co_u32_e32 v44, vcc, v42, v8
	v_addc_co_u32_e32 v45, vcc, 0, v43, vcc
	v_cmp_lt_i32_e32 vcc, 0, v30
                                        ; implicit-def: $vgpr8_vgpr9
	s_and_saveexec_b64 s[26:27], vcc
	s_cbranch_execz .LBB8_4269
; %bb.4261:                             ;   in Loop: Header=BB8_4183 Depth=2
	buffer_load_dword v8, off, s[0:3], s33 offset:352 ; 4-byte Folded Reload
	s_mov_b64 s[90:91], 0
                                        ; implicit-def: $sgpr88_sgpr89
                                        ; implicit-def: $vgpr12_vgpr13
                                        ; implicit-def: $vgpr16_vgpr17
                                        ; implicit-def: $vgpr20_vgpr21
	s_waitcnt vmcnt(0)
	v_add_co_u32_e32 v58, vcc, v28, v8
	v_addc_co_u32_e32 v59, vcc, 0, v29, vcc
                                        ; implicit-def: $vgpr8_vgpr9
	s_branch .LBB8_4263
.LBB8_4262:                             ;   in Loop: Header=BB8_4263 Depth=3
	s_or_b64 exec, exec, s[92:93]
	global_store_dwordx4 v[44:45], v[24:27], off glc slc
	global_store_dwordx4 v[44:45], v[32:35], off offset:1024 glc slc
	global_store_dwordx4 v[44:45], v[36:39], off offset:2048 glc slc
	;; [unrolled: 1-line block ×3, first 2 shown]
	s_waitcnt vmcnt(5)
	v_add_co_u32_e32 v24, vcc, v44, v60
	s_waitcnt vmcnt(4)
	v_addc_co_u32_e32 v25, vcc, v45, v61, vcc
	v_add_co_u32_e32 v44, vcc, s54, v24
	v_addc_co_u32_e32 v45, vcc, 0, v25, vcc
	v_add_co_u32_e32 v58, vcc, v58, v60
	v_addc_co_u32_e32 v59, vcc, v59, v61, vcc
	v_sub_u32_e32 v30, v30, v31
	v_cmp_gt_i32_e32 vcc, 1, v30
	s_or_b64 s[78:79], vcc, s[78:79]
	s_andn2_b64 s[44:45], s[88:89], exec
	s_and_b64 s[88:89], s[90:91], exec
	s_or_b64 s[88:89], s[44:45], s[88:89]
	s_andn2_b64 exec, exec, s[78:79]
	s_cbranch_execz .LBB8_4268
.LBB8_4263:                             ;   Parent Loop BB8_47 Depth=1
                                        ;     Parent Loop BB8_4183 Depth=2
                                        ; =>    This Inner Loop Header: Depth=3
	global_load_dwordx4 v[24:27], v[58:59], off glc slc
	global_load_dwordx4 v[32:35], v[58:59], off offset:1024 glc slc
	global_load_dwordx4 v[36:39], v[58:59], off offset:2048 glc slc
	;; [unrolled: 1-line block ×3, first 2 shown]
	s_and_saveexec_b64 s[92:93], s[90:91]
	s_cbranch_execz .LBB8_4265
; %bb.4264:                             ;   in Loop: Header=BB8_4263 Depth=3
	global_store_dwordx4 v[44:45], v[8:11], off glc slc
	global_store_dwordx4 v[44:45], v[12:15], off offset:1024 glc slc
	global_store_dwordx4 v[44:45], v[16:19], off offset:2048 glc slc
	;; [unrolled: 1-line block ×3, first 2 shown]
	buffer_load_dword v31, off, s[0:3], s33 offset:200 ; 4-byte Folded Reload
	s_waitcnt vmcnt(0)
	v_add_co_u32_e32 v44, vcc, v44, v31
	buffer_load_dword v31, off, s[0:3], s33 offset:204 ; 4-byte Folded Reload
	s_waitcnt vmcnt(0)
	v_addc_co_u32_e32 v45, vcc, v45, v31, vcc
.LBB8_4265:                             ;   in Loop: Header=BB8_4263 Depth=3
	s_or_b64 exec, exec, s[92:93]
	buffer_load_dword v31, off, s[0:3], s33 offset:200 ; 4-byte Folded Reload
	v_mov_b32_e32 v60, 0
	v_mov_b32_e32 v61, 0
	s_waitcnt vmcnt(0)
	v_add_co_u32_e32 v58, vcc, v58, v31
	buffer_load_dword v31, off, s[0:3], s33 offset:204 ; 4-byte Folded Reload
	s_waitcnt vmcnt(0)
	v_addc_co_u32_e32 v59, vcc, v59, v31, vcc
	buffer_load_dword v31, off, s[0:3], s33 offset:128 ; 4-byte Folded Reload
	s_waitcnt vmcnt(0)
	v_sub_u32_e32 v30, v30, v31
	v_mov_b32_e32 v31, 0
	v_cmp_lt_i32_e64 s[90:91], 0, v30
	s_and_saveexec_b64 s[92:93], s[90:91]
	s_cbranch_execz .LBB8_4262
; %bb.4266:                             ;   in Loop: Header=BB8_4263 Depth=3
	global_load_dwordx4 v[8:11], v[58:59], off glc slc
	global_load_dwordx4 v[12:15], v[58:59], off offset:1024 glc slc
	global_load_dwordx4 v[16:19], v[58:59], off offset:2048 glc slc
	;; [unrolled: 1-line block ×3, first 2 shown]
	buffer_load_dword v31, off, s[0:3], s33 offset:128 ; 4-byte Folded Reload
	buffer_load_dword v60, off, s[0:3], s33 offset:260 ; 4-byte Folded Reload
	;; [unrolled: 1-line block ×3, first 2 shown]
	v_add_co_u32_e32 v58, vcc, 0x1000, v58
	v_addc_co_u32_e32 v59, vcc, 0, v59, vcc
	s_branch .LBB8_4262
.LBB8_4267:                             ;   in Loop: Header=BB8_4183 Depth=2
	buffer_load_dword v8, off, s[0:3], s33 offset:304 ; 4-byte Folded Reload
	buffer_load_dword v14, off, s[0:3], s33 offset:272 ; 4-byte Folded Reload
	s_and_saveexec_b64 s[26:27], s[76:77]
	s_cbranch_execnz .LBB8_4288
	s_branch .LBB8_4308
.LBB8_4268:                             ;   in Loop: Header=BB8_4183 Depth=2
	s_or_b64 exec, exec, s[78:79]
	s_and_b64 s[78:79], s[88:89], exec
.LBB8_4269:                             ;   in Loop: Header=BB8_4183 Depth=2
	s_or_b64 exec, exec, s[26:27]
	s_and_saveexec_b64 s[26:27], s[78:79]
	s_cbranch_execz .LBB8_4271
; %bb.4270:                             ;   in Loop: Header=BB8_4183 Depth=2
	global_store_dwordx4 v[44:45], v[8:11], off glc slc
	global_store_dwordx4 v[44:45], v[12:15], off offset:1024 glc slc
	global_store_dwordx4 v[44:45], v[16:19], off offset:2048 glc slc
	;; [unrolled: 1-line block ×3, first 2 shown]
.LBB8_4271:                             ;   in Loop: Header=BB8_4183 Depth=2
	s_or_b64 exec, exec, s[26:27]
	v_lshlrev_b32_e32 v20, 12, v4
	v_cmp_ne_u32_e32 vcc, v3, v20
                                        ; implicit-def: $vgpr4
                                        ; implicit-def: $vgpr8
                                        ; implicit-def: $vgpr14
	s_and_saveexec_b64 s[78:79], vcc
	s_cbranch_execz .LBB8_4287
; %bb.4272:                             ;   in Loop: Header=BB8_4183 Depth=2
	buffer_load_dword v9, off, s[0:3], s33 offset:272 ; 4-byte Folded Reload
	v_lshlrev_b32_e32 v4, 6, v30
	v_sub_u32_e32 v8, v3, v20
	s_mov_b64 s[90:91], 0
	s_waitcnt vmcnt(0)
	v_sub_u32_e32 v4, v9, v4
	v_ashrrev_i32_e32 v9, 31, v4
	v_lshrrev_b32_e32 v9, 26, v9
	v_add_u32_e32 v9, v4, v9
	v_ashrrev_i32_e32 v11, 6, v9
	v_and_b32_e32 v9, 0xffffffc0, v9
	v_sub_u32_e32 v21, v4, v9
	v_ashrrev_i32_e32 v9, 31, v8
	v_lshrrev_b32_e32 v9, 22, v9
	v_add_u32_e32 v9, v8, v9
	v_and_b32_e32 v22, 0xfffffc00, v9
	v_lshlrev_b32_e32 v4, 4, v21
	v_sub_u32_e32 v24, v8, v22
	v_lshl_add_u32 v4, v11, 10, v4
	v_ashrrev_i32_e32 v12, 10, v9
	v_cmp_lt_i32_e64 s[26:27], 15, v24
	v_add_u32_e32 v10, v4, v20
	v_sub_u32_e32 v4, v8, v4
	v_addc_co_u32_e64 v8, vcc, 0, v12, s[26:27]
	v_sub_u32_e32 v23, v8, v11
	v_ashrrev_i32_e32 v11, 31, v10
	v_add_co_u32_e32 v16, vcc, v10, v42
	v_addc_co_u32_e32 v17, vcc, v11, v43, vcc
	v_cmp_lt_i32_e32 vcc, 15, v4
                                        ; implicit-def: $vgpr8_vgpr9
	s_and_saveexec_b64 s[88:89], vcc
	s_cbranch_execz .LBB8_4282
; %bb.4273:                             ;   in Loop: Header=BB8_4183 Depth=2
	v_add_co_u32_e32 v18, vcc, v10, v28
	v_addc_co_u32_e32 v19, vcc, v11, v29, vcc
	s_mov_b64 s[94:95], 0
                                        ; implicit-def: $sgpr92_sgpr93
                                        ; implicit-def: $vgpr8_vgpr9
	s_branch .LBB8_4275
.LBB8_4274:                             ;   in Loop: Header=BB8_4275 Depth=3
	s_or_b64 exec, exec, s[30:31]
	v_cmp_gt_i32_e32 vcc, 16, v4
	s_or_b64 s[90:91], vcc, s[90:91]
	s_andn2_b64 s[44:45], s[92:93], exec
	s_and_b64 s[92:93], s[94:95], exec
	s_or_b64 s[92:93], s[44:45], s[92:93]
	s_andn2_b64 exec, exec, s[90:91]
	s_cbranch_execz .LBB8_4281
.LBB8_4275:                             ;   Parent Loop BB8_47 Depth=1
                                        ;     Parent Loop BB8_4183 Depth=2
                                        ; =>    This Inner Loop Header: Depth=3
	global_load_dwordx4 v[12:15], v[18:19], off glc slc
	s_and_saveexec_b64 s[30:31], s[94:95]
	s_cbranch_execz .LBB8_4277
; %bb.4276:                             ;   in Loop: Header=BB8_4275 Depth=3
	buffer_load_dword v25, off, s[0:3], s33 offset:136 ; 4-byte Folded Reload
	buffer_load_dword v26, off, s[0:3], s33 offset:140 ; 4-byte Folded Reload
	s_waitcnt vmcnt(1)
	v_add_co_u32_e32 v25, vcc, v16, v25
	s_waitcnt vmcnt(0)
	v_addc_co_u32_e32 v26, vcc, v17, v26, vcc
	global_store_dwordx4 v[16:17], v[8:11], off glc slc
	v_mov_b32_e32 v16, v25
	v_mov_b32_e32 v17, v26
.LBB8_4277:                             ;   in Loop: Header=BB8_4275 Depth=3
	s_or_b64 exec, exec, s[30:31]
	buffer_load_dword v25, off, s[0:3], s33 offset:136 ; 4-byte Folded Reload
	s_waitcnt vmcnt(0)
	v_add_co_u32_e32 v18, vcc, v18, v25
	buffer_load_dword v25, off, s[0:3], s33 offset:140 ; 4-byte Folded Reload
	s_waitcnt vmcnt(0)
	v_addc_co_u32_e32 v19, vcc, v19, v25, vcc
	buffer_load_dword v25, off, s[0:3], s33 offset:180 ; 4-byte Folded Reload
	s_waitcnt vmcnt(0)
	v_sub_u32_e32 v4, v4, v25
	v_cmp_lt_i32_e64 s[94:95], 15, v4
	s_and_saveexec_b64 s[30:31], s[94:95]
	s_cbranch_execz .LBB8_4279
; %bb.4278:                             ;   in Loop: Header=BB8_4275 Depth=3
	global_load_dwordx4 v[8:11], v[18:19], off glc slc
	v_add_co_u32_e32 v18, vcc, 0x400, v18
	v_addc_co_u32_e32 v19, vcc, 0, v19, vcc
.LBB8_4279:                             ;   in Loop: Header=BB8_4275 Depth=3
	s_or_b64 exec, exec, s[30:31]
	buffer_load_dword v25, off, s[0:3], s33 offset:128 ; 4-byte Folded Reload
	s_waitcnt vmcnt(0)
	v_sub_u32_e32 v23, v23, v25
	global_store_dwordx4 v[16:17], v[12:15], off glc slc
	v_add_co_u32_e32 v16, vcc, 0x400, v16
	v_addc_co_u32_e32 v17, vcc, 0, v17, vcc
	s_and_saveexec_b64 s[30:31], s[94:95]
	s_cbranch_execz .LBB8_4274
; %bb.4280:                             ;   in Loop: Header=BB8_4275 Depth=3
	buffer_load_dword v12, off, s[0:3], s33 offset:128 ; 4-byte Folded Reload
	v_add_co_u32_e32 v18, vcc, v18, v54
	v_addc_co_u32_e32 v19, vcc, v19, v55, vcc
	v_add_co_u32_e32 v16, vcc, v16, v54
	v_addc_co_u32_e32 v17, vcc, v17, v55, vcc
	s_waitcnt vmcnt(0)
	v_sub_u32_e32 v23, v23, v12
	buffer_load_dword v12, off, s[0:3], s33 offset:180 ; 4-byte Folded Reload
	s_waitcnt vmcnt(0)
	v_sub_u32_e32 v4, v4, v12
	s_branch .LBB8_4274
.LBB8_4281:                             ;   in Loop: Header=BB8_4183 Depth=2
	s_or_b64 exec, exec, s[90:91]
	s_and_b64 s[90:91], s[92:93], exec
.LBB8_4282:                             ;   in Loop: Header=BB8_4183 Depth=2
	s_or_b64 exec, exec, s[88:89]
	s_and_saveexec_b64 s[88:89], s[90:91]
	s_cbranch_execz .LBB8_4284
; %bb.4283:                             ;   in Loop: Header=BB8_4183 Depth=2
	global_store_dwordx4 v[16:17], v[8:11], off glc slc
.LBB8_4284:                             ;   in Loop: Header=BB8_4183 Depth=2
	s_or_b64 exec, exec, s[88:89]
	v_and_b32_e32 v9, 14, v3
	v_cndmask_b32_e64 v3, v24, v9, s[26:27]
	v_cmp_ne_u32_e32 vcc, 0, v3
	s_mov_b64 s[90:91], s[76:77]
                                        ; implicit-def: $vgpr4
                                        ; implicit-def: $vgpr8
                                        ; implicit-def: $vgpr14
	s_and_saveexec_b64 s[88:89], vcc
	s_cbranch_execz .LBB8_4286
; %bb.4285:                             ;   in Loop: Header=BB8_4183 Depth=2
	buffer_load_dword v8, off, s[0:3], s33 offset:128 ; 4-byte Folded Reload
	v_cmp_lt_i32_e32 vcc, 0, v23
	v_sub_u32_e32 v4, v24, v9
	v_cndmask_b32_e64 v4, 0, v4, s[26:27]
	v_add3_u32 v4, v22, v20, v4
	s_or_b64 s[90:91], s[76:77], exec
	s_waitcnt vmcnt(0)
	v_cndmask_b32_e32 v8, 0, v8, vcc
	v_sub_u32_e32 v8, v8, v23
	v_lshl_add_u32 v8, v8, 6, v21
	v_ashrrev_i32_e32 v9, 31, v8
	v_lshrrev_b32_e32 v9, 26, v9
	v_add_u32_e32 v9, v8, v9
	v_and_b32_e32 v9, 0xffffffc0, v9
	v_sub_u32_e32 v14, v8, v9
.LBB8_4286:                             ;   in Loop: Header=BB8_4183 Depth=2
	s_or_b64 exec, exec, s[88:89]
	s_andn2_b64 s[26:27], s[76:77], exec
	s_and_b64 s[44:45], s[90:91], exec
	s_or_b64 s[76:77], s[26:27], s[44:45]
.LBB8_4287:                             ;   in Loop: Header=BB8_4183 Depth=2
	s_or_b64 exec, exec, s[78:79]
	s_and_saveexec_b64 s[26:27], s[76:77]
	s_cbranch_execz .LBB8_4308
.LBB8_4288:                             ;   in Loop: Header=BB8_4183 Depth=2
	s_waitcnt vmcnt(1)
	v_ashrrev_i32_e32 v9, 31, v8
	v_lshrrev_b32_e32 v9, 26, v9
	v_add_u32_e32 v8, v8, v9
	v_ashrrev_i32_e32 v8, 6, v8
	v_lshlrev_b32_e32 v9, 10, v8
	s_waitcnt vmcnt(0)
	v_lshlrev_b32_e32 v10, 1, v14
	v_add3_u32 v10, v4, v10, v9
	v_ashrrev_i32_e32 v9, 31, v3
	v_lshrrev_b32_e32 v9, 22, v9
	v_add_u32_e32 v9, v3, v9
	v_ashrrev_i32_e32 v15, 10, v9
	v_sub_u32_e32 v12, v15, v8
	v_ashrrev_i32_e32 v11, 31, v10
	v_add_co_u32_e32 v8, vcc, v42, v10
	v_addc_co_u32_e32 v9, vcc, v43, v11, vcc
	v_cmp_lt_i32_e32 vcc, 0, v12
	s_mov_b64 s[78:79], 0
                                        ; implicit-def: $vgpr16
                                        ; implicit-def: $vgpr17
                                        ; implicit-def: $vgpr18
                                        ; implicit-def: $vgpr19
                                        ; implicit-def: $vgpr20
                                        ; implicit-def: $vgpr21
                                        ; implicit-def: $vgpr22
                                        ; implicit-def: $vgpr23
	s_and_saveexec_b64 s[76:77], vcc
	s_cbranch_execz .LBB8_4296
; %bb.4289:                             ;   in Loop: Header=BB8_4183 Depth=2
	v_add_co_u32_e32 v10, vcc, v10, v28
	v_addc_co_u32_e32 v11, vcc, v11, v29, vcc
	s_mov_b64 s[90:91], 0
                                        ; implicit-def: $sgpr88_sgpr89
                                        ; implicit-def: $vgpr16
                                        ; implicit-def: $vgpr17
                                        ; implicit-def: $vgpr18
                                        ; implicit-def: $vgpr19
                                        ; implicit-def: $vgpr20
                                        ; implicit-def: $vgpr21
                                        ; implicit-def: $vgpr22
                                        ; implicit-def: $vgpr23
	s_branch .LBB8_4291
.LBB8_4290:                             ;   in Loop: Header=BB8_4291 Depth=3
	s_or_b64 exec, exec, s[92:93]
	s_waitcnt lgkmcnt(0)
	flat_store_short v[8:9], v24 glc slc
	flat_store_short v[8:9], v25 offset:128 glc slc
	flat_store_short v[8:9], v26 offset:256 glc slc
	;; [unrolled: 1-line block ×7, first 2 shown]
	v_add_co_u32_e32 v8, vcc, v8, v12
	v_addc_co_u32_e32 v9, vcc, v9, v13, vcc
	v_add_co_u32_e32 v8, vcc, s55, v8
	v_addc_co_u32_e32 v9, vcc, 0, v9, vcc
	;; [unrolled: 2-line block ×3, first 2 shown]
	s_waitcnt vmcnt(0)
	v_sub_u32_e32 v12, v34, v35
	v_cmp_gt_i32_e32 vcc, 1, v12
	s_or_b64 s[78:79], vcc, s[78:79]
	s_andn2_b64 s[44:45], s[88:89], exec
	s_and_b64 s[88:89], s[90:91], exec
	s_or_b64 s[88:89], s[44:45], s[88:89]
	s_andn2_b64 exec, exec, s[78:79]
	s_cbranch_execz .LBB8_4295
.LBB8_4291:                             ;   Parent Loop BB8_47 Depth=1
                                        ;     Parent Loop BB8_4183 Depth=2
                                        ; =>    This Inner Loop Header: Depth=3
	flat_load_ushort v24, v[10:11] glc slc
	flat_load_ushort v25, v[10:11] offset:128 glc slc
	flat_load_ushort v26, v[10:11] offset:256 glc slc
	;; [unrolled: 1-line block ×7, first 2 shown]
	s_and_saveexec_b64 s[92:93], s[90:91]
	s_cbranch_execz .LBB8_4293
; %bb.4292:                             ;   in Loop: Header=BB8_4291 Depth=3
	flat_store_short v[8:9], v16 glc slc
	flat_store_short v[8:9], v17 offset:128 glc slc
	flat_store_short v[8:9], v18 offset:256 glc slc
	;; [unrolled: 1-line block ×7, first 2 shown]
	buffer_load_dword v13, off, s[0:3], s33 offset:136 ; 4-byte Folded Reload
	s_waitcnt vmcnt(0)
	v_add_co_u32_e32 v8, vcc, v8, v13
	buffer_load_dword v13, off, s[0:3], s33 offset:140 ; 4-byte Folded Reload
	s_waitcnt vmcnt(0)
	v_addc_co_u32_e32 v9, vcc, v9, v13, vcc
.LBB8_4293:                             ;   in Loop: Header=BB8_4291 Depth=3
	s_or_b64 exec, exec, s[92:93]
	buffer_load_dword v13, off, s[0:3], s33 offset:136 ; 4-byte Folded Reload
	v_mov_b32_e32 v35, 0
	s_waitcnt vmcnt(0)
	v_add_co_u32_e32 v10, vcc, v10, v13
	buffer_load_dword v13, off, s[0:3], s33 offset:140 ; 4-byte Folded Reload
	s_waitcnt vmcnt(0)
	v_addc_co_u32_e32 v11, vcc, v11, v13, vcc
	buffer_load_dword v13, off, s[0:3], s33 offset:128 ; 4-byte Folded Reload
	s_waitcnt vmcnt(0)
	v_sub_u32_e32 v34, v12, v13
	v_mov_b32_e32 v12, 0
	v_mov_b32_e32 v13, 0
	v_cmp_lt_i32_e64 s[90:91], 0, v34
	s_and_saveexec_b64 s[92:93], s[90:91]
	s_cbranch_execz .LBB8_4290
; %bb.4294:                             ;   in Loop: Header=BB8_4291 Depth=3
	flat_load_ushort v16, v[10:11] glc slc
	flat_load_ushort v17, v[10:11] offset:128 glc slc
	flat_load_ushort v18, v[10:11] offset:256 glc slc
	;; [unrolled: 1-line block ×7, first 2 shown]
	buffer_load_dword v35, off, s[0:3], s33 offset:128 ; 4-byte Folded Reload
	v_add_co_u32_e32 v10, vcc, 0x400, v10
	v_mov_b32_e32 v12, v54
	v_addc_co_u32_e32 v11, vcc, 0, v11, vcc
	v_mov_b32_e32 v13, v55
	s_branch .LBB8_4290
.LBB8_4295:                             ;   in Loop: Header=BB8_4183 Depth=2
	s_or_b64 exec, exec, s[78:79]
	s_and_b64 s[78:79], s[88:89], exec
.LBB8_4296:                             ;   in Loop: Header=BB8_4183 Depth=2
	s_or_b64 exec, exec, s[76:77]
	s_and_saveexec_b64 s[76:77], s[78:79]
	s_cbranch_execz .LBB8_4298
; %bb.4297:                             ;   in Loop: Header=BB8_4183 Depth=2
	flat_store_short v[8:9], v16 glc slc
	flat_store_short v[8:9], v17 offset:128 glc slc
	flat_store_short v[8:9], v18 offset:256 glc slc
	;; [unrolled: 1-line block ×7, first 2 shown]
.LBB8_4298:                             ;   in Loop: Header=BB8_4183 Depth=2
	s_or_b64 exec, exec, s[76:77]
	v_lshlrev_b32_e32 v8, 10, v15
	v_cmp_ne_u32_e32 vcc, v3, v8
	s_and_b64 exec, exec, vcc
	s_cbranch_execz .LBB8_4308
; %bb.4299:                             ;   in Loop: Header=BB8_4183 Depth=2
	v_lshlrev_b32_e32 v9, 6, v12
	v_sub_u32_e32 v9, v14, v9
	v_ashrrev_i32_e32 v10, 31, v9
	v_lshrrev_b32_e32 v10, 26, v10
	v_add_u32_e32 v10, v9, v10
	v_and_b32_e32 v11, 0x7fffffc0, v10
	v_sub_u32_e32 v9, v9, v11
	v_lshlrev_b32_e32 v10, 1, v10
	v_and_b32_e32 v10, 0xffffff80, v10
	v_lshlrev_b32_e32 v9, 1, v9
	v_add3_u32 v8, v10, v9, v8
	v_sub_u32_e32 v13, v3, v8
	v_cmp_lt_i32_e32 vcc, 1, v13
	s_and_b64 exec, exec, vcc
	s_cbranch_execz .LBB8_4308
; %bb.4300:                             ;   in Loop: Header=BB8_4183 Depth=2
	v_add_u32_e32 v3, v8, v4
	v_ashrrev_i32_e32 v4, 31, v3
	v_add_co_u32_e32 v8, vcc, v42, v3
	v_addc_co_u32_e32 v9, vcc, v43, v4, vcc
	v_add_co_u32_e32 v10, vcc, v3, v28
	v_addc_co_u32_e32 v11, vcc, v4, v29, vcc
	s_mov_b64 s[88:89], 0
	s_mov_b64 s[76:77], 0
                                        ; implicit-def: $sgpr78_sgpr79
                                        ; implicit-def: $vgpr12
	s_branch .LBB8_4302
.LBB8_4301:                             ;   in Loop: Header=BB8_4302 Depth=3
	s_or_b64 exec, exec, s[90:91]
	s_waitcnt lgkmcnt(0)
	flat_store_short v[8:9], v14 glc slc
	s_waitcnt vmcnt(0)
	v_add_co_u32_e32 v8, vcc, v8, v10
	v_addc_co_u32_e32 v9, vcc, v9, v11, vcc
	v_add_co_u32_e32 v10, vcc, v3, v10
	v_addc_co_u32_e32 v11, vcc, v4, v11, vcc
	;; [unrolled: 2-line block ×3, first 2 shown]
	v_sub_u32_e32 v13, v13, v15
	v_cmp_gt_i32_e32 vcc, 2, v13
	s_or_b64 s[76:77], vcc, s[76:77]
	s_andn2_b64 s[44:45], s[78:79], exec
	s_and_b64 s[78:79], s[88:89], exec
	s_or_b64 s[78:79], s[44:45], s[78:79]
	s_andn2_b64 exec, exec, s[76:77]
	s_cbranch_execz .LBB8_4306
.LBB8_4302:                             ;   Parent Loop BB8_47 Depth=1
                                        ;     Parent Loop BB8_4183 Depth=2
                                        ; =>    This Inner Loop Header: Depth=3
	flat_load_ushort v14, v[10:11] glc slc
	s_and_saveexec_b64 s[90:91], s[88:89]
	s_cbranch_execz .LBB8_4304
; %bb.4303:                             ;   in Loop: Header=BB8_4302 Depth=3
	buffer_load_dword v3, off, s[0:3], s33 offset:192 ; 4-byte Folded Reload
	buffer_load_dword v4, off, s[0:3], s33 offset:196 ; 4-byte Folded Reload
	s_waitcnt vmcnt(0)
	v_add_co_u32_e32 v3, vcc, v8, v3
	v_addc_co_u32_e32 v4, vcc, v9, v4, vcc
	flat_store_short v[8:9], v12 glc slc
	v_mov_b32_e32 v9, v4
	v_mov_b32_e32 v8, v3
.LBB8_4304:                             ;   in Loop: Header=BB8_4302 Depth=3
	s_or_b64 exec, exec, s[90:91]
	buffer_load_dword v3, off, s[0:3], s33 offset:192 ; 4-byte Folded Reload
	buffer_load_dword v4, off, s[0:3], s33 offset:196 ; 4-byte Folded Reload
	v_mov_b32_e32 v15, 0
	s_waitcnt vmcnt(0)
	v_add_co_u32_e32 v3, vcc, v10, v3
	buffer_load_dword v10, off, s[0:3], s33 offset:168 ; 4-byte Folded Reload
	v_addc_co_u32_e32 v4, vcc, v11, v4, vcc
	s_waitcnt vmcnt(0)
	v_sub_u32_e32 v13, v13, v10
	v_mov_b32_e32 v10, 0
	v_cmp_lt_i32_e64 s[88:89], 1, v13
	v_mov_b32_e32 v11, 0
	s_and_saveexec_b64 s[90:91], s[88:89]
	s_cbranch_execz .LBB8_4301
; %bb.4305:                             ;   in Loop: Header=BB8_4302 Depth=3
	flat_load_ushort v12, v[3:4] glc slc
	buffer_load_dword v15, off, s[0:3], s33 offset:168 ; 4-byte Folded Reload
	buffer_load_dword v10, off, s[0:3], s33 offset:184 ; 4-byte Folded Reload
	;; [unrolled: 1-line block ×3, first 2 shown]
	v_add_co_u32_e32 v3, vcc, 0x80, v3
	v_addc_co_u32_e32 v4, vcc, 0, v4, vcc
	s_branch .LBB8_4301
.LBB8_4306:                             ;   in Loop: Header=BB8_4183 Depth=2
	s_or_b64 exec, exec, s[76:77]
	s_and_b64 exec, exec, s[78:79]
	s_cbranch_execz .LBB8_4308
; %bb.4307:                             ;   in Loop: Header=BB8_4183 Depth=2
	flat_store_short v[8:9], v12 glc slc
.LBB8_4308:                             ;   in Loop: Header=BB8_4183 Depth=2
	s_or_b64 exec, exec, s[26:27]
	v_cmp_lt_i32_e64 s[26:27], 0, v1
	s_and_saveexec_b64 s[76:77], s[10:11]
	s_cbranch_execz .LBB8_4254
.LBB8_4309:                             ;   in Loop: Header=BB8_4183 Depth=2
	s_and_saveexec_b64 s[44:45], s[56:57]
	s_xor_b64 s[78:79], exec, s[44:45]
	s_cbranch_execz .LBB8_4324
; %bb.4310:                             ;   in Loop: Header=BB8_4183 Depth=2
	s_and_saveexec_b64 s[88:89], s[16:17]
	s_cbranch_execz .LBB8_4323
; %bb.4311:                             ;   in Loop: Header=BB8_4183 Depth=2
	s_mov_b64 s[92:93], exec
	v_mbcnt_lo_u32_b32 v1, s92, 0
	v_mbcnt_hi_u32_b32 v1, s93, v1
	v_cmp_eq_u32_e32 vcc, 0, v1
	s_waitcnt vmcnt(0) lgkmcnt(0)
	buffer_wbinvl1_vol
	s_and_saveexec_b64 s[90:91], vcc
	s_cbranch_execz .LBB8_4313
; %bb.4312:                             ;   in Loop: Header=BB8_4183 Depth=2
	s_bcnt1_i32_b64 s44, s[92:93]
	v_mov_b32_e32 v3, s44
	v_mov_b32_e32 v4, v2
	ds_add_u64 v0, v[3:4]
	s_trap 2
.LBB8_4313:                             ;   in Loop: Header=BB8_4183 Depth=2
	s_or_b64 exec, exec, s[90:91]
	s_trap 2
	ds_read_b64 v[3:4], v0
	s_waitcnt lgkmcnt(0)
	buffer_load_dword v1, off, s[0:3], s33 offset:128 ; 4-byte Folded Reload
	buffer_load_dword v8, off, s[0:3], s33 offset:144 ; 4-byte Folded Reload
	;; [unrolled: 1-line block ×3, first 2 shown]
	s_waitcnt vmcnt(1)
	v_add_co_u32_e32 v8, vcc, v8, v1
	s_waitcnt vmcnt(0)
	v_addc_co_u32_e32 v9, vcc, 0, v9, vcc
	buffer_store_dword v8, off, s[0:3], s33 offset:144 ; 4-byte Folded Spill
	s_nop 0
	buffer_store_dword v9, off, s[0:3], s33 offset:148 ; 4-byte Folded Spill
	v_cmp_lt_u64_e32 vcc, v[3:4], v[8:9]
	s_and_saveexec_b64 s[90:91], vcc
	s_cbranch_execz .LBB8_4322
; %bb.4314:                             ;   in Loop: Header=BB8_4183 Depth=2
	s_mov_b32 s44, 0
	s_mov_b64 s[92:93], 0
                                        ; implicit-def: $sgpr94_sgpr95
                                        ; implicit-def: $sgpr30_sgpr31
	s_branch .LBB8_4316
.LBB8_4315:                             ;   in Loop: Header=BB8_4316 Depth=3
	s_or_b64 exec, exec, s[36:37]
	s_and_b64 vcc, exec, vcc
	s_or_b64 s[92:93], vcc, s[92:93]
	s_andn2_b64 s[94:95], s[94:95], exec
	s_and_b64 vcc, s[30:31], exec
	s_or_b64 s[94:95], s[94:95], vcc
	s_andn2_b64 exec, exec, s[92:93]
	s_cbranch_execz .LBB8_4320
.LBB8_4316:                             ;   Parent Loop BB8_47 Depth=1
                                        ;     Parent Loop BB8_4183 Depth=2
                                        ; =>    This Inner Loop Header: Depth=3
	s_add_i32 s44, s44, 1
	s_cmpk_lg_i32 s44, 0x2710
	s_cselect_b64 s[34:35], -1, 0
	s_and_b64 vcc, exec, s[34:35]
	s_cbranch_vccz .LBB8_4318
; %bb.4317:                             ;   in Loop: Header=BB8_4316 Depth=3
	s_mov_b64 vcc, -1
	s_or_b64 s[30:31], s[30:31], exec
	s_and_saveexec_b64 s[36:37], s[34:35]
	s_cbranch_execz .LBB8_4315
	s_branch .LBB8_4319
.LBB8_4318:                             ;   in Loop: Header=BB8_4316 Depth=3
	s_trap 2
	ds_read_b64 v[3:4], v0
	s_andn2_b64 s[34:35], s[34:35], exec
	s_mov_b32 s44, 0
	s_waitcnt vmcnt(0) lgkmcnt(0)
	flat_load_dword v1, v[3:4] glc
	s_waitcnt vmcnt(0) lgkmcnt(0)
	buffer_wbinvl1_vol
	v_cmp_eq_u32_e32 vcc, 0, v1
	s_and_b64 vcc, vcc, exec
	s_or_b64 s[34:35], s[34:35], vcc
	s_mov_b64 vcc, -1
	s_or_b64 s[30:31], s[30:31], exec
	s_and_saveexec_b64 s[36:37], s[34:35]
	s_cbranch_execz .LBB8_4315
.LBB8_4319:                             ;   in Loop: Header=BB8_4316 Depth=3
	s_sleep 1
	s_trap 2
	ds_read_b64 v[3:4], v0
	s_waitcnt lgkmcnt(0)
	buffer_load_dword v8, off, s[0:3], s33 offset:144 ; 4-byte Folded Reload
	buffer_load_dword v9, off, s[0:3], s33 offset:148 ; 4-byte Folded Reload
	s_andn2_b64 s[30:31], s[30:31], exec
	s_waitcnt vmcnt(0)
	v_cmp_ge_u64_e32 vcc, v[3:4], v[8:9]
	s_orn2_b64 vcc, vcc, exec
	s_branch .LBB8_4315
.LBB8_4320:                             ;   in Loop: Header=BB8_4183 Depth=2
	s_or_b64 exec, exec, s[92:93]
	s_and_saveexec_b64 s[44:45], s[94:95]
	s_xor_b64 s[44:45], exec, s[44:45]
	s_cbranch_execz .LBB8_4322
; %bb.4321:                             ;   in Loop: Header=BB8_4183 Depth=2
	v_mov_b32_e32 v1, 1
	ds_write_b32 v0, v1
	s_trap 2
.LBB8_4322:                             ;   in Loop: Header=BB8_4183 Depth=2
	s_or_b64 exec, exec, s[90:91]
	;;#ASMSTART
	s_wakeup
	;;#ASMEND
.LBB8_4323:                             ;   in Loop: Header=BB8_4183 Depth=2
	s_or_b64 exec, exec, s[88:89]
.LBB8_4324:                             ;   in Loop: Header=BB8_4183 Depth=2
	s_andn2_saveexec_b64 s[78:79], s[78:79]
	s_cbranch_execz .LBB8_4326
; %bb.4325:                             ;   in Loop: Header=BB8_4183 Depth=2
	s_waitcnt vmcnt(0) lgkmcnt(0)
	buffer_wbinvl1_vol
	s_barrier
.LBB8_4326:                             ;   in Loop: Header=BB8_4183 Depth=2
	s_or_b64 exec, exec, s[78:79]
	s_or_b64 exec, exec, s[76:77]
	s_and_saveexec_b64 s[44:45], s[24:25]
	s_xor_b64 s[76:77], exec, s[44:45]
	s_cbranch_execnz .LBB8_4255
.LBB8_4327:                             ;   in Loop: Header=BB8_4183 Depth=2
	s_andn2_saveexec_b64 s[26:27], s[76:77]
	s_cbranch_execz .LBB8_4346
.LBB8_4328:                             ;   in Loop: Header=BB8_4183 Depth=2
	s_and_saveexec_b64 s[44:45], s[56:57]
	s_xor_b64 s[76:77], exec, s[44:45]
	s_cbranch_execz .LBB8_4343
; %bb.4329:                             ;   in Loop: Header=BB8_4183 Depth=2
	s_and_saveexec_b64 s[78:79], s[16:17]
	s_cbranch_execz .LBB8_4342
; %bb.4330:                             ;   in Loop: Header=BB8_4183 Depth=2
	s_mov_b64 s[90:91], exec
	v_mbcnt_lo_u32_b32 v1, s90, 0
	v_mbcnt_hi_u32_b32 v1, s91, v1
	v_cmp_eq_u32_e32 vcc, 0, v1
	;;#ASMSTART
	s_waitcnt lgkmcnt(0) vmcnt(0)
	;;#ASMEND
	s_and_saveexec_b64 s[88:89], vcc
	s_cbranch_execz .LBB8_4332
; %bb.4331:                             ;   in Loop: Header=BB8_4183 Depth=2
	s_bcnt1_i32_b64 s44, s[90:91]
	v_mov_b32_e32 v3, s44
	v_mov_b32_e32 v4, v2
	s_waitcnt lgkmcnt(0)
	ds_add_u64 v0, v[3:4]
	s_trap 2
.LBB8_4332:                             ;   in Loop: Header=BB8_4183 Depth=2
	s_or_b64 exec, exec, s[88:89]
	s_trap 2
	ds_read_b64 v[3:4], v0
	s_waitcnt lgkmcnt(0)
	buffer_load_dword v1, off, s[0:3], s33 offset:128 ; 4-byte Folded Reload
	buffer_load_dword v8, off, s[0:3], s33 offset:144 ; 4-byte Folded Reload
	;; [unrolled: 1-line block ×3, first 2 shown]
	s_waitcnt vmcnt(0)
	v_add_co_u32_e32 v8, vcc, v8, v1
	v_addc_co_u32_e32 v9, vcc, 0, v9, vcc
	buffer_store_dword v8, off, s[0:3], s33 offset:144 ; 4-byte Folded Spill
	s_nop 0
	buffer_store_dword v9, off, s[0:3], s33 offset:148 ; 4-byte Folded Spill
	v_cmp_lt_u64_e32 vcc, v[3:4], v[8:9]
	s_and_saveexec_b64 s[88:89], vcc
	s_cbranch_execz .LBB8_4341
; %bb.4333:                             ;   in Loop: Header=BB8_4183 Depth=2
	s_mov_b32 s44, 0
	s_mov_b64 s[90:91], 0
                                        ; implicit-def: $sgpr92_sgpr93
                                        ; implicit-def: $sgpr94_sgpr95
	s_branch .LBB8_4335
.LBB8_4334:                             ;   in Loop: Header=BB8_4335 Depth=3
	s_or_b64 exec, exec, s[34:35]
	s_and_b64 vcc, exec, vcc
	s_or_b64 s[90:91], vcc, s[90:91]
	s_andn2_b64 s[92:93], s[92:93], exec
	s_and_b64 vcc, s[94:95], exec
	s_or_b64 s[92:93], s[92:93], vcc
	s_andn2_b64 exec, exec, s[90:91]
	s_cbranch_execz .LBB8_4339
.LBB8_4335:                             ;   Parent Loop BB8_47 Depth=1
                                        ;     Parent Loop BB8_4183 Depth=2
                                        ; =>    This Inner Loop Header: Depth=3
	s_add_i32 s44, s44, 1
	s_cmpk_lg_i32 s44, 0x2710
	s_cselect_b64 s[30:31], -1, 0
	s_and_b64 vcc, exec, s[30:31]
	s_cbranch_vccz .LBB8_4337
; %bb.4336:                             ;   in Loop: Header=BB8_4335 Depth=3
	s_mov_b64 vcc, -1
	s_or_b64 s[94:95], s[94:95], exec
	s_and_saveexec_b64 s[34:35], s[30:31]
	s_cbranch_execz .LBB8_4334
	s_branch .LBB8_4338
.LBB8_4337:                             ;   in Loop: Header=BB8_4335 Depth=3
	s_trap 2
	ds_read_b64 v[3:4], v0
	s_andn2_b64 s[30:31], s[30:31], exec
	s_mov_b32 s44, 0
	s_waitcnt vmcnt(0) lgkmcnt(0)
	flat_load_dword v1, v[3:4] glc
	s_waitcnt vmcnt(0) lgkmcnt(0)
	buffer_wbinvl1_vol
	v_cmp_eq_u32_e32 vcc, 0, v1
	s_and_b64 vcc, vcc, exec
	s_or_b64 s[30:31], s[30:31], vcc
	s_mov_b64 vcc, -1
	s_or_b64 s[94:95], s[94:95], exec
	s_and_saveexec_b64 s[34:35], s[30:31]
	s_cbranch_execz .LBB8_4334
.LBB8_4338:                             ;   in Loop: Header=BB8_4335 Depth=3
	s_sleep 1
	s_trap 2
	ds_read_b64 v[3:4], v0
	s_waitcnt lgkmcnt(0)
	buffer_load_dword v8, off, s[0:3], s33 offset:144 ; 4-byte Folded Reload
	buffer_load_dword v9, off, s[0:3], s33 offset:148 ; 4-byte Folded Reload
	s_andn2_b64 s[94:95], s[94:95], exec
	s_waitcnt vmcnt(0)
	v_cmp_ge_u64_e32 vcc, v[3:4], v[8:9]
	s_orn2_b64 vcc, vcc, exec
	s_branch .LBB8_4334
.LBB8_4339:                             ;   in Loop: Header=BB8_4183 Depth=2
	s_or_b64 exec, exec, s[90:91]
	s_and_saveexec_b64 s[44:45], s[92:93]
	s_xor_b64 s[44:45], exec, s[44:45]
	s_cbranch_execz .LBB8_4341
; %bb.4340:                             ;   in Loop: Header=BB8_4183 Depth=2
	v_mov_b32_e32 v1, 1
	ds_write_b32 v0, v1
	s_trap 2
.LBB8_4341:                             ;   in Loop: Header=BB8_4183 Depth=2
	s_or_b64 exec, exec, s[88:89]
	;;#ASMSTART
	s_wakeup
	;;#ASMEND
.LBB8_4342:                             ;   in Loop: Header=BB8_4183 Depth=2
	s_or_b64 exec, exec, s[78:79]
.LBB8_4343:                             ;   in Loop: Header=BB8_4183 Depth=2
	s_andn2_saveexec_b64 s[76:77], s[76:77]
	s_cbranch_execz .LBB8_4345
; %bb.4344:                             ;   in Loop: Header=BB8_4183 Depth=2
	;;#ASMSTART
	s_waitcnt lgkmcnt(0) vmcnt(0)
	;;#ASMEND
	s_waitcnt vmcnt(0) lgkmcnt(0)
	s_barrier
.LBB8_4345:                             ;   in Loop: Header=BB8_4183 Depth=2
	s_or_b64 exec, exec, s[76:77]
.LBB8_4346:                             ;   in Loop: Header=BB8_4183 Depth=2
	s_or_b64 exec, exec, s[26:27]
	buffer_load_dword v1, off, s[0:3], s33 offset:132 ; 4-byte Folded Reload
	s_waitcnt vmcnt(0)
	v_and_b32_e32 v1, 32, v1
	v_cmp_ne_u32_e32 vcc, 0, v1
	s_and_saveexec_b64 s[26:27], vcc
	s_cbranch_execz .LBB8_4182
; %bb.4347:                             ;   in Loop: Header=BB8_4183 Depth=2
	buffer_load_dword v3, off, s[0:3], s33 offset:160 ; 4-byte Folded Reload
	buffer_load_dword v4, off, s[0:3], s33 offset:164 ; 4-byte Folded Reload
	s_waitcnt vmcnt(0)
	v_add_co_u32_e32 v3, vcc, 2, v3
	v_addc_co_u32_e32 v4, vcc, 0, v4, vcc
	buffer_store_dword v3, off, s[0:3], s33 offset:160 ; 4-byte Folded Spill
	s_nop 0
	buffer_store_dword v4, off, s[0:3], s33 offset:164 ; 4-byte Folded Spill
	flat_store_dwordx2 v[40:41], v[3:4]
	s_branch .LBB8_4182
.LBB8_4348:                             ;   in Loop: Header=BB8_47 Depth=1
	s_or_b64 exec, exec, s[40:41]
.LBB8_4349:                             ;   in Loop: Header=BB8_47 Depth=1
	s_or_b64 exec, exec, s[28:29]
	v_cmp_gt_i32_e32 vcc, 2, v1
	s_and_saveexec_b64 s[28:29], vcc
	s_cbranch_execz .LBB8_46
; %bb.4350:                             ;   in Loop: Header=BB8_47 Depth=1
	v_cmp_eq_u32_e64 s[42:43], 0, v1
	s_mov_b64 s[40:41], 0
	s_branch .LBB8_4352
.LBB8_4351:                             ;   in Loop: Header=BB8_4352 Depth=2
	s_or_b64 exec, exec, s[26:27]
	v_add_u32_e32 v0, v5, v0
	s_mov_b64 s[42:43], 0
	s_andn2_b64 exec, exec, s[40:41]
	s_cbranch_execz .LBB8_45
.LBB8_4352:                             ;   Parent Loop BB8_47 Depth=1
                                        ; =>  This Loop Header: Depth=2
                                        ;       Child Loop BB8_4358 Depth 3
                                        ;       Child Loop BB8_4382 Depth 3
	;; [unrolled: 1-line block ×3, first 2 shown]
	buffer_load_dword v1, off, s[0:3], s33 offset:132 ; 4-byte Folded Reload
	s_waitcnt vmcnt(0)
	v_and_b32_e32 v1, 4, v1
	v_cmp_ne_u32_e32 vcc, 0, v1
	s_and_saveexec_b64 s[76:77], vcc
	s_cbranch_execz .LBB8_4374
; %bb.4353:                             ;   in Loop: Header=BB8_4352 Depth=2
	buffer_load_dword v3, off, s[0:3], s33 offset:160 ; 4-byte Folded Reload
	buffer_load_dword v4, off, s[0:3], s33 offset:164 ; 4-byte Folded Reload
	s_waitcnt vmcnt(0)
	v_add_co_u32_e32 v6, vcc, 2, v3
	v_addc_co_u32_e32 v7, vcc, 0, v4, vcc
	s_waitcnt lgkmcnt(0)
	v_cmp_lt_u64_e32 vcc, v[46:47], v[6:7]
	s_and_saveexec_b64 s[78:79], vcc
	s_cbranch_execz .LBB8_4365
; %bb.4354:                             ;   in Loop: Header=BB8_4352 Depth=2
	buffer_load_dword v1, off, s[0:3], s33 offset:132 ; 4-byte Folded Reload
	s_mov_b32 s44, 0
	s_mov_b64 s[88:89], 0
                                        ; implicit-def: $sgpr90_sgpr91
                                        ; implicit-def: $sgpr92_sgpr93
                                        ; implicit-def: $sgpr94_sgpr95
	s_waitcnt vmcnt(0)
	v_and_b32_e32 v1, 64, v1
	v_cmp_eq_u32_e32 vcc, 0, v1
	s_branch .LBB8_4358
.LBB8_4355:                             ;   in Loop: Header=BB8_4358 Depth=3
	s_waitcnt vmcnt(0) lgkmcnt(0)
	v_cmp_ge_u64_e64 s[26:27], v[46:47], v[6:7]
	s_or_b64 s[36:37], s[36:37], exec
	s_orn2_b64 s[34:35], s[26:27], exec
.LBB8_4356:                             ;   in Loop: Header=BB8_4358 Depth=3
	s_or_b64 exec, exec, s[48:49]
	s_andn2_b64 s[26:27], s[94:95], exec
	s_and_b64 s[94:95], s[36:37], exec
	s_or_b64 s[94:95], s[26:27], s[94:95]
	s_andn2_b64 s[26:27], s[92:93], exec
	s_and_b64 s[92:93], s[34:35], exec
	s_or_b64 s[92:93], s[26:27], s[92:93]
.LBB8_4357:                             ;   in Loop: Header=BB8_4358 Depth=3
	s_or_b64 exec, exec, s[30:31]
	s_and_b64 s[26:27], exec, s[92:93]
	s_or_b64 s[88:89], s[26:27], s[88:89]
	s_andn2_b64 s[26:27], s[90:91], exec
	s_and_b64 s[90:91], s[94:95], exec
	s_or_b64 s[90:91], s[26:27], s[90:91]
	s_andn2_b64 exec, exec, s[88:89]
	s_cbranch_execz .LBB8_4362
.LBB8_4358:                             ;   Parent Loop BB8_47 Depth=1
                                        ;     Parent Loop BB8_4352 Depth=2
                                        ; =>    This Inner Loop Header: Depth=3
	s_sleep 1
	s_waitcnt vmcnt(0) lgkmcnt(0)
	flat_load_dwordx2 v[46:47], v[40:41] glc
	s_or_b64 s[94:95], s[94:95], exec
	s_or_b64 s[92:93], s[92:93], exec
                                        ; implicit-def: $vgpr1
	s_and_saveexec_b64 s[30:31], vcc
	s_cbranch_execz .LBB8_4357
; %bb.4359:                             ;   in Loop: Header=BB8_4358 Depth=3
	s_cmpk_lt_i32 s44, 0x270f
	s_cselect_b64 s[38:39], -1, 0
	s_cmpk_gt_i32 s44, 0x270e
	s_mov_b64 s[34:35], -1
	s_cbranch_scc0 .LBB8_4361
; %bb.4360:                             ;   in Loop: Header=BB8_4358 Depth=3
	s_trap 2
	ds_read_b64 v[3:4], v0
	s_andn2_b64 s[38:39], s[38:39], exec
	s_mov_b32 s44, 0
	s_mov_b64 s[36:37], 0
	s_waitcnt vmcnt(0) lgkmcnt(0)
	flat_load_dword v1, v[3:4] glc
	s_waitcnt vmcnt(0) lgkmcnt(0)
	buffer_wbinvl1_vol
	v_cmp_eq_u32_e64 s[26:27], 0, v1
	s_and_b64 s[26:27], s[26:27], exec
	s_or_b64 s[38:39], s[38:39], s[26:27]
	s_and_saveexec_b64 s[48:49], s[38:39]
	s_cbranch_execz .LBB8_4356
	s_branch .LBB8_4355
.LBB8_4361:                             ;   in Loop: Header=BB8_4358 Depth=3
	s_add_i32 s44, s44, 1
	s_mov_b64 s[36:37], -1
                                        ; implicit-def: $vgpr1
	s_and_saveexec_b64 s[48:49], s[38:39]
	s_cbranch_execz .LBB8_4356
	s_branch .LBB8_4355
.LBB8_4362:                             ;   in Loop: Header=BB8_4352 Depth=2
	s_or_b64 exec, exec, s[88:89]
	s_xor_b64 s[26:27], s[90:91], -1
	s_and_saveexec_b64 s[44:45], s[26:27]
	s_xor_b64 s[26:27], exec, s[44:45]
	s_cbranch_execz .LBB8_4364
; %bb.4363:                             ;   in Loop: Header=BB8_4352 Depth=2
	s_waitcnt lgkmcnt(0)
	ds_write_b32 v0, v1
	s_trap 2
	buffer_load_dword v1, off, s[0:3], s33 offset:132 ; 4-byte Folded Reload
	s_waitcnt vmcnt(0)
	v_or_b32_e32 v1, 64, v1
	buffer_store_dword v1, off, s[0:3], s33 offset:132 ; 4-byte Folded Spill
.LBB8_4364:                             ;   in Loop: Header=BB8_4352 Depth=2
	s_or_b64 exec, exec, s[26:27]
.LBB8_4365:                             ;   in Loop: Header=BB8_4352 Depth=2
	s_or_b64 exec, exec, s[78:79]
	;;#ASMSTART
	s_wakeup
	;;#ASMEND
	buffer_load_dword v1, off, s[0:3], s33 offset:132 ; 4-byte Folded Reload
	buffer_load_dword v3, off, s[0:3], s33 offset:160 ; 4-byte Folded Reload
	;; [unrolled: 1-line block ×3, first 2 shown]
	s_mov_b64 s[26:27], -1
	s_waitcnt vmcnt(0)
	v_and_b32_e32 v1, 0x100, v1
	v_cmp_ne_u32_e32 vcc, 0, v1
	v_and_b32_e32 v1, 7, v3
                                        ; implicit-def: $vgpr3_vgpr4
	s_and_saveexec_b64 s[78:79], vcc
	s_cbranch_execz .LBB8_4369
; %bb.4366:                             ;   in Loop: Header=BB8_4352 Depth=2
	buffer_load_dword v8, off, s[0:3], s33 offset:216 ; 4-byte Folded Reload
	buffer_load_dword v9, off, s[0:3], s33 offset:220 ; 4-byte Folded Reload
	buffer_load_dword v10, off, s[0:3], s33 offset:224 ; 4-byte Folded Reload
	buffer_load_dword v11, off, s[0:3], s33 offset:228 ; 4-byte Folded Reload
	s_waitcnt vmcnt(0)
	v_mad_u64_u32 v[8:9], s[26:27], v1, 24, v[8:9]
	flat_load_dword v3, v[8:9]
	s_waitcnt vmcnt(0) lgkmcnt(0)
	v_cmp_ne_u32_e32 vcc, 1, v3
	v_cmp_eq_u32_e64 s[26:27], 1, v3
                                        ; implicit-def: $vgpr3_vgpr4
	s_and_saveexec_b64 s[88:89], s[26:27]
	s_cbranch_execz .LBB8_4368
; %bb.4367:                             ;   in Loop: Header=BB8_4352 Depth=2
	flat_load_dword v3, v[8:9] offset:4 glc
	s_waitcnt vmcnt(0) lgkmcnt(0)
	v_ashrrev_i32_e32 v4, 31, v3
	v_lshrrev_b64 v[3:4], 1, v[3:4]
.LBB8_4368:                             ;   in Loop: Header=BB8_4352 Depth=2
	s_or_b64 exec, exec, s[88:89]
	s_orn2_b64 s[26:27], vcc, exec
.LBB8_4369:                             ;   in Loop: Header=BB8_4352 Depth=2
	s_or_b64 exec, exec, s[78:79]
	s_and_saveexec_b64 s[78:79], s[26:27]
	s_cbranch_execz .LBB8_4371
; %bb.4370:                             ;   in Loop: Header=BB8_4352 Depth=2
	buffer_load_dword v3, off, s[0:3], s33 offset:256 ; 4-byte Folded Reload
	s_waitcnt vmcnt(0)
	v_mad_i64_i32 v[3:4], s[26:27], v1, v3, 0
.LBB8_4371:                             ;   in Loop: Header=BB8_4352 Depth=2
	s_or_b64 exec, exec, s[78:79]
	buffer_load_dword v8, off, s[0:3], s33 offset:208 ; 4-byte Folded Reload
	buffer_load_dword v9, off, s[0:3], s33 offset:212 ; 4-byte Folded Reload
	;; [unrolled: 1-line block ×3, first 2 shown]
	v_lshlrev_b64 v[3:4], 1, v[3:4]
	s_waitcnt vmcnt(0)
	v_add_co_u32_e32 v3, vcc, v8, v3
	v_addc_co_u32_e32 v4, vcc, v9, v4, vcc
	v_and_b32_e32 v1, 0x2000, v1
	v_cmp_ne_u32_e32 vcc, 0, v1
	ds_write_b64 v0, v[3:4] offset:720
	s_and_saveexec_b64 s[26:27], vcc
	s_cbranch_execz .LBB8_4373
; %bb.4372:                             ;   in Loop: Header=BB8_4352 Depth=2
	ds_read_b64 v[3:4], v0 offset:872
	s_waitcnt lgkmcnt(0)
	v_add_co_u32_e32 v3, vcc, 1, v3
	v_addc_co_u32_e32 v4, vcc, 0, v4, vcc
	ds_write_b64 v0, v[3:4] offset:872
.LBB8_4373:                             ;   in Loop: Header=BB8_4352 Depth=2
	s_or_b64 exec, exec, s[26:27]
	buffer_store_dword v6, off, s[0:3], s33 offset:160 ; 4-byte Folded Spill
	s_nop 0
	buffer_store_dword v7, off, s[0:3], s33 offset:164 ; 4-byte Folded Spill
.LBB8_4374:                             ;   in Loop: Header=BB8_4352 Depth=2
	s_or_b64 exec, exec, s[76:77]
	s_xor_b64 s[26:27], s[42:43], -1
	s_and_b64 s[26:27], exec, s[26:27]
	s_or_b64 s[40:41], s[26:27], s[40:41]
	s_and_saveexec_b64 s[26:27], s[10:11]
	s_cbranch_execz .LBB8_4393
; %bb.4375:                             ;   in Loop: Header=BB8_4352 Depth=2
	s_and_saveexec_b64 s[42:43], s[56:57]
	s_xor_b64 s[42:43], exec, s[42:43]
	s_cbranch_execz .LBB8_4390
; %bb.4376:                             ;   in Loop: Header=BB8_4352 Depth=2
	s_and_saveexec_b64 s[76:77], s[16:17]
	s_cbranch_execz .LBB8_4389
; %bb.4377:                             ;   in Loop: Header=BB8_4352 Depth=2
	s_mov_b64 s[88:89], exec
	v_mbcnt_lo_u32_b32 v1, s88, 0
	v_mbcnt_hi_u32_b32 v1, s89, v1
	v_cmp_eq_u32_e32 vcc, 0, v1
	s_waitcnt vmcnt(0) lgkmcnt(0)
	buffer_wbinvl1_vol
	s_and_saveexec_b64 s[78:79], vcc
	s_cbranch_execz .LBB8_4379
; %bb.4378:                             ;   in Loop: Header=BB8_4352 Depth=2
	s_bcnt1_i32_b64 s44, s[88:89]
	v_mov_b32_e32 v3, s44
	v_mov_b32_e32 v4, v2
	ds_add_u64 v0, v[3:4]
	s_trap 2
.LBB8_4379:                             ;   in Loop: Header=BB8_4352 Depth=2
	s_or_b64 exec, exec, s[78:79]
	s_trap 2
	ds_read_b64 v[3:4], v0
	s_waitcnt lgkmcnt(0)
	buffer_load_dword v1, off, s[0:3], s33 offset:128 ; 4-byte Folded Reload
	buffer_load_dword v6, off, s[0:3], s33 offset:144 ; 4-byte Folded Reload
	;; [unrolled: 1-line block ×3, first 2 shown]
	s_waitcnt vmcnt(1)
	v_add_co_u32_e32 v6, vcc, v6, v1
	s_waitcnt vmcnt(0)
	v_addc_co_u32_e32 v7, vcc, 0, v7, vcc
	buffer_store_dword v6, off, s[0:3], s33 offset:144 ; 4-byte Folded Spill
	s_nop 0
	buffer_store_dword v7, off, s[0:3], s33 offset:148 ; 4-byte Folded Spill
	v_cmp_lt_u64_e32 vcc, v[3:4], v[6:7]
	s_and_saveexec_b64 s[78:79], vcc
	s_cbranch_execz .LBB8_4388
; %bb.4380:                             ;   in Loop: Header=BB8_4352 Depth=2
	s_mov_b32 s44, 0
	s_mov_b64 s[88:89], 0
                                        ; implicit-def: $sgpr90_sgpr91
                                        ; implicit-def: $sgpr92_sgpr93
	s_branch .LBB8_4382
.LBB8_4381:                             ;   in Loop: Header=BB8_4382 Depth=3
	s_or_b64 exec, exec, s[30:31]
	s_and_b64 s[94:95], exec, vcc
	s_or_b64 s[88:89], s[94:95], s[88:89]
	s_andn2_b64 s[90:91], s[90:91], exec
	s_and_b64 s[94:95], s[92:93], exec
	s_or_b64 s[90:91], s[90:91], s[94:95]
	s_andn2_b64 exec, exec, s[88:89]
	s_cbranch_execz .LBB8_4386
.LBB8_4382:                             ;   Parent Loop BB8_47 Depth=1
                                        ;     Parent Loop BB8_4352 Depth=2
                                        ; =>    This Inner Loop Header: Depth=3
	s_add_i32 s44, s44, 1
	s_cmpk_lg_i32 s44, 0x2710
	s_cselect_b64 s[94:95], -1, 0
	s_and_b64 vcc, exec, s[94:95]
	s_cbranch_vccz .LBB8_4384
; %bb.4383:                             ;   in Loop: Header=BB8_4382 Depth=3
	s_mov_b64 vcc, -1
	s_or_b64 s[92:93], s[92:93], exec
	s_and_saveexec_b64 s[30:31], s[94:95]
	s_cbranch_execz .LBB8_4381
	s_branch .LBB8_4385
.LBB8_4384:                             ;   in Loop: Header=BB8_4382 Depth=3
	s_trap 2
	ds_read_b64 v[3:4], v0
	s_andn2_b64 s[94:95], s[94:95], exec
	s_mov_b32 s44, 0
	s_waitcnt vmcnt(0) lgkmcnt(0)
	flat_load_dword v1, v[3:4] glc
	s_waitcnt vmcnt(0) lgkmcnt(0)
	buffer_wbinvl1_vol
	v_cmp_eq_u32_e32 vcc, 0, v1
	s_and_b64 vcc, vcc, exec
	s_or_b64 s[94:95], s[94:95], vcc
	s_mov_b64 vcc, -1
	s_or_b64 s[92:93], s[92:93], exec
	s_and_saveexec_b64 s[30:31], s[94:95]
	s_cbranch_execz .LBB8_4381
.LBB8_4385:                             ;   in Loop: Header=BB8_4382 Depth=3
	s_sleep 1
	s_trap 2
	ds_read_b64 v[3:4], v0
	s_waitcnt lgkmcnt(0)
	buffer_load_dword v6, off, s[0:3], s33 offset:144 ; 4-byte Folded Reload
	buffer_load_dword v7, off, s[0:3], s33 offset:148 ; 4-byte Folded Reload
	s_andn2_b64 s[92:93], s[92:93], exec
	s_waitcnt vmcnt(0)
	v_cmp_ge_u64_e32 vcc, v[3:4], v[6:7]
	s_orn2_b64 vcc, vcc, exec
	s_branch .LBB8_4381
.LBB8_4386:                             ;   in Loop: Header=BB8_4352 Depth=2
	s_or_b64 exec, exec, s[88:89]
	s_and_saveexec_b64 s[44:45], s[90:91]
	s_xor_b64 s[44:45], exec, s[44:45]
	s_cbranch_execz .LBB8_4388
; %bb.4387:                             ;   in Loop: Header=BB8_4352 Depth=2
	v_mov_b32_e32 v1, 1
	ds_write_b32 v0, v1
	s_trap 2
.LBB8_4388:                             ;   in Loop: Header=BB8_4352 Depth=2
	s_or_b64 exec, exec, s[78:79]
	;;#ASMSTART
	s_wakeup
	;;#ASMEND
.LBB8_4389:                             ;   in Loop: Header=BB8_4352 Depth=2
	s_or_b64 exec, exec, s[76:77]
.LBB8_4390:                             ;   in Loop: Header=BB8_4352 Depth=2
	s_andn2_saveexec_b64 s[42:43], s[42:43]
	s_cbranch_execz .LBB8_4392
; %bb.4391:                             ;   in Loop: Header=BB8_4352 Depth=2
	s_waitcnt vmcnt(0) lgkmcnt(0)
	buffer_wbinvl1_vol
	s_barrier
.LBB8_4392:                             ;   in Loop: Header=BB8_4352 Depth=2
	s_or_b64 exec, exec, s[42:43]
.LBB8_4393:                             ;   in Loop: Header=BB8_4352 Depth=2
	s_or_b64 exec, exec, s[26:27]
	v_sub_u32_e32 v1, v52, v0
	v_min_i32_e32 v5, v5, v1
	s_and_saveexec_b64 s[26:27], s[24:25]
	s_xor_b64 s[26:27], exec, s[26:27]
	s_cbranch_execz .LBB8_4397
; %bb.4394:                             ;   in Loop: Header=BB8_4352 Depth=2
	s_trap 2
	ds_read_b32 v1, v0
	v_cmp_lt_i32_e32 vcc, 0, v5
	s_waitcnt lgkmcnt(0)
	v_readfirstlane_b32 s42, v1
	buffer_load_dword v1, off, s[0:3], s33 offset:132 ; 4-byte Folded Reload
	s_cmp_eq_u32 s42, 0
	s_cselect_b64 s[42:43], -1, 0
	s_and_b64 s[42:43], vcc, s[42:43]
	s_waitcnt vmcnt(0)
	v_and_b32_e32 v1, 16, v1
	v_cmp_ne_u32_e32 vcc, 0, v1
	s_and_b64 s[44:45], vcc, s[42:43]
	s_and_saveexec_b64 s[42:43], s[44:45]
	s_cbranch_execz .LBB8_4396
; %bb.4395:                             ;   in Loop: Header=BB8_4352 Depth=2
	buffer_wbinvl1_vol
.LBB8_4396:                             ;   in Loop: Header=BB8_4352 Depth=2
	s_or_b64 exec, exec, s[42:43]
.LBB8_4397:                             ;   in Loop: Header=BB8_4352 Depth=2
	s_andn2_saveexec_b64 s[26:27], s[26:27]
	s_cbranch_execz .LBB8_4416
; %bb.4398:                             ;   in Loop: Header=BB8_4352 Depth=2
	s_and_saveexec_b64 s[42:43], s[56:57]
	s_xor_b64 s[42:43], exec, s[42:43]
	s_cbranch_execz .LBB8_4413
; %bb.4399:                             ;   in Loop: Header=BB8_4352 Depth=2
	s_and_saveexec_b64 s[76:77], s[16:17]
	s_cbranch_execz .LBB8_4412
; %bb.4400:                             ;   in Loop: Header=BB8_4352 Depth=2
	s_mov_b64 s[88:89], exec
	v_mbcnt_lo_u32_b32 v1, s88, 0
	v_mbcnt_hi_u32_b32 v1, s89, v1
	v_cmp_eq_u32_e32 vcc, 0, v1
	;;#ASMSTART
	s_waitcnt lgkmcnt(0) vmcnt(0)
	;;#ASMEND
	s_and_saveexec_b64 s[78:79], vcc
	s_cbranch_execz .LBB8_4402
; %bb.4401:                             ;   in Loop: Header=BB8_4352 Depth=2
	s_bcnt1_i32_b64 s44, s[88:89]
	v_mov_b32_e32 v3, s44
	v_mov_b32_e32 v4, v2
	s_waitcnt lgkmcnt(0)
	ds_add_u64 v0, v[3:4]
	s_trap 2
.LBB8_4402:                             ;   in Loop: Header=BB8_4352 Depth=2
	s_or_b64 exec, exec, s[78:79]
	s_trap 2
	ds_read_b64 v[3:4], v0
	s_waitcnt lgkmcnt(0)
	buffer_load_dword v1, off, s[0:3], s33 offset:128 ; 4-byte Folded Reload
	buffer_load_dword v6, off, s[0:3], s33 offset:144 ; 4-byte Folded Reload
	;; [unrolled: 1-line block ×3, first 2 shown]
	s_waitcnt vmcnt(1)
	v_add_co_u32_e32 v6, vcc, v6, v1
	s_waitcnt vmcnt(0)
	v_addc_co_u32_e32 v7, vcc, 0, v7, vcc
	buffer_store_dword v6, off, s[0:3], s33 offset:144 ; 4-byte Folded Spill
	s_nop 0
	buffer_store_dword v7, off, s[0:3], s33 offset:148 ; 4-byte Folded Spill
	v_cmp_lt_u64_e32 vcc, v[3:4], v[6:7]
	s_and_saveexec_b64 s[78:79], vcc
	s_cbranch_execz .LBB8_4411
; %bb.4403:                             ;   in Loop: Header=BB8_4352 Depth=2
	s_mov_b32 s44, 0
	s_mov_b64 s[88:89], 0
                                        ; implicit-def: $sgpr90_sgpr91
                                        ; implicit-def: $sgpr92_sgpr93
	s_branch .LBB8_4405
.LBB8_4404:                             ;   in Loop: Header=BB8_4405 Depth=3
	s_or_b64 exec, exec, s[30:31]
	s_and_b64 s[94:95], exec, vcc
	s_or_b64 s[88:89], s[94:95], s[88:89]
	s_andn2_b64 s[90:91], s[90:91], exec
	s_and_b64 s[94:95], s[92:93], exec
	s_or_b64 s[90:91], s[90:91], s[94:95]
	s_andn2_b64 exec, exec, s[88:89]
	s_cbranch_execz .LBB8_4409
.LBB8_4405:                             ;   Parent Loop BB8_47 Depth=1
                                        ;     Parent Loop BB8_4352 Depth=2
                                        ; =>    This Inner Loop Header: Depth=3
	s_add_i32 s44, s44, 1
	s_cmpk_lg_i32 s44, 0x2710
	s_cselect_b64 s[94:95], -1, 0
	s_and_b64 vcc, exec, s[94:95]
	s_cbranch_vccz .LBB8_4407
; %bb.4406:                             ;   in Loop: Header=BB8_4405 Depth=3
	s_mov_b64 vcc, -1
	s_or_b64 s[92:93], s[92:93], exec
	s_and_saveexec_b64 s[30:31], s[94:95]
	s_cbranch_execz .LBB8_4404
	s_branch .LBB8_4408
.LBB8_4407:                             ;   in Loop: Header=BB8_4405 Depth=3
	s_trap 2
	ds_read_b64 v[3:4], v0
	s_andn2_b64 s[94:95], s[94:95], exec
	s_mov_b32 s44, 0
	s_waitcnt vmcnt(0) lgkmcnt(0)
	flat_load_dword v1, v[3:4] glc
	s_waitcnt vmcnt(0) lgkmcnt(0)
	buffer_wbinvl1_vol
	v_cmp_eq_u32_e32 vcc, 0, v1
	s_and_b64 vcc, vcc, exec
	s_or_b64 s[94:95], s[94:95], vcc
	s_mov_b64 vcc, -1
	s_or_b64 s[92:93], s[92:93], exec
	s_and_saveexec_b64 s[30:31], s[94:95]
	s_cbranch_execz .LBB8_4404
.LBB8_4408:                             ;   in Loop: Header=BB8_4405 Depth=3
	s_sleep 1
	s_trap 2
	ds_read_b64 v[3:4], v0
	s_waitcnt lgkmcnt(0)
	buffer_load_dword v6, off, s[0:3], s33 offset:144 ; 4-byte Folded Reload
	buffer_load_dword v7, off, s[0:3], s33 offset:148 ; 4-byte Folded Reload
	s_andn2_b64 s[92:93], s[92:93], exec
	s_waitcnt vmcnt(0)
	v_cmp_ge_u64_e32 vcc, v[3:4], v[6:7]
	s_orn2_b64 vcc, vcc, exec
	s_branch .LBB8_4404
.LBB8_4409:                             ;   in Loop: Header=BB8_4352 Depth=2
	s_or_b64 exec, exec, s[88:89]
	s_and_saveexec_b64 s[44:45], s[90:91]
	s_xor_b64 s[44:45], exec, s[44:45]
	s_cbranch_execz .LBB8_4411
; %bb.4410:                             ;   in Loop: Header=BB8_4352 Depth=2
	v_mov_b32_e32 v1, 1
	ds_write_b32 v0, v1
	s_trap 2
.LBB8_4411:                             ;   in Loop: Header=BB8_4352 Depth=2
	s_or_b64 exec, exec, s[78:79]
	;;#ASMSTART
	s_wakeup
	;;#ASMEND
.LBB8_4412:                             ;   in Loop: Header=BB8_4352 Depth=2
	s_or_b64 exec, exec, s[76:77]
.LBB8_4413:                             ;   in Loop: Header=BB8_4352 Depth=2
	s_andn2_saveexec_b64 s[42:43], s[42:43]
	s_cbranch_execz .LBB8_4415
; %bb.4414:                             ;   in Loop: Header=BB8_4352 Depth=2
	;;#ASMSTART
	s_waitcnt lgkmcnt(0) vmcnt(0)
	;;#ASMEND
	s_waitcnt vmcnt(0) lgkmcnt(0)
	s_barrier
.LBB8_4415:                             ;   in Loop: Header=BB8_4352 Depth=2
	s_or_b64 exec, exec, s[42:43]
.LBB8_4416:                             ;   in Loop: Header=BB8_4352 Depth=2
	s_or_b64 exec, exec, s[26:27]
	buffer_load_dword v1, off, s[0:3], s33 offset:132 ; 4-byte Folded Reload
	s_waitcnt vmcnt(0)
	v_and_b32_e32 v1, 32, v1
	v_cmp_ne_u32_e32 vcc, 0, v1
	s_and_saveexec_b64 s[26:27], vcc
	s_cbranch_execz .LBB8_4351
; %bb.4417:                             ;   in Loop: Header=BB8_4352 Depth=2
	buffer_load_dword v3, off, s[0:3], s33 offset:160 ; 4-byte Folded Reload
	buffer_load_dword v4, off, s[0:3], s33 offset:164 ; 4-byte Folded Reload
	s_waitcnt vmcnt(0)
	v_add_co_u32_e32 v3, vcc, 2, v3
	v_addc_co_u32_e32 v4, vcc, 0, v4, vcc
	buffer_store_dword v3, off, s[0:3], s33 offset:160 ; 4-byte Folded Spill
	s_nop 0
	buffer_store_dword v4, off, s[0:3], s33 offset:164 ; 4-byte Folded Spill
	flat_store_dwordx2 v[40:41], v[3:4]
	s_branch .LBB8_4351
.LBB8_4418:
	s_or_b64 exec, exec, s[58:59]
	buffer_load_dword v1, off, s[0:3], s33 offset:464 ; 4-byte Folded Reload
	buffer_load_dword v31, off, s[0:3], s33 offset:468 ; 4-byte Folded Reload
	;; [unrolled: 1-line block ×3, first 2 shown]
	v_readlane_b32 s28, v62, 2
	v_readlane_b32 s29, v62, 3
.LBB8_4419:
	v_readlane_b32 s4, v62, 0
	v_readlane_b32 s5, v62, 1
	s_or_b64 exec, exec, s[4:5]
	buffer_load_dword v2, off, s[0:3], s33 offset:132 ; 4-byte Folded Reload
	s_waitcnt vmcnt(0)
	v_and_b32_e32 v0, 0x800, v2
	v_cmp_eq_u32_e32 vcc, 0, v0
	s_and_saveexec_b64 s[6:7], vcc
	s_cbranch_execz .LBB8_4452
; %bb.4420:
	v_and_b32_e32 v0, 48, v2
	v_cmp_ne_u32_e32 vcc, 0, v0
	s_and_saveexec_b64 s[4:5], vcc
	s_cbranch_execz .LBB8_4422
; %bb.4421:
	buffer_load_dword v2, off, s[0:3], s33 offset:456 ; 4-byte Folded Reload
	buffer_load_dword v3, off, s[0:3], s33 offset:460 ; 4-byte Folded Reload
	;; [unrolled: 1-line block ×4, first 2 shown]
	s_waitcnt vmcnt(0)
	flat_store_dwordx2 v[2:3], v[4:5] offset:104
.LBB8_4422:
	s_or_b64 exec, exec, s[4:5]
	buffer_load_dword v7, off, s[0:3], s33 offset:132 ; 4-byte Folded Reload
	s_movk_i32 s4, 0x88
	s_waitcnt vmcnt(0)
	v_and_b32_e32 v0, 0x88, v7
	v_cmp_eq_u32_e32 vcc, s4, v0
	s_and_saveexec_b64 s[10:11], vcc
	s_cbranch_execz .LBB8_4432
; %bb.4423:
	buffer_load_dword v2, off, s[0:3], s33 offset:160 ; 4-byte Folded Reload
	buffer_load_dword v3, off, s[0:3], s33 offset:164 ; 4-byte Folded Reload
	s_mov_b32 s22, 0
	s_waitcnt vmcnt(0)
	v_add_u32_e32 v0, 6, v2
	buffer_load_dword v2, off, s[0:3], s33 offset:216 ; 4-byte Folded Reload
	buffer_load_dword v3, off, s[0:3], s33 offset:220 ; 4-byte Folded Reload
	;; [unrolled: 1-line block ×4, first 2 shown]
	v_and_b32_e32 v0, 7, v0
	s_waitcnt vmcnt(0)
	v_and_b32_e32 v4, 64, v7
	v_mad_u64_u32 v[5:6], s[4:5], v0, 24, v[2:3]
	v_cmp_eq_u32_e64 s[4:5], 0, v4
	flat_load_dwordx2 v[2:3], v[5:6] offset:8 glc
	s_waitcnt vmcnt(0) lgkmcnt(0)
	v_cmp_ne_u64_e32 vcc, -1, v[2:3]
	s_and_b64 s[4:5], vcc, s[4:5]
	s_and_b64 exec, exec, s[4:5]
	s_cbranch_execz .LBB8_4432
; %bb.4424:
	s_mov_b64 s[4:5], 0
                                        ; implicit-def: $sgpr12_sgpr13
                                        ; implicit-def: $sgpr14_sgpr15
	s_branch .LBB8_4427
.LBB8_4425:                             ;   in Loop: Header=BB8_4427 Depth=1
	flat_load_dwordx2 v[3:4], v[5:6] offset:8 glc
	s_waitcnt vmcnt(0)
	s_andn2_b64 s[14:15], s[14:15], exec
	s_waitcnt lgkmcnt(0)
	v_cmp_eq_u64_e32 vcc, -1, v[3:4]
	s_orn2_b64 s[18:19], vcc, exec
.LBB8_4426:                             ;   in Loop: Header=BB8_4427 Depth=1
	s_or_b64 exec, exec, s[20:21]
	s_and_b64 s[16:17], exec, s[18:19]
	s_or_b64 s[4:5], s[16:17], s[4:5]
	s_andn2_b64 s[12:13], s[12:13], exec
	s_and_b64 s[16:17], s[14:15], exec
	s_or_b64 s[12:13], s[12:13], s[16:17]
	s_andn2_b64 exec, exec, s[4:5]
	s_cbranch_execz .LBB8_4430
.LBB8_4427:                             ; =>This Inner Loop Header: Depth=1
	s_cmpk_lt_i32 s22, 0x270f
	s_cselect_b64 s[16:17], -1, 0
	s_and_b64 vcc, exec, s[16:17]
	s_cbranch_vccnz .LBB8_4429
; %bb.4428:                             ;   in Loop: Header=BB8_4427 Depth=1
	s_trap 2
	ds_read_b64 v[2:3], v0
	s_andn2_b64 s[16:17], s[16:17], exec
	s_mov_b32 s22, 0
	s_waitcnt lgkmcnt(0)
	flat_load_dword v2, v[2:3] glc
	s_waitcnt vmcnt(0) lgkmcnt(0)
	buffer_wbinvl1_vol
	v_cmp_eq_u32_e32 vcc, 0, v2
	s_and_b64 s[18:19], vcc, exec
	s_or_b64 s[16:17], s[16:17], s[18:19]
	s_mov_b64 s[18:19], -1
	s_or_b64 s[14:15], s[14:15], exec
	s_and_saveexec_b64 s[20:21], s[16:17]
	s_cbranch_execz .LBB8_4426
	s_branch .LBB8_4425
.LBB8_4429:                             ;   in Loop: Header=BB8_4427 Depth=1
	s_add_i32 s22, s22, 1
                                        ; implicit-def: $vgpr2
	s_mov_b64 s[18:19], -1
	s_or_b64 s[14:15], s[14:15], exec
	s_and_saveexec_b64 s[20:21], s[16:17]
	s_cbranch_execz .LBB8_4426
	s_branch .LBB8_4425
.LBB8_4430:
	s_or_b64 exec, exec, s[4:5]
	s_mov_b64 s[4:5], exec
	buffer_load_dword v7, off, s[0:3], s33 offset:132 ; 4-byte Folded Reload
	s_and_b64 s[12:13], s[4:5], s[12:13]
	s_xor_b64 s[4:5], s[12:13], s[4:5]
	s_mov_b64 exec, s[12:13]
	s_cbranch_execz .LBB8_4432
; %bb.4431:
	ds_write_b32 v0, v2
	s_trap 2
.LBB8_4432:
	s_or_b64 exec, exec, s[10:11]
	s_waitcnt vmcnt(0)
	v_and_b32_e32 v0, 0x2000, v7
	v_cmp_ne_u32_e32 vcc, 0, v0
	s_and_saveexec_b64 s[4:5], vcc
	s_cbranch_execz .LBB8_4434
; %bb.4433:
	s_trap 2
	ds_read_b64 v[2:3], v0
	buffer_load_dword v4, off, s[0:3], s33 offset:476 ; 4-byte Folded Reload
	buffer_load_dword v5, off, s[0:3], s33 offset:480 ; 4-byte Folded Reload
	s_waitcnt vmcnt(0) lgkmcnt(0)
	flat_store_dwordx2 v[4:5], v[2:3] offset:16
.LBB8_4434:
	s_or_b64 exec, exec, s[4:5]
	v_cmp_ne_u32_e32 vcc, 64, v1
	s_and_b64 exec, exec, vcc
	s_cbranch_execz .LBB8_4452
; %bb.4435:
	v_cmp_ne_u32_sdwa s[4:5], v1, v20 src0_sel:DWORD src1_sel:WORD_0
	s_and_saveexec_b64 s[10:11], s[4:5]
	s_xor_b64 s[4:5], exec, s[10:11]
	s_cbranch_execz .LBB8_4450
; %bb.4436:
	v_and_b32_e32 v0, 63, v31
	v_cmp_eq_u32_e32 vcc, 0, v0
	s_and_saveexec_b64 s[10:11], vcc
	s_cbranch_execz .LBB8_4449
; %bb.4437:
	s_mov_b64 s[14:15], exec
	v_mbcnt_lo_u32_b32 v0, s14, 0
	v_mbcnt_hi_u32_b32 v0, s15, v0
	v_cmp_eq_u32_e32 vcc, 0, v0
	s_waitcnt vmcnt(0) lgkmcnt(0)
	buffer_wbinvl1_vol
	s_and_saveexec_b64 s[12:13], vcc
	s_cbranch_execz .LBB8_4439
; %bb.4438:
	s_bcnt1_i32_b64 s14, s[14:15]
	v_mov_b32_e32 v2, s14
	v_mov_b32_e32 v3, 0
	ds_add_u64 v0, v[2:3]
	s_trap 2
.LBB8_4439:
	s_or_b64 exec, exec, s[12:13]
	v_lshrrev_b32_e32 v0, 6, v1
	s_trap 2
	ds_read_b64 v[2:3], v0
	s_waitcnt lgkmcnt(0)
	buffer_load_dword v4, off, s[0:3], s33 offset:144 ; 4-byte Folded Reload
	buffer_load_dword v5, off, s[0:3], s33 offset:148 ; 4-byte Folded Reload
	s_waitcnt vmcnt(1)
	v_add_co_u32_e32 v0, vcc, v4, v0
	s_waitcnt vmcnt(0)
	v_addc_co_u32_e32 v1, vcc, 0, v5, vcc
	v_cmp_lt_u64_e32 vcc, v[2:3], v[0:1]
	s_and_saveexec_b64 s[12:13], vcc
	s_cbranch_execz .LBB8_4448
; %bb.4440:
	s_mov_b32 s26, 0
	s_mov_b64 s[14:15], 0
                                        ; implicit-def: $sgpr16_sgpr17
                                        ; implicit-def: $sgpr18_sgpr19
	s_branch .LBB8_4442
.LBB8_4441:                             ;   in Loop: Header=BB8_4442 Depth=1
	s_or_b64 exec, exec, s[22:23]
	s_and_b64 s[20:21], exec, s[24:25]
	s_or_b64 s[14:15], s[20:21], s[14:15]
	s_andn2_b64 s[16:17], s[16:17], exec
	s_and_b64 s[20:21], s[18:19], exec
	s_or_b64 s[16:17], s[16:17], s[20:21]
	s_andn2_b64 exec, exec, s[14:15]
	s_cbranch_execz .LBB8_4446
.LBB8_4442:                             ; =>This Inner Loop Header: Depth=1
	s_add_i32 s26, s26, 1
	s_cmpk_lg_i32 s26, 0x2710
	s_cselect_b64 s[20:21], -1, 0
	s_and_b64 vcc, exec, s[20:21]
	s_cbranch_vccz .LBB8_4444
; %bb.4443:                             ;   in Loop: Header=BB8_4442 Depth=1
	s_mov_b64 s[24:25], -1
	s_or_b64 s[18:19], s[18:19], exec
	s_and_saveexec_b64 s[22:23], s[20:21]
	s_cbranch_execz .LBB8_4441
	s_branch .LBB8_4445
.LBB8_4444:                             ;   in Loop: Header=BB8_4442 Depth=1
	s_trap 2
	ds_read_b64 v[2:3], v0
	s_andn2_b64 s[20:21], s[20:21], exec
	s_mov_b32 s26, 0
	s_waitcnt lgkmcnt(0)
	flat_load_dword v2, v[2:3] glc
	s_waitcnt vmcnt(0) lgkmcnt(0)
	buffer_wbinvl1_vol
	v_cmp_eq_u32_e32 vcc, 0, v2
	s_and_b64 s[22:23], vcc, exec
	s_or_b64 s[20:21], s[20:21], s[22:23]
	s_mov_b64 s[24:25], -1
	s_or_b64 s[18:19], s[18:19], exec
	s_and_saveexec_b64 s[22:23], s[20:21]
	s_cbranch_execz .LBB8_4441
.LBB8_4445:                             ;   in Loop: Header=BB8_4442 Depth=1
	s_sleep 1
	s_trap 2
	ds_read_b64 v[2:3], v0
	s_waitcnt lgkmcnt(0)
	s_andn2_b64 s[18:19], s[18:19], exec
	v_cmp_ge_u64_e32 vcc, v[2:3], v[0:1]
	s_orn2_b64 s[24:25], vcc, exec
	s_branch .LBB8_4441
.LBB8_4446:
	s_or_b64 exec, exec, s[14:15]
	s_and_saveexec_b64 s[14:15], s[16:17]
	s_xor_b64 s[14:15], exec, s[14:15]
	s_cbranch_execz .LBB8_4448
; %bb.4447:
	v_mov_b32_e32 v0, 1
	ds_write_b32 v0, v0
	s_trap 2
.LBB8_4448:
	s_or_b64 exec, exec, s[12:13]
	;;#ASMSTART
	s_wakeup
	;;#ASMEND
.LBB8_4449:
	s_or_b64 exec, exec, s[10:11]
.LBB8_4450:
	s_andn2_saveexec_b64 s[4:5], s[4:5]
	s_cbranch_execz .LBB8_4452
; %bb.4451:
	s_waitcnt vmcnt(0) lgkmcnt(0)
	buffer_wbinvl1_vol
	s_barrier
.LBB8_4452:
	s_or_b64 exec, exec, s[6:7]
.LBB8_4453:
	s_andn2_saveexec_b64 s[26:27], s[28:29]
	s_cbranch_execz .LBB8_4455
; %bb.4454:
	s_getpc_b64 s[4:5]
	s_add_u32 s4, s4, __PRETTY_FUNCTION__._ZN10PrimitivesI12hip_bfloat1613FuncPreMulSumIS0_E12FanSymmetricILi1EELi0E11ProtoSimpleILi2ELi2ELi0ELi2ELi0ELi0EELi0ELb0ELi0ELi1ELi0EEC2EiiPKiS9_PKvPvmhhhP15ncclDevWorkCollP14ncclDevWorkP2pii@rel32@lo+4
	s_addc_u32 s5, s5, __PRETTY_FUNCTION__._ZN10PrimitivesI12hip_bfloat1613FuncPreMulSumIS0_E12FanSymmetricILi1EELi0E11ProtoSimpleILi2ELi2ELi0ELi2ELi0ELi0EELi0ELb0ELi0ELi1ELi0EEC2EiiPKiS9_PKvPvmhhhP15ncclDevWorkCollP14ncclDevWorkP2pii@rel32@hi+12
	s_getpc_b64 s[6:7]
	s_add_u32 s6, s6, __assert_fail@rel32@lo+4
	s_addc_u32 s7, s7, __assert_fail@rel32@hi+12
	v_mov_b32_e32 v0, s4
	v_mov_b32_e32 v1, s5
	s_swappc_b64 s[30:31], s[6:7]
	; divergent unreachable
.LBB8_4455:
	s_or_b64 exec, exec, s[26:27]
	buffer_load_dword v61, off, s[0:3], s33 ; 4-byte Folded Reload
	buffer_load_dword v60, off, s[0:3], s33 offset:4 ; 4-byte Folded Reload
	buffer_load_dword v59, off, s[0:3], s33 offset:8 ; 4-byte Folded Reload
	;; [unrolled: 1-line block ×5, first 2 shown]
	s_waitcnt lgkmcnt(0)
	buffer_load_dword v47, off, s[0:3], s33 offset:24 ; 4-byte Folded Reload
	buffer_load_dword v46, off, s[0:3], s33 offset:28 ; 4-byte Folded Reload
	;; [unrolled: 1-line block ×8, first 2 shown]
	v_readlane_b32 s30, v63, 32
	v_readlane_b32 s31, v63, 33
	;; [unrolled: 1-line block ×34, first 2 shown]
	s_mov_b32 s32, s33
	v_readlane_b32 s4, v63, 34
	s_or_saveexec_b64 s[6:7], -1
	buffer_load_dword v63, off, s[0:3], s33 offset:484 ; 4-byte Folded Reload
	buffer_load_dword v62, off, s[0:3], s33 offset:488 ; 4-byte Folded Reload
	s_mov_b64 exec, s[6:7]
	s_mov_b32 s33, s4
	s_waitcnt vmcnt(0)
	s_setpc_b64 s[30:31]
.Lfunc_end8:
	.size	_ZN12_GLOBAL__N_17runRingI12hip_bfloat1613FuncPreMulSumIS1_E11ProtoSimpleILi2ELi2ELi0ELi2ELi0ELi0EELi0ELi0ELi2ELi1EEEviiP15ncclDevWorkColl, .Lfunc_end8-_ZN12_GLOBAL__N_17runRingI12hip_bfloat1613FuncPreMulSumIS1_E11ProtoSimpleILi2ELi2ELi0ELi2ELi0ELi0EELi0ELi0ELi2ELi1EEEviiP15ncclDevWorkColl
                                        ; -- End function
	.set .L_ZN12_GLOBAL__N_17runRingI12hip_bfloat1613FuncPreMulSumIS1_E11ProtoSimpleILi2ELi2ELi0ELi2ELi0ELi0EELi0ELi0ELi2ELi1EEEviiP15ncclDevWorkColl.num_vgpr, max(64, .L__assert_fail.num_vgpr)
	.set .L_ZN12_GLOBAL__N_17runRingI12hip_bfloat1613FuncPreMulSumIS1_E11ProtoSimpleILi2ELi2ELi0ELi2ELi0ELi0EELi0ELi0ELi2ELi1EEEviiP15ncclDevWorkColl.num_agpr, max(0, .L__assert_fail.num_agpr)
	.set .L_ZN12_GLOBAL__N_17runRingI12hip_bfloat1613FuncPreMulSumIS1_E11ProtoSimpleILi2ELi2ELi0ELi2ELi0ELi0EELi0ELi0ELi2ELi1EEEviiP15ncclDevWorkColl.numbered_sgpr, max(98, .L__assert_fail.numbered_sgpr)
	.set .L_ZN12_GLOBAL__N_17runRingI12hip_bfloat1613FuncPreMulSumIS1_E11ProtoSimpleILi2ELi2ELi0ELi2ELi0ELi0EELi0ELi0ELi2ELi1EEEviiP15ncclDevWorkColl.num_named_barrier, max(0, .L__assert_fail.num_named_barrier)
	.set .L_ZN12_GLOBAL__N_17runRingI12hip_bfloat1613FuncPreMulSumIS1_E11ProtoSimpleILi2ELi2ELi0ELi2ELi0ELi0EELi0ELi0ELi2ELi1EEEviiP15ncclDevWorkColl.private_seg_size, 496+max(.L__assert_fail.private_seg_size)
	.set .L_ZN12_GLOBAL__N_17runRingI12hip_bfloat1613FuncPreMulSumIS1_E11ProtoSimpleILi2ELi2ELi0ELi2ELi0ELi0EELi0ELi0ELi2ELi1EEEviiP15ncclDevWorkColl.uses_vcc, or(1, .L__assert_fail.uses_vcc)
	.set .L_ZN12_GLOBAL__N_17runRingI12hip_bfloat1613FuncPreMulSumIS1_E11ProtoSimpleILi2ELi2ELi0ELi2ELi0ELi0EELi0ELi0ELi2ELi1EEEviiP15ncclDevWorkColl.uses_flat_scratch, or(0, .L__assert_fail.uses_flat_scratch)
	.set .L_ZN12_GLOBAL__N_17runRingI12hip_bfloat1613FuncPreMulSumIS1_E11ProtoSimpleILi2ELi2ELi0ELi2ELi0ELi0EELi0ELi0ELi2ELi1EEEviiP15ncclDevWorkColl.has_dyn_sized_stack, or(0, .L__assert_fail.has_dyn_sized_stack)
	.set .L_ZN12_GLOBAL__N_17runRingI12hip_bfloat1613FuncPreMulSumIS1_E11ProtoSimpleILi2ELi2ELi0ELi2ELi0ELi0EELi0ELi0ELi2ELi1EEEviiP15ncclDevWorkColl.has_recursion, or(1, .L__assert_fail.has_recursion)
	.set .L_ZN12_GLOBAL__N_17runRingI12hip_bfloat1613FuncPreMulSumIS1_E11ProtoSimpleILi2ELi2ELi0ELi2ELi0ELi0EELi0ELi0ELi2ELi1EEEviiP15ncclDevWorkColl.has_indirect_call, or(0, .L__assert_fail.has_indirect_call)
	.section	.AMDGPU.csdata,"",@progbits
; Function info:
; codeLenInByte = 122404
; TotalNumSgprs: 102
; NumVgprs: 64
; ScratchSize: 560
; MemoryBound: 1
	.text
	.p2align	2                               ; -- Begin function _Z54ncclDevFunc_AllReduce_RING_SIMPLE_PreMulSum_bf16_0_1_2v
	.type	_Z54ncclDevFunc_AllReduce_RING_SIMPLE_PreMulSum_bf16_0_1_2v,@function
_Z54ncclDevFunc_AllReduce_RING_SIMPLE_PreMulSum_bf16_0_1_2v: ; @_Z54ncclDevFunc_AllReduce_RING_SIMPLE_PreMulSum_bf16_0_1_2v
; %bb.0:
	s_waitcnt vmcnt(0) expcnt(0) lgkmcnt(0)
	s_mov_b32 s4, s33
	s_mov_b32 s33, s32
	s_or_saveexec_b64 s[6:7], -1
	buffer_store_dword v43, off, s[0:3], s33 offset:20 ; 4-byte Folded Spill
	buffer_store_dword v44, off, s[0:3], s33 offset:24 ; 4-byte Folded Spill
	s_mov_b64 exec, s[6:7]
	v_writelane_b32 v44, s4, 38
	v_writelane_b32 v44, s100, 36
	;; [unrolled: 1-line block ×3, first 2 shown]
	s_addk_i32 s32, 0x800
	buffer_store_dword v40, off, s[0:3], s33 offset:12 ; 4-byte Folded Spill
	buffer_store_dword v41, off, s[0:3], s33 offset:8 ; 4-byte Folded Spill
	;; [unrolled: 1-line block ×3, first 2 shown]
	buffer_store_dword v62, off, s[0:3], s33 ; 4-byte Folded Spill
	v_writelane_b32 v44, s34, 0
	v_writelane_b32 v44, s35, 1
	;; [unrolled: 1-line block ×36, first 2 shown]
	s_trap 2
	ds_read_b32 v0, v0
	v_mov_b32_e32 v40, v31
                                        ; implicit-def: $vgpr43 : SGPR spill to VGPR lane
	v_and_b32_e32 v41, 0x3ff, v40
	s_mov_b32 s99, s12
	v_writelane_b32 v43, s8, 0
	s_waitcnt lgkmcnt(0)
	v_cmp_lt_i32_e32 vcc, v41, v0
	v_writelane_b32 v43, s9, 1
	s_and_saveexec_b64 s[4:5], vcc
	s_cbranch_execz .LBB9_5
; %bb.1:
	v_readlane_b32 s8, v43, 0
	v_readlane_b32 s9, v43, 1
	s_load_dword s6, s[8:9], 0x0
	v_mov_b32_e32 v1, 0
	s_mov_b32 s10, 0
	v_mov_b32_e32 v4, v41
                                        ; implicit-def: $vgpr3
	s_waitcnt lgkmcnt(0)
	s_cmp_lt_u32 s99, s6
	s_cselect_b32 s6, 12, 18
	s_add_u32 s6, s8, s6
	s_addc_u32 s7, s9, 0
	global_load_ushort v1, v1, s[6:7]
	s_trap 2
	ds_read_b32 v2, v0
	s_mov_b64 s[6:7], 0
	s_waitcnt vmcnt(0) lgkmcnt(0)
	v_mul_lo_u32 v2, v2, v1
	s_branch .LBB9_3
.LBB9_2:                                ;   in Loop: Header=BB9_3 Depth=1
	s_or_b64 exec, exec, s[8:9]
	v_add_u32_e32 v4, v4, v1
	v_cmp_ge_i32_e32 vcc, v4, v0
	s_or_b64 s[6:7], vcc, s[6:7]
	v_add_u32_e32 v3, v3, v2
	s_andn2_b64 exec, exec, s[6:7]
	s_cbranch_execz .LBB9_5
.LBB9_3:                                ; =>This Inner Loop Header: Depth=1
	ds_read_b32 v5, v3
	s_waitcnt lgkmcnt(0)
	v_and_b32_e32 v5, 0x1000000, v5
	v_cmp_ne_u32_e32 vcc, 0, v5
	s_and_saveexec_b64 s[8:9], vcc
	s_cbranch_execz .LBB9_2
; %bb.4:                                ;   in Loop: Header=BB9_3 Depth=1
	ds_read_b64 v[5:6], v3 offset:104
	s_waitcnt lgkmcnt(0)
	flat_load_ushort v5, v[5:6]
	v_mov_b32_e32 v6, s10
	s_waitcnt vmcnt(0) lgkmcnt(0)
	v_and_b32_e32 v5, 0xffff, v5
	ds_write_b64 v3, v[5:6] offset:104
	s_branch .LBB9_2
.LBB9_5:
	s_or_b64 exec, exec, s[4:5]
	s_waitcnt vmcnt(0) lgkmcnt(0)
	s_barrier
	s_trap 2
	ds_read_b32 v0, v0
	s_waitcnt lgkmcnt(0)
	v_cmp_gt_i32_e32 vcc, 1, v0
	s_cbranch_vccnz .LBB9_13
; %bb.6:
	s_mov_b32 s98, 0
	v_mov_b32_e32 v42, 6
	s_branch .LBB9_8
.LBB9_7:                                ;   in Loop: Header=BB9_8 Depth=1
	s_or_b64 exec, exec, s[6:7]
	s_trap 2
	ds_read_b32 v0, v0
	s_add_i32 s98, s98, 1
	s_waitcnt lgkmcnt(0)
	v_cmp_lt_i32_e32 vcc, s98, v0
	s_cbranch_vccz .LBB9_13
.LBB9_8:                                ; =>This Inner Loop Header: Depth=1
	s_trap 2
	ds_read_b32 v0, v0
	s_cmp_eq_u32 s98, 0
	s_cbranch_scc1 .LBB9_11
; %bb.9:                                ;   in Loop: Header=BB9_8 Depth=1
	s_trap 2
	s_waitcnt lgkmcnt(0)
	ds_read_b32 v1, v0
	s_waitcnt lgkmcnt(0)
	v_xor_b32_e32 v1, v1, v0
	v_and_b32_e32 v1, 0xff0000, v1
	v_cmp_eq_u32_e32 vcc, 0, v1
	s_cbranch_vccnz .LBB9_11
; %bb.10:                               ;   in Loop: Header=BB9_8 Depth=1
	s_barrier
	ds_read_b32 v0, v0
.LBB9_11:                               ;   in Loop: Header=BB9_8 Depth=1
	s_waitcnt lgkmcnt(0)
	v_lshlrev_b32_sdwa v1, v42, v0 dst_sel:DWORD dst_unused:UNUSED_PAD src0_sel:DWORD src1_sel:BYTE_2
	v_cmp_lt_u32_e32 vcc, v41, v1
	s_and_saveexec_b64 s[6:7], vcc
	s_cbranch_execz .LBB9_7
; %bb.12:                               ;   in Loop: Header=BB9_8 Depth=1
	v_writelane_b32 v43, s6, 2
	s_mov_b64 s[4:5], src_shared_base
	v_writelane_b32 v43, s7, 3
	s_or_saveexec_b64 s[100:101], -1
	buffer_store_dword v43, off, s[0:3], s33 offset:16 ; 4-byte Folded Spill
	s_mov_b64 exec, s[100:101]
	v_readlane_b32 s8, v43, 0
	s_getpc_b64 s[6:7]
	s_add_u32 s6, s6, _ZN12_GLOBAL__N_17runRingI12hip_bfloat1613FuncPreMulSumIS1_E11ProtoSimpleILi2ELi2ELi0ELi2ELi0ELi0EELi0ELi0ELi2ELi1EEEviiP15ncclDevWorkColl@rel32@lo+4
	s_addc_u32 s7, s7, _ZN12_GLOBAL__N_17runRingI12hip_bfloat1613FuncPreMulSumIS1_E11ProtoSimpleILi2ELi2ELi0ELi2ELi0ELi0EELi0ELi0ELi2ELi1EEEviiP15ncclDevWorkColl@rel32@hi+12
	v_readlane_b32 s9, v43, 1
	s_mov_b32 s12, s99
	v_mov_b32_e32 v31, v40
	v_mov_b32_e32 v0, v41
	;; [unrolled: 1-line block ×3, first 2 shown]
	s_swappc_b64 s[30:31], s[6:7]
	s_or_saveexec_b64 s[100:101], -1
	buffer_load_dword v43, off, s[0:3], s33 offset:16 ; 4-byte Folded Reload
	s_mov_b64 exec, s[100:101]
	s_waitcnt vmcnt(0)
	v_readlane_b32 s6, v43, 2
	v_readlane_b32 s7, v43, 3
	s_branch .LBB9_7
.LBB9_13:
	buffer_load_dword v62, off, s[0:3], s33 ; 4-byte Folded Reload
	buffer_load_dword v42, off, s[0:3], s33 offset:4 ; 4-byte Folded Reload
	buffer_load_dword v41, off, s[0:3], s33 offset:8 ; 4-byte Folded Reload
	;; [unrolled: 1-line block ×3, first 2 shown]
	v_readlane_b32 s30, v44, 34
	v_readlane_b32 s31, v44, 35
	;; [unrolled: 1-line block ×36, first 2 shown]
	s_mov_b32 s32, s33
	v_readlane_b32 s4, v44, 38
	v_readlane_b32 s100, v44, 36
	;; [unrolled: 1-line block ×3, first 2 shown]
	s_or_saveexec_b64 s[6:7], -1
	buffer_load_dword v43, off, s[0:3], s33 offset:20 ; 4-byte Folded Reload
	buffer_load_dword v44, off, s[0:3], s33 offset:24 ; 4-byte Folded Reload
	s_mov_b64 exec, s[6:7]
	s_mov_b32 s33, s4
	s_waitcnt vmcnt(0)
	s_setpc_b64 s[30:31]
.Lfunc_end9:
	.size	_Z54ncclDevFunc_AllReduce_RING_SIMPLE_PreMulSum_bf16_0_1_2v, .Lfunc_end9-_Z54ncclDevFunc_AllReduce_RING_SIMPLE_PreMulSum_bf16_0_1_2v
                                        ; -- End function
	.set .L_Z54ncclDevFunc_AllReduce_RING_SIMPLE_PreMulSum_bf16_0_1_2v.num_vgpr, max(63, .L_ZN12_GLOBAL__N_17runRingI12hip_bfloat1613FuncPreMulSumIS1_E11ProtoSimpleILi2ELi2ELi0ELi2ELi0ELi0EELi0ELi0ELi2ELi1EEEviiP15ncclDevWorkColl.num_vgpr)
	.set .L_Z54ncclDevFunc_AllReduce_RING_SIMPLE_PreMulSum_bf16_0_1_2v.num_agpr, max(0, .L_ZN12_GLOBAL__N_17runRingI12hip_bfloat1613FuncPreMulSumIS1_E11ProtoSimpleILi2ELi2ELi0ELi2ELi0ELi0EELi0ELi0ELi2ELi1EEEviiP15ncclDevWorkColl.num_agpr)
	.set .L_Z54ncclDevFunc_AllReduce_RING_SIMPLE_PreMulSum_bf16_0_1_2v.numbered_sgpr, max(102, .L_ZN12_GLOBAL__N_17runRingI12hip_bfloat1613FuncPreMulSumIS1_E11ProtoSimpleILi2ELi2ELi0ELi2ELi0ELi0EELi0ELi0ELi2ELi1EEEviiP15ncclDevWorkColl.numbered_sgpr)
	.set .L_Z54ncclDevFunc_AllReduce_RING_SIMPLE_PreMulSum_bf16_0_1_2v.num_named_barrier, max(0, .L_ZN12_GLOBAL__N_17runRingI12hip_bfloat1613FuncPreMulSumIS1_E11ProtoSimpleILi2ELi2ELi0ELi2ELi0ELi0EELi0ELi0ELi2ELi1EEEviiP15ncclDevWorkColl.num_named_barrier)
	.set .L_Z54ncclDevFunc_AllReduce_RING_SIMPLE_PreMulSum_bf16_0_1_2v.private_seg_size, 32+max(.L_ZN12_GLOBAL__N_17runRingI12hip_bfloat1613FuncPreMulSumIS1_E11ProtoSimpleILi2ELi2ELi0ELi2ELi0ELi0EELi0ELi0ELi2ELi1EEEviiP15ncclDevWorkColl.private_seg_size)
	.set .L_Z54ncclDevFunc_AllReduce_RING_SIMPLE_PreMulSum_bf16_0_1_2v.uses_vcc, or(1, .L_ZN12_GLOBAL__N_17runRingI12hip_bfloat1613FuncPreMulSumIS1_E11ProtoSimpleILi2ELi2ELi0ELi2ELi0ELi0EELi0ELi0ELi2ELi1EEEviiP15ncclDevWorkColl.uses_vcc)
	.set .L_Z54ncclDevFunc_AllReduce_RING_SIMPLE_PreMulSum_bf16_0_1_2v.uses_flat_scratch, or(0, .L_ZN12_GLOBAL__N_17runRingI12hip_bfloat1613FuncPreMulSumIS1_E11ProtoSimpleILi2ELi2ELi0ELi2ELi0ELi0EELi0ELi0ELi2ELi1EEEviiP15ncclDevWorkColl.uses_flat_scratch)
	.set .L_Z54ncclDevFunc_AllReduce_RING_SIMPLE_PreMulSum_bf16_0_1_2v.has_dyn_sized_stack, or(0, .L_ZN12_GLOBAL__N_17runRingI12hip_bfloat1613FuncPreMulSumIS1_E11ProtoSimpleILi2ELi2ELi0ELi2ELi0ELi0EELi0ELi0ELi2ELi1EEEviiP15ncclDevWorkColl.has_dyn_sized_stack)
	.set .L_Z54ncclDevFunc_AllReduce_RING_SIMPLE_PreMulSum_bf16_0_1_2v.has_recursion, or(1, .L_ZN12_GLOBAL__N_17runRingI12hip_bfloat1613FuncPreMulSumIS1_E11ProtoSimpleILi2ELi2ELi0ELi2ELi0ELi0EELi0ELi0ELi2ELi1EEEviiP15ncclDevWorkColl.has_recursion)
	.set .L_Z54ncclDevFunc_AllReduce_RING_SIMPLE_PreMulSum_bf16_0_1_2v.has_indirect_call, or(0, .L_ZN12_GLOBAL__N_17runRingI12hip_bfloat1613FuncPreMulSumIS1_E11ProtoSimpleILi2ELi2ELi0ELi2ELi0ELi0EELi0ELi0ELi2ELi1EEEviiP15ncclDevWorkColl.has_indirect_call)
	.section	.AMDGPU.csdata,"",@progbits
; Function info:
; codeLenInByte = 1340
; TotalNumSgprs: 106
; NumVgprs: 64
; ScratchSize: 592
; MemoryBound: 0
	.text
	.p2align	2                               ; -- Begin function _ZN12_GLOBAL__N_17runRingI12hip_bfloat1613FuncPreMulSumIS1_E11ProtoSimpleILi2ELi2ELi0ELi4ELi0ELi0EELi0ELi0ELi4ELi0EEEviiP15ncclDevWorkColl
	.type	_ZN12_GLOBAL__N_17runRingI12hip_bfloat1613FuncPreMulSumIS1_E11ProtoSimpleILi2ELi2ELi0ELi4ELi0ELi0EELi0ELi0ELi4ELi0EEEviiP15ncclDevWorkColl,@function
_ZN12_GLOBAL__N_17runRingI12hip_bfloat1613FuncPreMulSumIS1_E11ProtoSimpleILi2ELi2ELi0ELi4ELi0ELi0EELi0ELi0ELi4ELi0EEEviiP15ncclDevWorkColl: ; @_ZN12_GLOBAL__N_17runRingI12hip_bfloat1613FuncPreMulSumIS1_E11ProtoSimpleILi2ELi2ELi0ELi4ELi0ELi0EELi0ELi0ELi4ELi0EEEviiP15ncclDevWorkColl
; %bb.0:
	s_waitcnt vmcnt(0) expcnt(0) lgkmcnt(0)
	s_mov_b32 s4, s33
	s_mov_b32 s33, s32
	s_or_saveexec_b64 s[6:7], -1
	buffer_store_dword v63, off, s[0:3], s33 offset:440 ; 4-byte Folded Spill
	s_mov_b64 exec, s[6:7]
	v_writelane_b32 v63, s4, 32
	s_addk_i32 s32, 0x7000
	buffer_store_dword v40, off, s[0:3], s33 offset:56 ; 4-byte Folded Spill
	buffer_store_dword v41, off, s[0:3], s33 offset:52 ; 4-byte Folded Spill
	;; [unrolled: 1-line block ×14, first 2 shown]
	buffer_store_dword v62, off, s[0:3], s33 ; 4-byte Folded Spill
	v_writelane_b32 v63, s34, 0
	v_writelane_b32 v63, s35, 1
	;; [unrolled: 1-line block ×32, first 2 shown]
	buffer_store_dword v31, off, s[0:3], s33 offset:424 ; 4-byte Folded Spill
	buffer_store_dword v1, off, s[0:3], s33 offset:412 ; 4-byte Folded Spill
	;; [unrolled: 1-line block ×3, first 2 shown]
	s_trap 2
	flat_load_dword v1, v[2:3]
	ds_read_b32 v6, v0
                                        ; implicit-def: $vgpr7_vgpr8
                                        ; kill: killed $vgpr7_vgpr8
                                        ; implicit-def: $vgpr7_vgpr8
                                        ; implicit-def: $vgpr4_vgpr5
	buffer_store_dword v7, off, s[0:3], s33 offset:380 ; 4-byte Folded Spill
	s_nop 0
	buffer_store_dword v8, off, s[0:3], s33 offset:384 ; 4-byte Folded Spill
	buffer_store_dword v9, off, s[0:3], s33 offset:388 ; 4-byte Folded Spill
	;; [unrolled: 1-line block ×3, first 2 shown]
	s_waitcnt lgkmcnt(0)
	v_readfirstlane_b32 s52, v6
	s_waitcnt vmcnt(0)
	v_cmp_ne_u32_sdwa s[4:5], v6, v1 src0_sel:DWORD src1_sel:BYTE_0
	s_and_saveexec_b64 s[6:7], s[4:5]
	s_xor_b64 s[4:5], exec, s[6:7]
	s_cbranch_execz .LBB10_6
; %bb.1:
                                        ; implicit-def: $vgpr7_vgpr8
	v_not_b32_sdwa v0, v1 dst_sel:DWORD dst_unused:UNUSED_PAD src0_sel:BYTE_0
	v_cmp_ne_u32_sdwa s[6:7], v6, v1 src0_sel:DWORD src1_sel:BYTE_1
                                        ; kill: killed $vgpr7_vgpr8
                                        ; implicit-def: $vgpr7_vgpr8
                                        ; implicit-def: $vgpr4_vgpr5
	buffer_store_dword v7, off, s[0:3], s33 offset:380 ; 4-byte Folded Spill
	s_nop 0
	buffer_store_dword v8, off, s[0:3], s33 offset:384 ; 4-byte Folded Spill
	buffer_store_dword v9, off, s[0:3], s33 offset:388 ; 4-byte Folded Spill
	;; [unrolled: 1-line block ×3, first 2 shown]
	s_and_saveexec_b64 s[10:11], s[6:7]
	s_xor_b64 s[6:7], exec, s[10:11]
	s_cbranch_execz .LBB10_3
; %bb.2:
	flat_load_dwordx4 v[7:10], v[2:3] offset:72
	flat_load_dwordx2 v[4:5], v[2:3] offset:96
	v_add_u32_e32 v0, v6, v0
	v_ashrrev_i32_e32 v1, 31, v0
	s_waitcnt vmcnt(0) lgkmcnt(0)
	v_mul_lo_u32 v1, v9, v1
	v_mad_u64_u32 v[6:7], s[10:11], v9, v0, v[7:8]
	v_mul_lo_u32 v0, v10, v0
	v_lshrrev_b64 v[4:5], 13, v[4:5]
	v_add3_u32 v7, v0, v7, v1
	v_mov_b32_e32 v0, v9
	v_mov_b32_e32 v1, v10
	buffer_store_dword v6, off, s[0:3], s33 offset:396 ; 4-byte Folded Spill
	s_nop 0
	buffer_store_dword v7, off, s[0:3], s33 offset:400 ; 4-byte Folded Spill
	buffer_store_dword v0, off, s[0:3], s33 offset:380 ; 4-byte Folded Spill
	s_nop 0
	buffer_store_dword v1, off, s[0:3], s33 offset:384 ; 4-byte Folded Spill
	buffer_store_dword v2, off, s[0:3], s33 offset:388 ; 4-byte Folded Spill
	;; [unrolled: 1-line block ×3, first 2 shown]
                                        ; implicit-def: $vgpr1
                                        ; implicit-def: $vgpr0
.LBB10_3:
	s_andn2_saveexec_b64 s[6:7], s[6:7]
	s_cbranch_execz .LBB10_5
; %bb.4:
	flat_load_dwordx4 v[4:7], v[2:3] offset:72
	flat_load_dwordx4 v[8:11], v[2:3] offset:88
	v_add_u32_sdwa v0, v1, v0 dst_sel:DWORD dst_unused:UNUSED_PAD src0_sel:BYTE_1 src1_sel:DWORD
	v_ashrrev_i32_e32 v1, 31, v0
	s_waitcnt vmcnt(0) lgkmcnt(0)
	v_mul_lo_u32 v1, v6, v1
	v_mad_u64_u32 v[4:5], s[10:11], v6, v0, v[4:5]
	v_mul_lo_u32 v0, v7, v0
	v_add3_u32 v5, v0, v5, v1
	buffer_store_dword v4, off, s[0:3], s33 offset:396 ; 4-byte Folded Spill
	s_nop 0
	buffer_store_dword v5, off, s[0:3], s33 offset:400 ; 4-byte Folded Spill
	v_mov_b32_e32 v0, v8
	v_mov_b32_e32 v1, v9
	v_lshrrev_b32_e32 v4, 2, v11
	buffer_store_dword v0, off, s[0:3], s33 offset:380 ; 4-byte Folded Spill
	s_nop 0
	buffer_store_dword v1, off, s[0:3], s33 offset:384 ; 4-byte Folded Spill
	buffer_store_dword v2, off, s[0:3], s33 offset:388 ; 4-byte Folded Spill
	;; [unrolled: 1-line block ×3, first 2 shown]
.LBB10_5:
	s_or_b64 exec, exec, s[6:7]
.LBB10_6:
	s_andn2_saveexec_b64 s[4:5], s[4:5]
	s_cbranch_execz .LBB10_8
; %bb.7:
	flat_load_dwordx2 v[0:1], v[2:3] offset:96
	flat_load_dwordx2 v[4:5], v[2:3] offset:72
	s_waitcnt vmcnt(0) lgkmcnt(0)
	buffer_store_dword v4, off, s[0:3], s33 offset:380 ; 4-byte Folded Spill
	s_nop 0
	buffer_store_dword v5, off, s[0:3], s33 offset:384 ; 4-byte Folded Spill
	buffer_store_dword v6, off, s[0:3], s33 offset:388 ; 4-byte Folded Spill
	;; [unrolled: 1-line block ×3, first 2 shown]
	v_lshlrev_b64 v[4:5], 8, v[0:1]
	v_mov_b32_e32 v0, 0
	v_mov_b32_e32 v1, 0
	buffer_store_dword v0, off, s[0:3], s33 offset:396 ; 4-byte Folded Spill
	s_nop 0
	buffer_store_dword v1, off, s[0:3], s33 offset:400 ; 4-byte Folded Spill
.LBB10_8:
	s_or_b64 exec, exec, s[4:5]
	s_trap 2
	buffer_load_dword v6, off, s[0:3], s33 offset:412 ; 4-byte Folded Reload
	ds_read_b64 v[0:1], v0
	s_waitcnt lgkmcnt(0)
	v_cmp_ne_u32_e32 vcc, -1, v0
	v_cndmask_b32_e64 v0, 0, 1, vcc
	v_cmp_ne_u32_e32 vcc, -1, v1
	v_addc_co_u32_e64 v1, s[4:5], 0, v0, vcc
	v_lshlrev_b32_e32 v5, 1, v1
	s_waitcnt vmcnt(0)
	v_cmp_le_u32_e64 s[4:5], v5, v6
	s_and_saveexec_b64 s[6:7], s[4:5]
	s_xor_b64 s[44:45], exec, s[6:7]
	s_cbranch_execz .LBB10_2964
; %bb.9:
	flat_load_dwordx4 v[10:13], v[2:3] offset:16
	flat_load_dwordx2 v[14:15], v[2:3] offset:104
	flat_load_ushort v7, v[2:3] offset:8
	flat_load_dword v6, v[2:3] offset:4
	s_trap 2
	s_load_dword s4, s[8:9], 0x0
	v_mov_b32_e32 v5, 0
	s_waitcnt lgkmcnt(0)
	s_cmp_lt_u32 s12, s4
	s_cselect_b32 s4, 12, 18
	s_add_u32 s4, s8, s4
	s_addc_u32 s5, s9, 0
	global_load_ushort v5, v5, s[4:5]
	s_waitcnt vmcnt(0)
	buffer_store_dword v5, off, s[0:3], s33 offset:428 ; 4-byte Folded Spill
	ds_read_b32 v5, v0
	s_waitcnt lgkmcnt(0)
	v_readfirstlane_b32 s24, v5
	buffer_load_dword v5, off, s[0:3], s33 offset:180 ; 4-byte Folded Reload
	s_waitcnt vmcnt(0)
	v_cmp_ge_u32_e64 s[4:5], v5, v0
	v_mov_b32_e32 v5, 4
	s_and_saveexec_b64 s[6:7], s[4:5]
	s_cbranch_execz .LBB10_19
; %bb.10:
	buffer_load_dword v5, off, s[0:3], s33 offset:180 ; 4-byte Folded Reload
	s_waitcnt vmcnt(0)
	v_cmp_ge_u32_e64 s[4:5], v5, v1
                                        ; implicit-def: $vgpr5
	s_and_saveexec_b64 s[10:11], s[4:5]
	s_xor_b64 s[4:5], exec, s[10:11]
	s_cbranch_execz .LBB10_16
; %bb.11:
	buffer_load_dword v8, off, s[0:3], s33 offset:412 ; 4-byte Folded Reload
	v_cndmask_b32_e64 v5, 0, 1, vcc
	s_waitcnt vmcnt(0)
	v_sub_u32_e32 v5, v8, v5
	buffer_load_dword v8, off, s[0:3], s33 offset:180 ; 4-byte Folded Reload
	s_waitcnt vmcnt(0)
	v_cmp_ge_u32_e32 vcc, v8, v5
	s_and_saveexec_b64 s[10:11], vcc
	s_xor_b64 s[10:11], exec, s[10:11]
; %bb.12:
                                        ; implicit-def: $vgpr1
; %bb.13:
	s_or_saveexec_b64 s[10:11], s[10:11]
	v_mov_b32_e32 v5, 16
	s_xor_b64 exec, exec, s[10:11]
	s_cbranch_execz .LBB10_15
; %bb.14:
	buffer_load_dword v5, off, s[0:3], s33 offset:412 ; 4-byte Folded Reload
	s_waitcnt vmcnt(0)
	v_sub_u32_e32 v1, v5, v1
	buffer_load_dword v5, off, s[0:3], s33 offset:180 ; 4-byte Folded Reload
	s_waitcnt vmcnt(0)
	v_cmp_lt_i32_e32 vcc, v5, v1
	v_cndmask_b32_e64 v5, 32, 0, vcc
.LBB10_15:
	s_or_b64 exec, exec, s[10:11]
.LBB10_16:
	s_andn2_saveexec_b64 s[4:5], s[4:5]
; %bb.17:
	v_mov_b32_e32 v5, 8
; %bb.18:
	s_or_b64 exec, exec, s[4:5]
.LBB10_19:
	s_or_b64 exec, exec, s[6:7]
	v_and_b32_e32 v1, 36, v5
	buffer_store_dword v5, off, s[0:3], s33 offset:68 ; 4-byte Folded Spill
	v_cmp_ne_u32_e32 vcc, 0, v1
	v_mov_b32_e32 v5, -1
	s_and_saveexec_b64 s[4:5], vcc
	s_cbranch_execz .LBB10_21
; %bb.20:
	s_trap 2
	ds_read_b32 v5, v0
.LBB10_21:
	s_or_b64 exec, exec, s[4:5]
	buffer_load_dword v1, off, s[0:3], s33 offset:68 ; 4-byte Folded Reload
	s_waitcnt vmcnt(0)
	v_and_b32_e32 v1, 24, v1
	v_cmp_ne_u32_e64 s[4:5], 0, v1
	s_and_saveexec_b64 s[6:7], s[4:5]
	s_cbranch_execz .LBB10_23
; %bb.22:
	s_trap 2
	s_waitcnt lgkmcnt(0)
	ds_read_b32 v5, v0
.LBB10_23:
	s_or_b64 exec, exec, s[6:7]
	v_lshrrev_b64 v[6:7], 31, v[6:7]
	v_mov_b32_e32 v7, 0
	v_mov_b32_e32 v8, 0
	buffer_store_dword v7, off, s[0:3], s33 offset:416 ; 4-byte Folded Spill
	s_nop 0
	buffer_store_dword v8, off, s[0:3], s33 offset:420 ; 4-byte Folded Spill
	v_mov_b32_e32 v7, 0
	v_mov_b32_e32 v8, 0
	buffer_store_dword v7, off, s[0:3], s33 offset:112 ; 4-byte Folded Spill
	s_nop 0
	buffer_store_dword v8, off, s[0:3], s33 offset:116 ; 4-byte Folded Spill
	buffer_store_dword v9, off, s[0:3], s33 offset:120 ; 4-byte Folded Spill
	;; [unrolled: 1-line block ×3, first 2 shown]
	v_and_b32_e32 v1, 3, v6
                                        ; implicit-def: $vgpr6_vgpr7
                                        ; kill: killed $vgpr6_vgpr7
                                        ; implicit-def: $vgpr6
                                        ; kill: killed $vgpr6
                                        ; implicit-def: $vgpr6_vgpr7
                                        ; kill: killed $vgpr6_vgpr7
                                        ; implicit-def: $vgpr6_vgpr7
                                        ; kill: killed $vgpr6_vgpr7
                                        ; implicit-def: $vgpr48_vgpr49
                                        ; implicit-def: $vgpr6_vgpr7
                                        ; kill: killed $vgpr6_vgpr7
	s_and_saveexec_b64 s[4:5], vcc
	s_cbranch_execz .LBB10_33
; %bb.24:
	s_trap 2
	ds_read_b64 v[7:8], v0
	s_waitcnt lgkmcnt(1)
	v_ashrrev_i32_e32 v6, 31, v5
	v_lshlrev_b64 v[16:17], 3, v[5:6]
	s_movk_i32 s6, 0xa8
	s_waitcnt lgkmcnt(0)
	v_add_co_u32_e32 v6, vcc, v7, v16
	v_addc_co_u32_e32 v7, vcc, v8, v17, vcc
	flat_load_dwordx2 v[6:7], v[6:7]
	v_and_b32_e32 v8, 0xffff, v1
	s_waitcnt vmcnt(0) lgkmcnt(0)
	v_mad_u64_u32 v[8:9], s[6:7], v8, s6, v[6:7]
	flat_load_dword v6, v[8:9] offset:640
	s_waitcnt vmcnt(0) lgkmcnt(0)
	v_cmp_eq_u32_e32 vcc, 1, v6
                                        ; implicit-def: $vgpr6_vgpr7
                                        ; kill: killed $vgpr6_vgpr7
	s_and_saveexec_b64 s[6:7], vcc
	s_cbranch_execz .LBB10_26
; %bb.25:
	flat_load_dwordx2 v[16:17], v[8:9] offset:648
	s_waitcnt vmcnt(0) lgkmcnt(0)
	flat_load_dwordx2 v[6:7], v[16:17]
	s_trap 2
	s_waitcnt vmcnt(0) lgkmcnt(0)
	ds_write_b64 v0, v[6:7]
	flat_load_dwordx2 v[6:7], v[16:17] offset:8
	s_waitcnt vmcnt(0) lgkmcnt(0)
	ds_write_b64 v0, v[6:7]
	buffer_store_dword v16, off, s[0:3], s33 offset:432 ; 4-byte Folded Spill
	s_nop 0
	buffer_store_dword v17, off, s[0:3], s33 offset:436 ; 4-byte Folded Spill
	flat_load_dwordx2 v[6:7], v[16:17] offset:16
	s_waitcnt vmcnt(0) lgkmcnt(0)
	ds_write_b64 v0, v[6:7]
	buffer_load_dword v6, off, s[0:3], s33 offset:68 ; 4-byte Folded Reload
	s_waitcnt vmcnt(0)
	v_or_b32_e32 v6, 0x2000, v6
	buffer_store_dword v6, off, s[0:3], s33 offset:68 ; 4-byte Folded Spill
.LBB10_26:
	s_or_b64 exec, exec, s[6:7]
	flat_load_dwordx2 v[6:7], v[8:9] offset:608
	buffer_load_dword v16, off, s[0:3], s33 offset:68 ; 4-byte Folded Reload
	s_waitcnt vmcnt(0) lgkmcnt(0)
	v_add_co_u32_e32 v6, vcc, 3, v6
	v_and_b32_e32 v16, 32, v16
	v_addc_co_u32_e32 v7, vcc, 0, v7, vcc
	v_and_b32_e32 v6, -4, v6
	buffer_store_dword v6, off, s[0:3], s33 offset:80 ; 4-byte Folded Spill
	s_nop 0
	buffer_store_dword v7, off, s[0:3], s33 offset:84 ; 4-byte Folded Spill
	v_cmp_ne_u32_e32 vcc, 0, v16
                                        ; implicit-def: $vgpr6_vgpr7
                                        ; kill: killed $vgpr6_vgpr7
	s_and_saveexec_b64 s[6:7], vcc
	s_cbranch_execz .LBB10_28
; %bb.27:
	flat_load_dwordx2 v[6:7], v[8:9] offset:560
	s_waitcnt vmcnt(0) lgkmcnt(0)
	buffer_store_dword v6, off, s[0:3], s33 offset:60 ; 4-byte Folded Spill
	s_nop 0
	buffer_store_dword v7, off, s[0:3], s33 offset:64 ; 4-byte Folded Spill
	buffer_load_dword v16, off, s[0:3], s33 offset:80 ; 4-byte Folded Reload
	buffer_load_dword v17, off, s[0:3], s33 offset:84 ; 4-byte Folded Reload
	s_waitcnt vmcnt(0)
	flat_store_dwordx2 v[6:7], v[16:17]
.LBB10_28:
	s_or_b64 exec, exec, s[6:7]
	v_add_co_u32_e32 v6, vcc, 0x1f8, v8
	v_addc_co_u32_e32 v7, vcc, 0, v9, vcc
	buffer_store_dword v6, off, s[0:3], s33 offset:416 ; 4-byte Folded Spill
	s_nop 0
	buffer_store_dword v7, off, s[0:3], s33 offset:420 ; 4-byte Folded Spill
	buffer_load_dword v6, off, s[0:3], s33 offset:68 ; 4-byte Folded Reload
	v_mov_b32_e32 v16, 0
	v_mov_b32_e32 v17, 0
	buffer_store_dword v16, off, s[0:3], s33 offset:112 ; 4-byte Folded Spill
	s_nop 0
	buffer_store_dword v17, off, s[0:3], s33 offset:116 ; 4-byte Folded Spill
	buffer_store_dword v18, off, s[0:3], s33 offset:120 ; 4-byte Folded Spill
	buffer_store_dword v19, off, s[0:3], s33 offset:124 ; 4-byte Folded Spill
                                        ; implicit-def: $vgpr48_vgpr49
	s_waitcnt vmcnt(0)
	v_and_b32_e32 v6, 4, v6
	v_cmp_ne_u32_e32 vcc, 0, v6
                                        ; implicit-def: $vgpr6
                                        ; kill: killed $vgpr6
                                        ; implicit-def: $vgpr6_vgpr7
                                        ; kill: killed $vgpr6_vgpr7
	s_and_saveexec_b64 s[6:7], vcc
	s_cbranch_execz .LBB10_32
; %bb.29:
	buffer_load_dword v6, off, s[0:3], s33 offset:68 ; 4-byte Folded Reload
	s_waitcnt vmcnt(0)
	v_and_b32_e32 v6, 0x800, v6
	v_cmp_eq_u32_e32 vcc, 0, v6
	s_and_saveexec_b64 s[10:11], vcc
	s_cbranch_execz .LBB10_31
; %bb.30:
	s_trap 2
	buffer_load_dword v6, off, s[0:3], s33 offset:416 ; 4-byte Folded Reload
	buffer_load_dword v7, off, s[0:3], s33 offset:420 ; 4-byte Folded Reload
	s_waitcnt vmcnt(0)
	ds_write_b64 v0, v[6:7]
.LBB10_31:
	s_or_b64 exec, exec, s[10:11]
	flat_load_dwordx2 v[6:7], v[8:9] offset:552
	s_waitcnt vmcnt(0) lgkmcnt(0)
	buffer_store_dword v6, off, s[0:3], s33 offset:60 ; 4-byte Folded Spill
	s_nop 0
	buffer_store_dword v7, off, s[0:3], s33 offset:64 ; 4-byte Folded Spill
	flat_load_dwordx2 v[48:49], v[6:7] glc
	s_nop 0
	flat_load_dword v6, v[8:9] offset:576
	flat_load_dwordx2 v[18:19], v[8:9] offset:600
	s_nop 0
	flat_load_dwordx2 v[7:8], v[8:9] offset:520
	s_waitcnt vmcnt(0) lgkmcnt(0)
	buffer_store_dword v7, off, s[0:3], s33 offset:104 ; 4-byte Folded Spill
	s_nop 0
	buffer_store_dword v8, off, s[0:3], s33 offset:108 ; 4-byte Folded Spill
	buffer_load_dword v8, off, s[0:3], s33 offset:68 ; 4-byte Folded Reload
	v_mov_b32_e32 v16, v18
	v_ashrrev_i32_e32 v6, 1, v6
	v_mov_b32_e32 v17, v19
	buffer_store_dword v6, off, s[0:3], s33 offset:140 ; 4-byte Folded Spill
	buffer_store_dword v16, off, s[0:3], s33 offset:112 ; 4-byte Folded Spill
	s_nop 0
	buffer_store_dword v17, off, s[0:3], s33 offset:116 ; 4-byte Folded Spill
	buffer_store_dword v18, off, s[0:3], s33 offset:120 ; 4-byte Folded Spill
	buffer_store_dword v19, off, s[0:3], s33 offset:124 ; 4-byte Folded Spill
	s_waitcnt vmcnt(5)
	v_or_b32_e32 v7, 0x100, v8
	v_cmp_eq_u64_e32 vcc, 0, v[18:19]
	v_cndmask_b32_e32 v8, v7, v8, vcc
	buffer_store_dword v8, off, s[0:3], s33 offset:68 ; 4-byte Folded Spill
.LBB10_32:
	s_or_b64 exec, exec, s[6:7]
.LBB10_33:
	s_or_b64 exec, exec, s[4:5]
	buffer_load_dword v6, off, s[0:3], s33 offset:68 ; 4-byte Folded Reload
	s_waitcnt vmcnt(0)
	v_and_b32_e32 v6, 24, v6
	v_cmp_ne_u32_e32 vcc, 0, v6
                                        ; implicit-def: $vgpr6_vgpr7
                                        ; kill: killed $vgpr6_vgpr7
	s_and_saveexec_b64 s[4:5], vcc
	s_cbranch_execz .LBB10_41
; %bb.34:
	s_trap 2
	ds_read_b64 v[7:8], v0
	s_waitcnt lgkmcnt(0)
	v_ashrrev_i32_e32 v6, 31, v5
	v_lshlrev_b64 v[5:6], 3, v[5:6]
	v_and_b32_e32 v1, 0xffff, v1
	s_movk_i32 s6, 0xa8
	v_add_co_u32_e32 v5, vcc, v7, v5
	v_addc_co_u32_e32 v6, vcc, v8, v6, vcc
	flat_load_dwordx2 v[5:6], v[5:6]
	s_waitcnt vmcnt(0) lgkmcnt(0)
	v_mad_u64_u32 v[5:6], s[6:7], v1, s6, v[5:6]
	buffer_store_dword v5, off, s[0:3], s33 offset:416 ; 4-byte Folded Spill
	s_nop 0
	buffer_store_dword v6, off, s[0:3], s33 offset:420 ; 4-byte Folded Spill
	flat_load_dwordx4 v[6:9], v[5:6] offset:96
	s_nop 0
	buffer_load_dword v5, off, s[0:3], s33 offset:68 ; 4-byte Folded Reload
	s_waitcnt vmcnt(0) lgkmcnt(0)
	buffer_store_dword v6, off, s[0:3], s33 offset:112 ; 4-byte Folded Spill
	s_nop 0
	buffer_store_dword v7, off, s[0:3], s33 offset:116 ; 4-byte Folded Spill
	buffer_store_dword v8, off, s[0:3], s33 offset:120 ; 4-byte Folded Spill
	;; [unrolled: 1-line block ×3, first 2 shown]
	v_or_b32_e32 v1, 0x100, v5
	v_cmp_eq_u64_e32 vcc, 0, v[6:7]
	v_cndmask_b32_e32 v5, v1, v5, vcc
	v_and_b32_e32 v1, 16, v5
	v_cmp_ne_u32_e32 vcc, 0, v1
	buffer_store_dword v5, off, s[0:3], s33 offset:68 ; 4-byte Folded Spill
                                        ; implicit-def: $vgpr5_vgpr6
                                        ; kill: killed $vgpr5_vgpr6
	s_and_saveexec_b64 s[6:7], vcc
	s_cbranch_execz .LBB10_36
; %bb.35:
	buffer_load_dword v5, off, s[0:3], s33 offset:416 ; 4-byte Folded Reload
	buffer_load_dword v6, off, s[0:3], s33 offset:420 ; 4-byte Folded Reload
	s_waitcnt vmcnt(0)
	flat_load_dwordx2 v[7:8], v[5:6] offset:48
	s_waitcnt vmcnt(0) lgkmcnt(0)
	buffer_store_dword v7, off, s[0:3], s33 offset:60 ; 4-byte Folded Spill
	s_nop 0
	buffer_store_dword v8, off, s[0:3], s33 offset:64 ; 4-byte Folded Spill
	flat_load_dwordx2 v[7:8], v[5:6] offset:120
	s_waitcnt vmcnt(0) lgkmcnt(0)
	buffer_store_dword v7, off, s[0:3], s33 offset:128 ; 4-byte Folded Spill
	s_nop 0
	buffer_store_dword v8, off, s[0:3], s33 offset:132 ; 4-byte Folded Spill
	;; [unrolled: 5-line block ×3, first 2 shown]
.LBB10_36:
	s_or_b64 exec, exec, s[6:7]
	buffer_load_dword v5, off, s[0:3], s33 offset:112 ; 4-byte Folded Reload
	buffer_load_dword v6, off, s[0:3], s33 offset:116 ; 4-byte Folded Reload
	;; [unrolled: 1-line block ×4, first 2 shown]
	s_waitcnt vmcnt(1)
	v_add_co_u32_e32 v1, vcc, 3, v7
	s_waitcnt vmcnt(0)
	v_addc_co_u32_e32 v6, vcc, 0, v8, vcc
	v_and_b32_e32 v5, -4, v1
	buffer_store_dword v5, off, s[0:3], s33 offset:80 ; 4-byte Folded Spill
	s_nop 0
	buffer_store_dword v6, off, s[0:3], s33 offset:84 ; 4-byte Folded Spill
	buffer_load_dword v1, off, s[0:3], s33 offset:68 ; 4-byte Folded Reload
	s_waitcnt vmcnt(0)
	v_and_b32_e32 v1, 8, v1
	v_cmp_ne_u32_e32 vcc, 0, v1
	s_and_saveexec_b64 s[6:7], vcc
	s_cbranch_execz .LBB10_40
; %bb.37:
	buffer_load_dword v1, off, s[0:3], s33 offset:68 ; 4-byte Folded Reload
	s_waitcnt vmcnt(0)
	v_and_b32_e32 v1, 0x800, v1
	v_cmp_eq_u32_e32 vcc, 0, v1
	s_and_saveexec_b64 s[10:11], vcc
	s_cbranch_execz .LBB10_39
; %bb.38:
	s_trap 2
	buffer_load_dword v5, off, s[0:3], s33 offset:416 ; 4-byte Folded Reload
	buffer_load_dword v6, off, s[0:3], s33 offset:420 ; 4-byte Folded Reload
	s_waitcnt vmcnt(0)
	ds_write_b64 v0, v[5:6]
.LBB10_39:
	s_or_b64 exec, exec, s[10:11]
	buffer_load_dword v5, off, s[0:3], s33 offset:416 ; 4-byte Folded Reload
	buffer_load_dword v6, off, s[0:3], s33 offset:420 ; 4-byte Folded Reload
	s_waitcnt vmcnt(0)
	flat_load_dwordx2 v[7:8], v[5:6] offset:56
	s_waitcnt vmcnt(0) lgkmcnt(0)
	buffer_store_dword v7, off, s[0:3], s33 offset:60 ; 4-byte Folded Spill
	s_nop 0
	buffer_store_dword v8, off, s[0:3], s33 offset:64 ; 4-byte Folded Spill
	flat_load_dwordx2 v[48:49], v[7:8] glc
	flat_load_dword v1, v[5:6] offset:72
	s_nop 0
	flat_load_dwordx2 v[5:6], v[5:6] offset:16
	s_waitcnt vmcnt(0) lgkmcnt(0)
	buffer_store_dword v5, off, s[0:3], s33 offset:104 ; 4-byte Folded Spill
	s_nop 0
	buffer_store_dword v6, off, s[0:3], s33 offset:108 ; 4-byte Folded Spill
	v_ashrrev_i32_e32 v1, 1, v1
	buffer_store_dword v1, off, s[0:3], s33 offset:140 ; 4-byte Folded Spill
.LBB10_40:
	s_or_b64 exec, exec, s[6:7]
.LBB10_41:
	s_or_b64 exec, exec, s[4:5]
	buffer_load_dword v1, off, s[0:3], s33 offset:180 ; 4-byte Folded Reload
	s_waitcnt vmcnt(0)
	v_cmp_eq_u32_e64 s[4:5], 0, v1
	s_and_saveexec_b64 s[6:7], s[4:5]
	s_cbranch_execz .LBB10_43
; %bb.42:
	s_waitcnt lgkmcnt(0)
	flat_load_dwordx2 v[5:6], v[2:3] offset:32
	v_mov_b32_e32 v7, v12
	v_mov_b32_e32 v8, v13
	;; [unrolled: 1-line block ×4, first 2 shown]
	ds_write2_b64 v0, v[7:8], v[9:10] offset1:1
	s_trap 2
	s_waitcnt vmcnt(0) lgkmcnt(0)
	ds_write_b64 v0, v[5:6]
	ds_write_b64 v0, v[14:15]
.LBB10_43:
	s_or_b64 exec, exec, s[6:7]
	s_waitcnt lgkmcnt(0)
	v_mov_b32_e32 v5, 0
	v_mov_b32_e32 v6, 0
	buffer_store_dword v5, off, s[0:3], s33 offset:72 ; 4-byte Folded Spill
	s_nop 0
	buffer_store_dword v6, off, s[0:3], s33 offset:76 ; 4-byte Folded Spill
	buffer_load_dword v5, off, s[0:3], s33 offset:380 ; 4-byte Folded Reload
	s_nop 0
	buffer_load_dword v6, off, s[0:3], s33 offset:384 ; 4-byte Folded Reload
	buffer_load_dword v7, off, s[0:3], s33 offset:388 ; 4-byte Folded Reload
	;; [unrolled: 1-line block ×3, first 2 shown]
	s_waitcnt vmcnt(2)
	v_cmp_lt_i64_e32 vcc, 0, v[5:6]
	s_and_saveexec_b64 s[46:47], vcc
	s_cbranch_execz .LBB10_2930
; %bb.44:
	flat_load_dword v1, v[2:3] offset:4
	v_and_b32_e32 v10, 0x1fffff00, v4
	buffer_load_dword v4, off, s[0:3], s33 offset:412 ; 4-byte Folded Reload
	buffer_load_dword v5, off, s[0:3], s33 offset:180 ; 4-byte Folded Reload
	;; [unrolled: 1-line block ×4, first 2 shown]
	v_mov_b32_e32 v2, 0
	v_mov_b32_e32 v11, v2
	s_ashr_i32 s18, s24, 31
	s_movk_i32 s25, 0x400
	s_lshr_b32 s27, s18, 29
	s_add_i32 s27, s24, s27
	s_movk_i32 s26, 0x80
	s_ashr_i32 s53, s52, 31
	s_ashr_i32 s28, s27, 4
	s_add_u32 s69, s52, -1
	s_addc_u32 s70, s53, -1
	s_add_i32 s71, s52, s52
	s_mov_b64 s[58:59], 0
	s_movk_i32 s54, 0xfc00
	s_movk_i32 s55, 0xff80
	s_mov_b32 s64, 0x7f800000
	s_movk_i32 s65, 0x7fff
	s_mov_b32 s66, 0xffff0000
	s_movk_i32 s67, 0x1000
	s_movk_i32 s68, 0x108
	s_waitcnt vmcnt(0)
	v_lshrrev_b32_e32 v7, 6, v4
	v_cmp_ge_u32_e32 vcc, v5, v4
	v_and_b32_e32 v8, 63, v5
	v_ashrrev_i32_e32 v6, 31, v6
	buffer_store_dword v6, off, s[0:3], s33 offset:160 ; 4-byte Folded Spill
	s_trap 2
	buffer_load_dword v6, off, s[0:3], s33 offset:428 ; 4-byte Folded Reload
	v_lshrrev_b32_e32 v9, 6, v5
	v_and_b32_e32 v3, 63, v3
	v_cmp_lt_u32_e64 s[20:21], v8, v0
	v_cmp_le_u32_e64 s[22:23], v8, v0
	v_lshlrev_b32_e32 v0, 12, v7
	v_cmp_eq_u32_e64 s[6:7], 64, v4
	v_cmp_ne_u32_e64 s[10:11], 64, v4
	v_cmp_eq_u32_e64 s[18:19], 0, v8
	s_waitcnt vmcnt(0)
	v_cmp_ne_u32_sdwa s[56:57], v4, v6 src0_sel:DWORD src1_sel:WORD_0
	buffer_load_dword v5, off, s[0:3], s33 offset:128 ; 4-byte Folded Reload
	buffer_load_dword v6, off, s[0:3], s33 offset:132 ; 4-byte Folded Reload
	s_nop 0
	buffer_store_dword v10, off, s[0:3], s33 offset:340 ; 4-byte Folded Spill
	s_nop 0
	buffer_store_dword v11, off, s[0:3], s33 offset:344 ; 4-byte Folded Spill
	buffer_store_dword v0, off, s[0:3], s33 offset:100 ; 4-byte Folded Spill
	v_lshlrev_b32_e32 v4, 1, v4
	buffer_store_dword v8, off, s[0:3], s33 offset:328 ; 4-byte Folded Spill
	buffer_store_dword v7, off, s[0:3], s33 offset:88 ; 4-byte Folded Spill
	v_and_b32_e32 v4, 0x7f80, v4
	v_mad_i64_i32 v[10:11], s[16:17], v10, s52, 0
	s_waitcnt vmcnt(0)
	v_cmp_eq_u64_e64 s[12:13], 0, v[5:6]
	v_cmp_ne_u64_e64 s[14:15], 0, v[5:6]
	v_cmp_eq_u32_e64 s[16:17], 0, v3
	v_lshlrev_b32_e32 v3, 4, v8
	v_lshlrev_b32_e32 v5, 13, v7
	buffer_store_dword v5, off, s[0:3], s33 offset:324 ; 4-byte Folded Spill
	v_lshlrev_b32_e32 v5, 10, v7
	v_lshlrev_b32_e32 v6, 11, v7
	v_lshl_or_b32 v0, v9, 12, v3
	buffer_store_dword v6, off, s[0:3], s33 offset:92 ; 4-byte Folded Spill
	buffer_store_dword v0, off, s[0:3], s33 offset:316 ; 4-byte Folded Spill
	;; [unrolled: 1-line block ×3, first 2 shown]
	v_add_u32_e32 v0, 0xfffffc00, v5
	v_lshl_or_b32 v3, v9, 13, v3
	buffer_store_dword v3, off, s[0:3], s33 offset:320 ; 4-byte Folded Spill
	v_ashrrev_i32_e32 v3, 31, v0
	buffer_store_dword v0, off, s[0:3], s33 offset:164 ; 4-byte Folded Spill
	v_add_co_u32_e64 v0, s[24:25], s25, v0
	buffer_store_dword v4, off, s[0:3], s33 offset:96 ; 4-byte Folded Spill
	v_add_u32_e32 v4, 0xffffff80, v4
	buffer_store_dword v9, off, s[0:3], s33 offset:216 ; 4-byte Folded Spill
	buffer_store_dword v0, off, s[0:3], s33 offset:172 ; 4-byte Folded Spill
	;; [unrolled: 1-line block ×3, first 2 shown]
	v_addc_co_u32_e64 v0, s[24:25], 0, v3, s[24:25]
	v_ashrrev_i32_e32 v5, 31, v4
	buffer_store_dword v0, off, s[0:3], s33 offset:176 ; 4-byte Folded Spill
	buffer_store_dword v4, off, s[0:3], s33 offset:144 ; 4-byte Folded Spill
	v_add_co_u32_e64 v0, s[24:25], s26, v4
	buffer_store_dword v0, off, s[0:3], s33 offset:152 ; 4-byte Folded Spill
	buffer_store_dword v5, off, s[0:3], s33 offset:148 ; 4-byte Folded Spill
	v_addc_co_u32_e64 v0, s[24:25], 0, v5, s[24:25]
	s_not_b32 s24, s52
	s_cmp_gt_i32 s52, 0
	s_cselect_b32 s24, s24, -1
	s_ashr_i32 s25, s27, 31
	buffer_store_dword v0, off, s[0:3], s33 offset:156 ; 4-byte Folded Spill
	s_add_i32 s80, s24, s71
	s_lshr_b32 s24, s25, 28
	s_waitcnt lgkmcnt(0)
	v_and_b32_e32 v0, 1, v1
	s_add_i32 s28, s28, s24
	v_cmp_eq_u32_e64 s[24:25], 1, v0
	v_mov_b32_e32 v0, 0
	v_mov_b32_e32 v1, 0
	buffer_store_dword v0, off, s[0:3], s33 offset:72 ; 4-byte Folded Spill
	s_nop 0
	buffer_store_dword v1, off, s[0:3], s33 offset:76 ; 4-byte Folded Spill
	buffer_load_dword v3, off, s[0:3], s33 offset:380 ; 4-byte Folded Reload
	buffer_load_dword v4, off, s[0:3], s33 offset:384 ; 4-byte Folded Reload
	;; [unrolled: 1-line block ×4, first 2 shown]
	s_ashr_i32 s81, s80, 31
	s_ashr_i32 s82, s28, 4
	s_cmp_gt_i32 s52, 2
	s_cselect_b64 s[60:61], -1, 0
	s_add_i32 s26, s52, 1
	s_xor_b64 s[62:63], s[24:25], -1
	s_cmp_ge_i32 s26, s52
	s_cselect_b32 s27, s52, 0
	s_sub_i32 s84, s26, s27
	v_mov_b32_e32 v7, 0
	s_add_i32 s83, s52, -2
	s_xor_b64 s[72:73], vcc, -1
	s_ashr_i32 s74, s53, 31
	s_ashr_i32 s85, s84, 31
	v_mov_b32_e32 v8, 0
	buffer_store_dword v10, off, s[0:3], s33 offset:404 ; 4-byte Folded Spill
	s_nop 0
	buffer_store_dword v11, off, s[0:3], s33 offset:408 ; 4-byte Folded Spill
	s_waitcnt vmcnt(4)
	v_mov_b32_e32 v0, v3
	v_mov_b32_e32 v1, v4
	s_branch .LBB10_47
.LBB10_45:                              ;   in Loop: Header=BB10_47 Depth=1
	s_or_b64 exec, exec, s[40:41]
.LBB10_46:                              ;   in Loop: Header=BB10_47 Depth=1
	s_or_b64 exec, exec, s[28:29]
	buffer_load_dword v10, off, s[0:3], s33 offset:404 ; 4-byte Folded Reload
	buffer_load_dword v11, off, s[0:3], s33 offset:408 ; 4-byte Folded Reload
	;; [unrolled: 1-line block ×8, first 2 shown]
	s_waitcnt vmcnt(0)
	v_mov_b32_e32 v0, v3
	v_add_co_u32_e32 v7, vcc, v7, v10
	v_addc_co_u32_e32 v8, vcc, v8, v11, vcc
	v_mov_b32_e32 v1, v4
	v_cmp_ge_i64_e32 vcc, v[7:8], v[0:1]
	s_or_b64 s[58:59], vcc, s[58:59]
	s_andn2_b64 exec, exec, s[58:59]
	s_cbranch_execz .LBB10_2929
.LBB10_47:                              ; =>This Loop Header: Depth=1
                                        ;     Child Loop BB10_57 Depth 2
                                        ;       Child Loop BB10_65 Depth 3
                                        ;       Child Loop BB10_89 Depth 3
	;; [unrolled: 1-line block ×9, first 2 shown]
                                        ;     Child Loop BB10_553 Depth 2
                                        ;       Child Loop BB10_559 Depth 3
                                        ;       Child Loop BB10_583 Depth 3
	;; [unrolled: 1-line block ×3, first 2 shown]
                                        ;     Child Loop BB10_625 Depth 2
                                        ;       Child Loop BB10_628 Depth 3
                                        ;         Child Loop BB10_636 Depth 4
                                        ;         Child Loop BB10_664 Depth 4
                                        ;         Child Loop BB10_683 Depth 4
                                        ;         Child Loop BB10_710 Depth 4
                                        ;         Child Loop BB10_971 Depth 4
                                        ;         Child Loop BB10_1041 Depth 4
                                        ;         Child Loop BB10_1174 Depth 4
                                        ;         Child Loop BB10_1190 Depth 4
                                        ;         Child Loop BB10_1209 Depth 4
                                        ;       Child Loop BB10_1228 Depth 3
                                        ;         Child Loop BB10_1234 Depth 4
                                        ;         Child Loop BB10_1262 Depth 4
	;; [unrolled: 1-line block ×3, first 2 shown]
                                        ;     Child Loop BB10_1303 Depth 2
                                        ;       Child Loop BB10_1311 Depth 3
                                        ;       Child Loop BB10_1339 Depth 3
	;; [unrolled: 1-line block ×9, first 2 shown]
                                        ;         Child Loop BB10_1713 Depth 4
                                        ;       Child Loop BB10_1721 Depth 3
                                        ;       Child Loop BB10_1853 Depth 3
                                        ;         Child Loop BB10_1862 Depth 4
                                        ;       Child Loop BB10_2354 Depth 3
                                        ;       Child Loop BB10_2373 Depth 3
                                        ;     Child Loop BB10_2391 Depth 2
                                        ;       Child Loop BB10_2397 Depth 3
                                        ;       Child Loop BB10_2425 Depth 3
	;; [unrolled: 1-line block ×3, first 2 shown]
                                        ;     Child Loop BB10_2467 Depth 2
                                        ;       Child Loop BB10_2470 Depth 3
                                        ;         Child Loop BB10_2478 Depth 4
                                        ;         Child Loop BB10_2506 Depth 4
	;; [unrolled: 1-line block ×9, first 2 shown]
                                        ;           Child Loop BB10_2560 Depth 5
                                        ;         Child Loop BB10_2567 Depth 4
                                        ;         Child Loop BB10_2572 Depth 4
                                        ;           Child Loop BB10_2573 Depth 5
                                        ;         Child Loop BB10_2609 Depth 4
                                        ;         Child Loop BB10_2628 Depth 4
                                        ;       Child Loop BB10_2646 Depth 3
                                        ;         Child Loop BB10_2652 Depth 4
                                        ;         Child Loop BB10_2680 Depth 4
	;; [unrolled: 1-line block ×3, first 2 shown]
                                        ;     Child Loop BB10_2725 Depth 2
                                        ;       Child Loop BB10_2733 Depth 3
                                        ;       Child Loop BB10_2757 Depth 3
	;; [unrolled: 1-line block ×9, first 2 shown]
                                        ;     Child Loop BB10_2863 Depth 2
                                        ;       Child Loop BB10_2869 Depth 3
                                        ;       Child Loop BB10_2893 Depth 3
	;; [unrolled: 1-line block ×3, first 2 shown]
	v_sub_co_u32_e32 v0, vcc, v0, v7
	buffer_store_dword v7, off, s[0:3], s33 offset:368 ; 4-byte Folded Spill
	s_nop 0
	buffer_store_dword v8, off, s[0:3], s33 offset:372 ; 4-byte Folded Spill
	v_subb_co_u32_e32 v1, vcc, v1, v8, vcc
	buffer_store_dword v0, off, s[0:3], s33 offset:332 ; 4-byte Folded Spill
	s_nop 0
	buffer_store_dword v1, off, s[0:3], s33 offset:336 ; 4-byte Folded Spill
	v_cmp_lt_i64_e32 vcc, v[0:1], v[10:11]
	s_and_saveexec_b64 s[28:29], vcc
	s_cbranch_execz .LBB10_53
; %bb.48:                               ;   in Loop: Header=BB10_47 Depth=1
	buffer_load_dword v3, off, s[0:3], s33 offset:332 ; 4-byte Folded Reload
	buffer_load_dword v4, off, s[0:3], s33 offset:336 ; 4-byte Folded Reload
	v_mov_b32_e32 v1, s70
	s_waitcnt vmcnt(0)
	v_add_co_u32_e32 v0, vcc, s69, v3
	s_waitcnt vmcnt(0)
	v_addc_co_u32_e32 v1, vcc, v1, v4, vcc
	v_or_b32_e32 v3, s53, v1
	v_cmp_ne_u64_e32 vcc, 0, v[2:3]
                                        ; implicit-def: $vgpr3_vgpr4
	s_and_saveexec_b64 s[26:27], vcc
	s_xor_b64 s[40:41], exec, s[26:27]
	s_cbranch_execz .LBB10_50
; %bb.49:                               ;   in Loop: Header=BB10_47 Depth=1
	s_add_u32 s26, s52, s74
	s_mov_b32 s75, s74
	s_addc_u32 s27, s53, s74
	s_xor_b64 s[42:43], s[26:27], s[74:75]
	v_cvt_f32_u32_e32 v3, s42
	v_cvt_f32_u32_e32 v4, s43
	s_sub_u32 s75, 0, s42
	s_subb_u32 s76, 0, s43
	v_ashrrev_i32_e32 v5, 31, v1
	v_mac_f32_e32 v3, 0x4f800000, v4
	v_rcp_f32_e32 v3, v3
	v_add_co_u32_e32 v0, vcc, v0, v5
	v_xor_b32_e32 v6, v0, v5
	v_mul_f32_e32 v3, 0x5f7ffffc, v3
	v_mul_f32_e32 v4, 0x2f800000, v3
	v_trunc_f32_e32 v4, v4
	v_mac_f32_e32 v3, 0xcf800000, v4
	v_cvt_u32_f32_e32 v4, v4
	v_cvt_u32_f32_e32 v3, v3
	v_readfirstlane_b32 s77, v4
	v_readfirstlane_b32 s26, v3
	s_mul_i32 s27, s75, s77
	s_mul_hi_u32 s79, s75, s26
	s_mul_i32 s78, s76, s26
	s_add_i32 s27, s79, s27
	s_add_i32 s27, s27, s78
	s_mul_i32 s88, s75, s26
	s_mul_i32 s79, s26, s27
	s_mul_hi_u32 s89, s26, s88
	s_mul_hi_u32 s78, s26, s27
	s_add_u32 s79, s89, s79
	s_addc_u32 s78, 0, s78
	s_mul_hi_u32 s90, s77, s88
	s_mul_i32 s88, s77, s88
	s_add_u32 s79, s79, s88
	s_mul_hi_u32 s89, s77, s27
	s_addc_u32 s78, s78, s90
	s_addc_u32 s79, s89, 0
	s_mul_i32 s27, s77, s27
	s_add_u32 s27, s78, s27
	s_addc_u32 s78, 0, s79
	s_add_u32 s79, s26, s27
	s_cselect_b64 s[26:27], -1, 0
	s_cmp_lg_u64 s[26:27], 0
	s_addc_u32 s77, s77, s78
	s_mul_i32 s26, s75, s77
	s_mul_hi_u32 s27, s75, s79
	s_add_i32 s26, s27, s26
	s_mul_i32 s76, s76, s79
	s_add_i32 s26, s26, s76
	s_mul_i32 s75, s75, s79
	s_mul_hi_u32 s76, s77, s75
	s_mul_i32 s78, s77, s75
	s_mul_i32 s89, s79, s26
	s_mul_hi_u32 s75, s79, s75
	s_mul_hi_u32 s88, s79, s26
	s_add_u32 s75, s75, s89
	s_addc_u32 s88, 0, s88
	s_add_u32 s75, s75, s78
	s_mul_hi_u32 s27, s77, s26
	s_addc_u32 s75, s88, s76
	s_addc_u32 s27, s27, 0
	s_mul_i32 s26, s77, s26
	s_add_u32 s26, s75, s26
	s_addc_u32 s75, 0, s27
	s_add_u32 s76, s79, s26
	s_cselect_b64 s[26:27], -1, 0
	s_cmp_lg_u64 s[26:27], 0
	s_addc_u32 s75, s77, s75
	v_addc_co_u32_e32 v3, vcc, v1, v5, vcc
	v_mad_u64_u32 v[0:1], s[26:27], v6, s75, 0
	v_mul_hi_u32 v4, v6, s76
	v_xor_b32_e32 v7, v3, v5
	v_add_co_u32_e32 v8, vcc, v4, v0
	v_addc_co_u32_e32 v9, vcc, 0, v1, vcc
	v_mad_u64_u32 v[0:1], s[26:27], v7, s76, 0
	v_mad_u64_u32 v[3:4], s[26:27], v7, s75, 0
	v_add_co_u32_e32 v0, vcc, v8, v0
	v_addc_co_u32_e32 v0, vcc, v9, v1, vcc
	v_addc_co_u32_e32 v1, vcc, 0, v4, vcc
	v_add_co_u32_e32 v3, vcc, v0, v3
	v_addc_co_u32_e32 v4, vcc, 0, v1, vcc
	v_mul_lo_u32 v8, s43, v3
	v_mul_lo_u32 v9, s42, v4
	v_mad_u64_u32 v[0:1], s[26:27], s42, v3, 0
	v_add3_u32 v1, v1, v9, v8
	v_sub_u32_e32 v8, v7, v1
	v_mov_b32_e32 v9, s43
	v_sub_co_u32_e32 v0, vcc, v6, v0
	v_subb_co_u32_e64 v6, s[26:27], v8, v9, vcc
	v_subrev_co_u32_e64 v8, s[26:27], s42, v0
	v_subbrev_co_u32_e64 v6, s[26:27], 0, v6, s[26:27]
	v_cmp_le_u32_e64 s[26:27], s43, v6
	v_cndmask_b32_e64 v9, 0, -1, s[26:27]
	v_cmp_le_u32_e64 s[26:27], s42, v8
	v_cndmask_b32_e64 v8, 0, -1, s[26:27]
	v_cmp_eq_u32_e64 s[26:27], s43, v6
	v_cndmask_b32_e64 v6, v9, v8, s[26:27]
	v_add_co_u32_e64 v8, s[26:27], 2, v3
	v_subb_co_u32_e32 v1, vcc, v7, v1, vcc
	v_addc_co_u32_e64 v9, s[26:27], 0, v4, s[26:27]
	v_cmp_le_u32_e32 vcc, s43, v1
	v_add_co_u32_e64 v10, s[26:27], 1, v3
	v_cndmask_b32_e64 v7, 0, -1, vcc
	v_cmp_le_u32_e32 vcc, s42, v0
	v_addc_co_u32_e64 v11, s[26:27], 0, v4, s[26:27]
	v_cndmask_b32_e64 v0, 0, -1, vcc
	v_cmp_eq_u32_e32 vcc, s43, v1
	v_cmp_ne_u32_e64 s[26:27], 0, v6
	v_cndmask_b32_e32 v0, v7, v0, vcc
	v_cndmask_b32_e64 v6, v11, v9, s[26:27]
	v_cmp_ne_u32_e32 vcc, 0, v0
	v_cndmask_b32_e64 v1, v10, v8, s[26:27]
	v_cndmask_b32_e32 v0, v4, v6, vcc
	v_cndmask_b32_e32 v1, v3, v1, vcc
	v_xor_b32_e32 v4, s74, v5
	v_xor_b32_e32 v1, v1, v4
	;; [unrolled: 1-line block ×3, first 2 shown]
	v_sub_co_u32_e32 v3, vcc, v1, v4
	v_subb_co_u32_e32 v4, vcc, v0, v4, vcc
                                        ; implicit-def: $vgpr0
.LBB10_50:                              ;   in Loop: Header=BB10_47 Depth=1
	s_andn2_saveexec_b64 s[26:27], s[40:41]
	s_cbranch_execz .LBB10_52
; %bb.51:                               ;   in Loop: Header=BB10_47 Depth=1
	v_cvt_f32_u32_e32 v1, s52
	s_sub_i32 s40, 0, s52
	v_rcp_iflag_f32_e32 v1, v1
	v_mul_f32_e32 v1, 0x4f7ffffe, v1
	v_cvt_u32_f32_e32 v1, v1
	v_mul_lo_u32 v3, s40, v1
	v_mul_hi_u32 v3, v1, v3
	v_add_u32_e32 v1, v1, v3
	v_mul_hi_u32 v1, v0, v1
	v_mul_lo_u32 v3, v1, s52
	v_add_u32_e32 v4, 1, v1
	v_sub_u32_e32 v0, v0, v3
	v_subrev_u32_e32 v3, s52, v0
	v_cmp_le_u32_e32 vcc, s52, v0
	v_cndmask_b32_e32 v0, v0, v3, vcc
	v_cndmask_b32_e32 v1, v1, v4, vcc
	v_add_u32_e32 v3, 1, v1
	v_cmp_le_u32_e32 vcc, s52, v0
	v_cndmask_b32_e32 v3, v1, v3, vcc
	v_mov_b32_e32 v4, v2
.LBB10_52:                              ;   in Loop: Header=BB10_47 Depth=1
	s_or_b64 exec, exec, s[26:27]
	v_add_co_u32_e32 v0, vcc, 7, v3
	v_addc_co_u32_e32 v1, vcc, 0, v4, vcc
	v_and_b32_e32 v0, -8, v0
	buffer_store_dword v0, off, s[0:3], s33 offset:340 ; 4-byte Folded Spill
	s_nop 0
	buffer_store_dword v1, off, s[0:3], s33 offset:344 ; 4-byte Folded Spill
.LBB10_53:                              ;   in Loop: Header=BB10_47 Depth=1
	s_or_b64 exec, exec, s[28:29]
	buffer_load_dword v7, off, s[0:3], s33 offset:340 ; 4-byte Folded Reload
	buffer_load_dword v8, off, s[0:3], s33 offset:344 ; 4-byte Folded Reload
	v_mov_b32_e32 v32, 0
	s_waitcnt vmcnt(0)
	v_mul_lo_u32 v1, v7, s81
	s_waitcnt vmcnt(0)
	v_mul_lo_u32 v0, v8, s80
	v_mad_u64_u32 v[3:4], s[26:27], v7, s80, 0
	v_add3_u32 v4, v4, v1, v0
	buffer_load_dword v0, off, s[0:3], s33 offset:396 ; 4-byte Folded Reload
	buffer_load_dword v1, off, s[0:3], s33 offset:400 ; 4-byte Folded Reload
	;; [unrolled: 1-line block ×4, first 2 shown]
	s_waitcnt vmcnt(0)
	v_add_co_u32_e32 v0, vcc, v5, v0
	s_waitcnt vmcnt(0)
	v_addc_co_u32_e32 v1, vcc, v6, v1, vcc
	buffer_store_dword v0, off, s[0:3], s33 offset:192 ; 4-byte Folded Spill
	s_nop 0
	buffer_store_dword v1, off, s[0:3], s33 offset:196 ; 4-byte Folded Spill
	buffer_load_dword v0, off, s[0:3], s33 offset:332 ; 4-byte Folded Reload
	s_nop 0
	buffer_load_dword v1, off, s[0:3], s33 offset:336 ; 4-byte Folded Reload
	s_waitcnt vmcnt(0)
	v_sub_co_u32_e32 v0, vcc, v0, v3
	s_waitcnt vmcnt(0)
	v_subb_co_u32_e32 v1, vcc, v1, v4, vcc
	v_cmp_lt_i64_e32 vcc, v[7:8], v[0:1]
	v_cndmask_b32_e32 v1, v0, v7, vcc
	v_max_i32_e32 v12, 0, v1
	v_add_u32_e32 v5, 31, v12
	v_lshrrev_b32_e32 v5, 1, v5
	v_and_b32_e32 v5, 0x3ffffff0, v5
	v_cmp_lt_i32_e32 vcc, 0, v1
	v_mov_b32_e32 v0, 0
	v_max_i32_e32 v5, s82, v5
	s_and_b64 s[26:27], s[72:73], vcc
	buffer_store_dword v5, off, s[0:3], s33 offset:292 ; 4-byte Folded Spill
	s_nop 0
	buffer_store_dword v6, off, s[0:3], s33 offset:296 ; 4-byte Folded Spill
	s_and_saveexec_b64 s[28:29], s[26:27]
	s_cbranch_execz .LBB10_549
; %bb.54:                               ;   in Loop: Header=BB10_47 Depth=1
	v_lshlrev_b64 v[0:1], 1, v[3:4]
	s_mov_b32 s75, 1
	s_mov_b64 s[42:43], -1
	v_mov_b32_e32 v32, 0
	s_mov_b64 s[40:41], 0
	buffer_store_dword v0, off, s[0:3], s33 offset:356 ; 4-byte Folded Spill
	s_nop 0
	buffer_store_dword v1, off, s[0:3], s33 offset:360 ; 4-byte Folded Spill
	buffer_store_dword v12, off, s[0:3], s33 offset:364 ; 4-byte Folded Spill
	s_branch .LBB10_57
.LBB10_55:                              ;   in Loop: Header=BB10_57 Depth=2
	s_or_b64 exec, exec, s[76:77]
	buffer_load_dword v3, off, s[0:3], s33 offset:80 ; 4-byte Folded Reload
	buffer_load_dword v4, off, s[0:3], s33 offset:84 ; 4-byte Folded Reload
	;; [unrolled: 1-line block ×4, first 2 shown]
	s_waitcnt vmcnt(0)
	v_add_co_u32_e32 v3, vcc, 2, v3
	v_addc_co_u32_e32 v4, vcc, 0, v4, vcc
	buffer_store_dword v3, off, s[0:3], s33 offset:80 ; 4-byte Folded Spill
	s_nop 0
	buffer_store_dword v4, off, s[0:3], s33 offset:84 ; 4-byte Folded Spill
	flat_store_dwordx2 v[0:1], v[3:4]
.LBB10_56:                              ;   in Loop: Header=BB10_57 Depth=2
	s_or_b64 exec, exec, s[26:27]
	buffer_load_dword v0, off, s[0:3], s33 offset:292 ; 4-byte Folded Reload
	buffer_load_dword v1, off, s[0:3], s33 offset:296 ; 4-byte Folded Reload
	s_xor_b64 s[26:27], s[42:43], -1
	s_mov_b64 s[42:43], 0
	s_waitcnt vmcnt(0)
	v_add_u32_e32 v32, v0, v32
	v_cmp_ge_i32_e32 vcc, v32, v12
	s_or_b64 s[26:27], s[26:27], vcc
	s_and_b64 s[26:27], exec, s[26:27]
	s_or_b64 s[40:41], s[26:27], s[40:41]
	v_mov_b32_e32 v0, s75
	s_mov_b32 s75, 2
	s_andn2_b64 exec, exec, s[40:41]
	s_cbranch_execz .LBB10_548
.LBB10_57:                              ;   Parent Loop BB10_47 Depth=1
                                        ; =>  This Loop Header: Depth=2
                                        ;       Child Loop BB10_65 Depth 3
                                        ;       Child Loop BB10_89 Depth 3
	;; [unrolled: 1-line block ×9, first 2 shown]
	s_and_saveexec_b64 s[26:27], s[4:5]
	s_cbranch_execz .LBB10_59
; %bb.58:                               ;   in Loop: Header=BB10_57 Depth=2
	s_trap 2
	ds_read_b64 v[0:1], v0
	buffer_load_dword v3, off, s[0:3], s33 offset:192 ; 4-byte Folded Reload
	buffer_load_dword v4, off, s[0:3], s33 offset:196 ; 4-byte Folded Reload
	v_ashrrev_i32_e32 v33, 31, v32
	s_waitcnt vmcnt(0)
	v_lshlrev_b64 v[3:4], 1, v[3:4]
	s_waitcnt lgkmcnt(0)
	v_add_co_u32_e32 v0, vcc, v0, v3
	v_addc_co_u32_e32 v1, vcc, v1, v4, vcc
	buffer_load_dword v3, off, s[0:3], s33 offset:356 ; 4-byte Folded Reload
	buffer_load_dword v4, off, s[0:3], s33 offset:360 ; 4-byte Folded Reload
	s_waitcnt vmcnt(1)
	v_add_co_u32_e32 v3, vcc, v0, v3
	s_waitcnt vmcnt(0)
	v_addc_co_u32_e32 v4, vcc, v1, v4, vcc
	v_lshlrev_b64 v[0:1], 1, v[32:33]
	v_add_co_u32_e32 v0, vcc, v3, v0
	v_addc_co_u32_e32 v1, vcc, v4, v1, vcc
	v_mov_b32_e32 v3, v2
	ds_write_b64 v0, v[0:1]
	ds_write_b64 v0, v[2:3]
.LBB10_59:                              ;   in Loop: Header=BB10_57 Depth=2
	s_or_b64 exec, exec, s[26:27]
	buffer_load_dword v3, off, s[0:3], s33 offset:292 ; 4-byte Folded Reload
	buffer_load_dword v4, off, s[0:3], s33 offset:296 ; 4-byte Folded Reload
	v_sub_u32_e32 v0, v12, v32
	s_waitcnt vmcnt(0)
	v_min_i32_e32 v3, v3, v0
	buffer_store_dword v3, off, s[0:3], s33 offset:292 ; 4-byte Folded Spill
	s_waitcnt vmcnt(1)
	buffer_store_dword v4, off, s[0:3], s33 offset:296 ; 4-byte Folded Spill
	buffer_load_dword v0, off, s[0:3], s33 offset:68 ; 4-byte Folded Reload
	s_waitcnt vmcnt(0)
	v_and_b32_e32 v0, 8, v0
	v_cmp_ne_u32_e32 vcc, 0, v0
	s_and_saveexec_b64 s[76:77], vcc
	s_cbranch_execz .LBB10_81
; %bb.60:                               ;   in Loop: Header=BB10_57 Depth=2
	buffer_load_dword v3, off, s[0:3], s33 offset:80 ; 4-byte Folded Reload
	buffer_load_dword v4, off, s[0:3], s33 offset:84 ; 4-byte Folded Reload
	s_waitcnt lgkmcnt(0)
	v_add_co_u32_e32 v0, vcc, 8, v48
	v_addc_co_u32_e32 v1, vcc, 0, v49, vcc
	s_waitcnt vmcnt(1)
	v_add_co_u32_e32 v3, vcc, 2, v3
	s_waitcnt vmcnt(0)
	v_addc_co_u32_e32 v4, vcc, 0, v4, vcc
	v_cmp_lt_u64_e32 vcc, v[0:1], v[3:4]
	s_and_saveexec_b64 s[78:79], vcc
	s_cbranch_execz .LBB10_72
; %bb.61:                               ;   in Loop: Header=BB10_57 Depth=2
	buffer_load_dword v0, off, s[0:3], s33 offset:68 ; 4-byte Folded Reload
	s_mov_b32 s50, 0
	s_mov_b64 s[88:89], 0
                                        ; implicit-def: $sgpr90_sgpr91
                                        ; implicit-def: $sgpr92_sgpr93
                                        ; implicit-def: $sgpr94_sgpr95
	s_waitcnt vmcnt(0)
	v_and_b32_e32 v0, 64, v0
	v_cmp_eq_u32_e32 vcc, 0, v0
	s_branch .LBB10_65
.LBB10_62:                              ;   in Loop: Header=BB10_65 Depth=3
	s_waitcnt vmcnt(0) lgkmcnt(0)
	v_add_co_u32_e64 v5, s[26:27], 8, v48
	v_addc_co_u32_e64 v6, s[26:27], 0, v49, s[26:27]
	v_cmp_ge_u64_e64 s[26:27], v[5:6], v[3:4]
	s_or_b64 s[36:37], s[36:37], exec
	s_orn2_b64 s[34:35], s[26:27], exec
.LBB10_63:                              ;   in Loop: Header=BB10_65 Depth=3
	s_or_b64 exec, exec, s[48:49]
	s_andn2_b64 s[26:27], s[94:95], exec
	s_and_b64 s[94:95], s[36:37], exec
	s_or_b64 s[94:95], s[26:27], s[94:95]
	s_andn2_b64 s[26:27], s[92:93], exec
	s_and_b64 s[92:93], s[34:35], exec
	s_or_b64 s[92:93], s[26:27], s[92:93]
.LBB10_64:                              ;   in Loop: Header=BB10_65 Depth=3
	s_or_b64 exec, exec, s[30:31]
	s_and_b64 s[26:27], exec, s[92:93]
	s_or_b64 s[88:89], s[26:27], s[88:89]
	s_andn2_b64 s[26:27], s[90:91], exec
	s_and_b64 s[90:91], s[94:95], exec
	s_or_b64 s[90:91], s[26:27], s[90:91]
	s_andn2_b64 exec, exec, s[88:89]
	s_cbranch_execz .LBB10_69
.LBB10_65:                              ;   Parent Loop BB10_47 Depth=1
                                        ;     Parent Loop BB10_57 Depth=2
                                        ; =>    This Inner Loop Header: Depth=3
	s_sleep 1
	buffer_load_dword v0, off, s[0:3], s33 offset:60 ; 4-byte Folded Reload
	buffer_load_dword v1, off, s[0:3], s33 offset:64 ; 4-byte Folded Reload
	s_or_b64 s[94:95], s[94:95], exec
	s_or_b64 s[92:93], s[92:93], exec
	s_waitcnt vmcnt(0) lgkmcnt(0)
	flat_load_dwordx2 v[48:49], v[0:1] glc
                                        ; implicit-def: $vgpr0
	s_and_saveexec_b64 s[30:31], vcc
	s_cbranch_execz .LBB10_64
; %bb.66:                               ;   in Loop: Header=BB10_65 Depth=3
	s_cmpk_lt_i32 s50, 0x270f
	s_cselect_b64 s[38:39], -1, 0
	s_cmpk_gt_i32 s50, 0x270e
	s_mov_b64 s[34:35], -1
	s_cbranch_scc0 .LBB10_68
; %bb.67:                               ;   in Loop: Header=BB10_65 Depth=3
	s_trap 2
	ds_read_b64 v[0:1], v0
	s_andn2_b64 s[38:39], s[38:39], exec
	s_mov_b32 s50, 0
	s_mov_b64 s[36:37], 0
	s_waitcnt vmcnt(0) lgkmcnt(0)
	flat_load_dword v0, v[0:1] glc
	s_waitcnt vmcnt(0) lgkmcnt(0)
	buffer_wbinvl1_vol
	v_cmp_eq_u32_e64 s[26:27], 0, v0
	s_and_b64 s[26:27], s[26:27], exec
	s_or_b64 s[38:39], s[38:39], s[26:27]
	s_and_saveexec_b64 s[48:49], s[38:39]
	s_cbranch_execz .LBB10_63
	s_branch .LBB10_62
.LBB10_68:                              ;   in Loop: Header=BB10_65 Depth=3
	s_add_i32 s50, s50, 1
	s_mov_b64 s[36:37], -1
                                        ; implicit-def: $vgpr0
	s_and_saveexec_b64 s[48:49], s[38:39]
	s_cbranch_execz .LBB10_63
	s_branch .LBB10_62
.LBB10_69:                              ;   in Loop: Header=BB10_57 Depth=2
	s_or_b64 exec, exec, s[88:89]
	s_xor_b64 s[26:27], s[90:91], -1
	s_and_saveexec_b64 s[88:89], s[26:27]
	s_xor_b64 s[26:27], exec, s[88:89]
	s_cbranch_execz .LBB10_71
; %bb.70:                               ;   in Loop: Header=BB10_57 Depth=2
	s_waitcnt lgkmcnt(0)
	ds_write_b32 v0, v0
	s_trap 2
	buffer_load_dword v0, off, s[0:3], s33 offset:68 ; 4-byte Folded Reload
	s_waitcnt vmcnt(0)
	v_or_b32_e32 v0, 64, v0
	buffer_store_dword v0, off, s[0:3], s33 offset:68 ; 4-byte Folded Spill
.LBB10_71:                              ;   in Loop: Header=BB10_57 Depth=2
	s_or_b64 exec, exec, s[26:27]
.LBB10_72:                              ;   in Loop: Header=BB10_57 Depth=2
	s_or_b64 exec, exec, s[78:79]
	;;#ASMSTART
	s_wakeup
	;;#ASMEND
	buffer_load_dword v0, off, s[0:3], s33 offset:68 ; 4-byte Folded Reload
	s_mov_b64 s[26:27], -1
                                        ; implicit-def: $vgpr8_vgpr9
	s_waitcnt vmcnt(0)
	v_and_b32_e32 v0, 0x100, v0
	v_cmp_ne_u32_e32 vcc, 0, v0
	buffer_load_dword v0, off, s[0:3], s33 offset:80 ; 4-byte Folded Reload
	buffer_load_dword v1, off, s[0:3], s33 offset:84 ; 4-byte Folded Reload
	s_waitcnt vmcnt(0)
	v_and_b32_e32 v0, 7, v0
	s_and_saveexec_b64 s[78:79], vcc
	s_cbranch_execz .LBB10_76
; %bb.73:                               ;   in Loop: Header=BB10_57 Depth=2
	buffer_load_dword v5, off, s[0:3], s33 offset:112 ; 4-byte Folded Reload
	buffer_load_dword v6, off, s[0:3], s33 offset:116 ; 4-byte Folded Reload
	;; [unrolled: 1-line block ×4, first 2 shown]
                                        ; implicit-def: $vgpr8_vgpr9
	s_waitcnt vmcnt(0)
	v_mad_u64_u32 v[10:11], s[26:27], v0, 24, v[5:6]
	buffer_load_dword v5, off, s[0:3], s33 offset:292 ; 4-byte Folded Reload
	buffer_load_dword v6, off, s[0:3], s33 offset:296 ; 4-byte Folded Reload
	s_waitcnt vmcnt(0)
	v_mov_b32_e32 v1, v5
	buffer_store_dword v1, off, s[0:3], s33 offset:292 ; 4-byte Folded Spill
	s_nop 0
	buffer_store_dword v2, off, s[0:3], s33 offset:296 ; 4-byte Folded Spill
	flat_load_dword v1, v[10:11]
	v_ashrrev_i32_e32 v6, 31, v5
	v_lshlrev_b64 v[5:6], 1, v[5:6]
	flat_store_dwordx2 v[10:11], v[5:6] offset:8
	s_waitcnt vmcnt(0) lgkmcnt(0)
	v_cmp_ne_u32_e32 vcc, 1, v1
	v_cmp_eq_u32_e64 s[26:27], 1, v1
	s_and_saveexec_b64 s[88:89], s[26:27]
	s_cbranch_execz .LBB10_75
; %bb.74:                               ;   in Loop: Header=BB10_57 Depth=2
	flat_load_dword v5, v[10:11] offset:4 glc
	s_waitcnt vmcnt(0) lgkmcnt(0)
	v_ashrrev_i32_e32 v6, 31, v5
	v_lshrrev_b64 v[8:9], 1, v[5:6]
.LBB10_75:                              ;   in Loop: Header=BB10_57 Depth=2
	s_or_b64 exec, exec, s[88:89]
	s_orn2_b64 s[26:27], vcc, exec
.LBB10_76:                              ;   in Loop: Header=BB10_57 Depth=2
	s_or_b64 exec, exec, s[78:79]
	s_and_saveexec_b64 s[78:79], s[26:27]
	s_cbranch_execz .LBB10_78
; %bb.77:                               ;   in Loop: Header=BB10_57 Depth=2
	buffer_load_dword v1, off, s[0:3], s33 offset:140 ; 4-byte Folded Reload
	s_waitcnt vmcnt(0)
	v_mad_i64_i32 v[8:9], s[26:27], v0, v1, 0
.LBB10_78:                              ;   in Loop: Header=BB10_57 Depth=2
	s_or_b64 exec, exec, s[78:79]
	buffer_load_dword v5, off, s[0:3], s33 offset:104 ; 4-byte Folded Reload
	buffer_load_dword v6, off, s[0:3], s33 offset:108 ; 4-byte Folded Reload
	v_lshlrev_b64 v[0:1], 1, v[8:9]
	s_waitcnt vmcnt(0)
	v_add_co_u32_e32 v0, vcc, v5, v0
	v_addc_co_u32_e32 v1, vcc, v6, v1, vcc
	ds_write_b64 v0, v[0:1] offset:784
	buffer_load_dword v0, off, s[0:3], s33 offset:68 ; 4-byte Folded Reload
	s_waitcnt vmcnt(0)
	v_and_b32_e32 v0, 0x2000, v0
	v_cmp_ne_u32_e32 vcc, 0, v0
	s_and_saveexec_b64 s[26:27], vcc
	s_cbranch_execz .LBB10_80
; %bb.79:                               ;   in Loop: Header=BB10_57 Depth=2
	ds_read_b64 v[0:1], v0 offset:872
	s_waitcnt lgkmcnt(0)
	v_add_co_u32_e32 v0, vcc, 1, v0
	v_addc_co_u32_e32 v1, vcc, 0, v1, vcc
	ds_write_b64 v0, v[0:1] offset:872
.LBB10_80:                              ;   in Loop: Header=BB10_57 Depth=2
	s_or_b64 exec, exec, s[26:27]
	buffer_store_dword v3, off, s[0:3], s33 offset:80 ; 4-byte Folded Spill
	s_nop 0
	buffer_store_dword v4, off, s[0:3], s33 offset:84 ; 4-byte Folded Spill
.LBB10_81:                              ;   in Loop: Header=BB10_57 Depth=2
	s_or_b64 exec, exec, s[76:77]
	s_and_saveexec_b64 s[26:27], s[10:11]
	s_cbranch_execz .LBB10_100
; %bb.82:                               ;   in Loop: Header=BB10_57 Depth=2
	s_and_saveexec_b64 s[76:77], s[56:57]
	s_xor_b64 s[76:77], exec, s[76:77]
	s_cbranch_execz .LBB10_97
; %bb.83:                               ;   in Loop: Header=BB10_57 Depth=2
	s_and_saveexec_b64 s[78:79], s[16:17]
	s_cbranch_execz .LBB10_96
; %bb.84:                               ;   in Loop: Header=BB10_57 Depth=2
	s_mov_b64 s[90:91], exec
	v_mbcnt_lo_u32_b32 v0, s90, 0
	v_mbcnt_hi_u32_b32 v0, s91, v0
	v_cmp_eq_u32_e32 vcc, 0, v0
	s_waitcnt vmcnt(0) lgkmcnt(0)
	buffer_wbinvl1_vol
	s_and_saveexec_b64 s[88:89], vcc
	s_cbranch_execz .LBB10_86
; %bb.85:                               ;   in Loop: Header=BB10_57 Depth=2
	s_bcnt1_i32_b64 s90, s[90:91]
	v_mov_b32_e32 v0, s90
	v_mov_b32_e32 v1, v2
	ds_add_u64 v0, v[0:1]
	s_trap 2
.LBB10_86:                              ;   in Loop: Header=BB10_57 Depth=2
	s_or_b64 exec, exec, s[88:89]
	s_trap 2
	ds_read_b64 v[0:1], v0
	s_waitcnt lgkmcnt(0)
	buffer_load_dword v3, off, s[0:3], s33 offset:72 ; 4-byte Folded Reload
	buffer_load_dword v4, off, s[0:3], s33 offset:76 ; 4-byte Folded Reload
	;; [unrolled: 1-line block ×3, first 2 shown]
	s_waitcnt vmcnt(0)
	v_add_co_u32_e32 v3, vcc, v3, v5
	v_addc_co_u32_e32 v4, vcc, 0, v4, vcc
	buffer_store_dword v3, off, s[0:3], s33 offset:72 ; 4-byte Folded Spill
	s_nop 0
	buffer_store_dword v4, off, s[0:3], s33 offset:76 ; 4-byte Folded Spill
	v_cmp_lt_u64_e32 vcc, v[0:1], v[3:4]
	s_and_saveexec_b64 s[88:89], vcc
	s_cbranch_execz .LBB10_95
; %bb.87:                               ;   in Loop: Header=BB10_57 Depth=2
	s_mov_b32 s36, 0
	s_mov_b64 s[90:91], 0
                                        ; implicit-def: $sgpr92_sgpr93
                                        ; implicit-def: $sgpr94_sgpr95
	s_branch .LBB10_89
.LBB10_88:                              ;   in Loop: Header=BB10_89 Depth=3
	s_or_b64 exec, exec, s[34:35]
	s_and_b64 vcc, exec, vcc
	s_or_b64 s[90:91], vcc, s[90:91]
	s_andn2_b64 s[92:93], s[92:93], exec
	s_and_b64 vcc, s[94:95], exec
	s_or_b64 s[92:93], s[92:93], vcc
	s_andn2_b64 exec, exec, s[90:91]
	s_cbranch_execz .LBB10_93
.LBB10_89:                              ;   Parent Loop BB10_47 Depth=1
                                        ;     Parent Loop BB10_57 Depth=2
                                        ; =>    This Inner Loop Header: Depth=3
	s_add_i32 s36, s36, 1
	s_cmpk_lg_i32 s36, 0x2710
	s_cselect_b64 s[30:31], -1, 0
	s_and_b64 vcc, exec, s[30:31]
	s_cbranch_vccz .LBB10_91
; %bb.90:                               ;   in Loop: Header=BB10_89 Depth=3
	s_mov_b64 vcc, -1
	s_or_b64 s[94:95], s[94:95], exec
	s_and_saveexec_b64 s[34:35], s[30:31]
	s_cbranch_execz .LBB10_88
	s_branch .LBB10_92
.LBB10_91:                              ;   in Loop: Header=BB10_89 Depth=3
	s_trap 2
	ds_read_b64 v[0:1], v0
	s_andn2_b64 s[30:31], s[30:31], exec
	s_mov_b32 s36, 0
	s_waitcnt vmcnt(0) lgkmcnt(0)
	flat_load_dword v0, v[0:1] glc
	s_waitcnt vmcnt(0) lgkmcnt(0)
	buffer_wbinvl1_vol
	v_cmp_eq_u32_e32 vcc, 0, v0
	s_and_b64 vcc, vcc, exec
	s_or_b64 s[30:31], s[30:31], vcc
	s_mov_b64 vcc, -1
	s_or_b64 s[94:95], s[94:95], exec
	s_and_saveexec_b64 s[34:35], s[30:31]
	s_cbranch_execz .LBB10_88
.LBB10_92:                              ;   in Loop: Header=BB10_89 Depth=3
	s_sleep 1
	s_trap 2
	ds_read_b64 v[0:1], v0
	s_waitcnt lgkmcnt(0)
	buffer_load_dword v3, off, s[0:3], s33 offset:72 ; 4-byte Folded Reload
	buffer_load_dword v4, off, s[0:3], s33 offset:76 ; 4-byte Folded Reload
	s_andn2_b64 s[94:95], s[94:95], exec
	s_waitcnt vmcnt(0)
	v_cmp_ge_u64_e32 vcc, v[0:1], v[3:4]
	s_orn2_b64 vcc, vcc, exec
	s_branch .LBB10_88
.LBB10_93:                              ;   in Loop: Header=BB10_57 Depth=2
	s_or_b64 exec, exec, s[90:91]
	s_and_saveexec_b64 s[90:91], s[92:93]
	s_xor_b64 s[90:91], exec, s[90:91]
	s_cbranch_execz .LBB10_95
; %bb.94:                               ;   in Loop: Header=BB10_57 Depth=2
	v_mov_b32_e32 v0, 1
	ds_write_b32 v0, v0
	s_trap 2
.LBB10_95:                              ;   in Loop: Header=BB10_57 Depth=2
	s_or_b64 exec, exec, s[88:89]
	;;#ASMSTART
	s_wakeup
	;;#ASMEND
.LBB10_96:                              ;   in Loop: Header=BB10_57 Depth=2
	s_or_b64 exec, exec, s[78:79]
.LBB10_97:                              ;   in Loop: Header=BB10_57 Depth=2
	s_andn2_saveexec_b64 s[76:77], s[76:77]
	s_cbranch_execz .LBB10_99
; %bb.98:                               ;   in Loop: Header=BB10_57 Depth=2
	s_waitcnt vmcnt(0) lgkmcnt(0)
	buffer_wbinvl1_vol
	s_barrier
.LBB10_99:                              ;   in Loop: Header=BB10_57 Depth=2
	s_or_b64 exec, exec, s[76:77]
.LBB10_100:                             ;   in Loop: Header=BB10_57 Depth=2
	s_or_b64 exec, exec, s[26:27]
	s_trap 2
	buffer_load_dword v1, off, s[0:3], s33 offset:68 ; 4-byte Folded Reload
	ds_read_b32 v0, v0
	s_xor_b64 s[26:27], s[6:7], -1
	s_waitcnt vmcnt(0)
	v_and_b32_e32 v1, 0x4000, v1
	v_cmp_ne_u32_e32 vcc, 0, v1
	s_and_b64 s[76:77], s[26:27], vcc
	s_and_saveexec_b64 s[26:27], s[76:77]
	s_cbranch_execz .LBB10_119
; %bb.101:                              ;   in Loop: Header=BB10_57 Depth=2
	s_and_saveexec_b64 s[76:77], s[56:57]
	s_xor_b64 s[76:77], exec, s[76:77]
	s_cbranch_execz .LBB10_116
; %bb.102:                              ;   in Loop: Header=BB10_57 Depth=2
	s_and_saveexec_b64 s[78:79], s[16:17]
	s_cbranch_execz .LBB10_115
; %bb.103:                              ;   in Loop: Header=BB10_57 Depth=2
	s_mov_b64 s[90:91], exec
	v_mbcnt_lo_u32_b32 v1, s90, 0
	v_mbcnt_hi_u32_b32 v1, s91, v1
	v_cmp_eq_u32_e32 vcc, 0, v1
	s_waitcnt lgkmcnt(0)
	buffer_wbinvl1_vol
	s_and_saveexec_b64 s[88:89], vcc
	s_cbranch_execz .LBB10_105
; %bb.104:                              ;   in Loop: Header=BB10_57 Depth=2
	s_bcnt1_i32_b64 s90, s[90:91]
	v_mov_b32_e32 v3, s90
	v_mov_b32_e32 v4, v2
	ds_add_u64 v0, v[3:4]
	s_trap 2
.LBB10_105:                             ;   in Loop: Header=BB10_57 Depth=2
	s_or_b64 exec, exec, s[88:89]
	s_trap 2
	ds_read_b64 v[3:4], v0
	s_waitcnt lgkmcnt(0)
	buffer_load_dword v5, off, s[0:3], s33 offset:72 ; 4-byte Folded Reload
	buffer_load_dword v6, off, s[0:3], s33 offset:76 ; 4-byte Folded Reload
	;; [unrolled: 1-line block ×3, first 2 shown]
	s_waitcnt vmcnt(0)
	v_add_co_u32_e32 v5, vcc, v5, v1
	v_addc_co_u32_e32 v6, vcc, 0, v6, vcc
	buffer_store_dword v5, off, s[0:3], s33 offset:72 ; 4-byte Folded Spill
	s_nop 0
	buffer_store_dword v6, off, s[0:3], s33 offset:76 ; 4-byte Folded Spill
	v_cmp_lt_u64_e32 vcc, v[3:4], v[5:6]
	s_and_saveexec_b64 s[88:89], vcc
	s_cbranch_execz .LBB10_114
; %bb.106:                              ;   in Loop: Header=BB10_57 Depth=2
	s_mov_b32 s36, 0
	s_mov_b64 s[90:91], 0
                                        ; implicit-def: $sgpr92_sgpr93
                                        ; implicit-def: $sgpr94_sgpr95
	s_branch .LBB10_108
.LBB10_107:                             ;   in Loop: Header=BB10_108 Depth=3
	s_or_b64 exec, exec, s[34:35]
	s_and_b64 vcc, exec, vcc
	s_or_b64 s[90:91], vcc, s[90:91]
	s_andn2_b64 s[92:93], s[92:93], exec
	s_and_b64 vcc, s[94:95], exec
	s_or_b64 s[92:93], s[92:93], vcc
	s_andn2_b64 exec, exec, s[90:91]
	s_cbranch_execz .LBB10_112
.LBB10_108:                             ;   Parent Loop BB10_47 Depth=1
                                        ;     Parent Loop BB10_57 Depth=2
                                        ; =>    This Inner Loop Header: Depth=3
	s_add_i32 s36, s36, 1
	s_cmpk_lg_i32 s36, 0x2710
	s_cselect_b64 s[30:31], -1, 0
	s_and_b64 vcc, exec, s[30:31]
	s_cbranch_vccz .LBB10_110
; %bb.109:                              ;   in Loop: Header=BB10_108 Depth=3
	s_mov_b64 vcc, -1
	s_or_b64 s[94:95], s[94:95], exec
	s_and_saveexec_b64 s[34:35], s[30:31]
	s_cbranch_execz .LBB10_107
	s_branch .LBB10_111
.LBB10_110:                             ;   in Loop: Header=BB10_108 Depth=3
	s_trap 2
	ds_read_b64 v[3:4], v0
	s_andn2_b64 s[30:31], s[30:31], exec
	s_mov_b32 s36, 0
	s_waitcnt vmcnt(0) lgkmcnt(0)
	flat_load_dword v1, v[3:4] glc
	s_waitcnt vmcnt(0) lgkmcnt(0)
	buffer_wbinvl1_vol
	v_cmp_eq_u32_e32 vcc, 0, v1
	s_and_b64 vcc, vcc, exec
	s_or_b64 s[30:31], s[30:31], vcc
	s_mov_b64 vcc, -1
	s_or_b64 s[94:95], s[94:95], exec
	s_and_saveexec_b64 s[34:35], s[30:31]
	s_cbranch_execz .LBB10_107
.LBB10_111:                             ;   in Loop: Header=BB10_108 Depth=3
	s_sleep 1
	s_trap 2
	ds_read_b64 v[3:4], v0
	s_waitcnt lgkmcnt(0)
	buffer_load_dword v5, off, s[0:3], s33 offset:72 ; 4-byte Folded Reload
	buffer_load_dword v6, off, s[0:3], s33 offset:76 ; 4-byte Folded Reload
	s_andn2_b64 s[94:95], s[94:95], exec
	s_waitcnt vmcnt(0)
	v_cmp_ge_u64_e32 vcc, v[3:4], v[5:6]
	s_orn2_b64 vcc, vcc, exec
	s_branch .LBB10_107
.LBB10_112:                             ;   in Loop: Header=BB10_57 Depth=2
	s_or_b64 exec, exec, s[90:91]
	s_and_saveexec_b64 s[90:91], s[92:93]
	s_xor_b64 s[90:91], exec, s[90:91]
	s_cbranch_execz .LBB10_114
; %bb.113:                              ;   in Loop: Header=BB10_57 Depth=2
	v_mov_b32_e32 v1, 1
	ds_write_b32 v0, v1
	s_trap 2
.LBB10_114:                             ;   in Loop: Header=BB10_57 Depth=2
	s_or_b64 exec, exec, s[88:89]
	;;#ASMSTART
	s_wakeup
	;;#ASMEND
.LBB10_115:                             ;   in Loop: Header=BB10_57 Depth=2
	s_or_b64 exec, exec, s[78:79]
.LBB10_116:                             ;   in Loop: Header=BB10_57 Depth=2
	s_andn2_saveexec_b64 s[76:77], s[76:77]
	s_cbranch_execz .LBB10_118
; %bb.117:                              ;   in Loop: Header=BB10_57 Depth=2
	s_waitcnt vmcnt(0) lgkmcnt(0)
	buffer_wbinvl1_vol
	s_barrier
.LBB10_118:                             ;   in Loop: Header=BB10_57 Depth=2
	s_or_b64 exec, exec, s[76:77]
.LBB10_119:                             ;   in Loop: Header=BB10_57 Depth=2
	s_or_b64 exec, exec, s[26:27]
	s_trap 2
	s_waitcnt lgkmcnt(0)
	ds_read_b64 v[3:4], v0
	s_waitcnt lgkmcnt(0)
	buffer_store_dword v3, off, s[0:3], s33 offset:300 ; 4-byte Folded Spill
	s_nop 0
	buffer_store_dword v4, off, s[0:3], s33 offset:304 ; 4-byte Folded Spill
	v_cmp_eq_u64_e32 vcc, 0, v[3:4]
	s_cbranch_vccnz .LBB10_127
; %bb.120:                              ;   in Loop: Header=BB10_57 Depth=2
	s_trap 2
	ds_read_b64 v[3:4], v0
	s_waitcnt lgkmcnt(0)
	buffer_store_dword v3, off, s[0:3], s33 offset:308 ; 4-byte Folded Spill
	s_nop 0
	buffer_store_dword v4, off, s[0:3], s33 offset:312 ; 4-byte Folded Spill
	v_cmp_eq_u64_e32 vcc, 0, v[3:4]
	s_cbranch_vccnz .LBB10_127
; %bb.121:                              ;   in Loop: Header=BB10_57 Depth=2
	s_mov_b64 s[26:27], -1
	s_and_saveexec_b64 s[76:77], s[18:19]
	s_cbranch_execz .LBB10_123
; %bb.122:                              ;   in Loop: Header=BB10_57 Depth=2
	ds_read_b32 v1, v0 offset:720
	s_waitcnt lgkmcnt(0)
	v_and_b32_e32 v1, 15, v1
	v_cmp_eq_u32_e32 vcc, 0, v1
	s_orn2_b64 s[26:27], vcc, exec
.LBB10_123:                             ;   in Loop: Header=BB10_57 Depth=2
	s_or_b64 exec, exec, s[76:77]
	s_and_saveexec_b64 s[76:77], s[20:21]
	s_cbranch_execz .LBB10_125
; %bb.124:                              ;   in Loop: Header=BB10_57 Depth=2
	ds_read_b32 v1, v0 offset:784
	s_waitcnt lgkmcnt(0)
	v_and_b32_e32 v1, 15, v1
	v_cmp_eq_u32_e32 vcc, 0, v1
	s_and_b64 s[78:79], s[26:27], vcc
	s_andn2_b64 s[26:27], s[26:27], exec
	s_and_b64 s[78:79], s[78:79], exec
	s_or_b64 s[26:27], s[26:27], s[78:79]
.LBB10_125:                             ;   in Loop: Header=BB10_57 Depth=2
	s_or_b64 exec, exec, s[76:77]
	v_cmp_eq_u32_e32 vcc, 0, v0
	buffer_load_dword v0, off, s[0:3], s33 offset:292 ; 4-byte Folded Reload
	buffer_load_dword v1, off, s[0:3], s33 offset:296 ; 4-byte Folded Reload
	s_xor_b64 s[26:27], s[26:27], -1
	s_mov_b64 s[78:79], -1
	s_waitcnt vmcnt(1)
	v_cndmask_b32_e32 v0, 0, v0, vcc
	buffer_store_dword v0, off, s[0:3], s33 offset:352 ; 4-byte Folded Spill
	s_waitcnt vmcnt(1)
	v_lshlrev_b32_e32 v1, 1, v0
	v_cndmask_b32_e64 v0, 0, 1, s[26:27]
	v_cmp_ne_u32_e32 vcc, 0, v0
	v_mov_b32_e32 v0, 0
	buffer_store_dword v1, off, s[0:3], s33 offset:348 ; 4-byte Folded Spill
	s_cbranch_vccz .LBB10_133
; %bb.126:                              ;   in Loop: Header=BB10_57 Depth=2
	buffer_load_dword v1, off, s[0:3], s33 offset:180 ; 4-byte Folded Reload
	s_and_saveexec_b64 s[26:27], s[78:79]
	s_cbranch_execnz .LBB10_432
	s_branch .LBB10_508
.LBB10_127:                             ;   in Loop: Header=BB10_57 Depth=2
	s_mov_b64 s[26:27], 0
	s_and_saveexec_b64 s[76:77], s[10:11]
	s_cbranch_execnz .LBB10_509
.LBB10_128:                             ;   in Loop: Header=BB10_57 Depth=2
	s_or_b64 exec, exec, s[76:77]
                                        ; implicit-def: $vgpr0
	s_and_saveexec_b64 s[76:77], s[24:25]
	s_xor_b64 s[76:77], exec, s[76:77]
	s_cbranch_execz .LBB10_527
.LBB10_129:                             ;   in Loop: Header=BB10_57 Depth=2
	buffer_load_dword v1, off, s[0:3], s33 offset:68 ; 4-byte Folded Reload
	s_waitcnt vmcnt(0)
	v_and_b32_e32 v0, 16, v1
	v_and_b32_e32 v1, 16, v1
	v_cmp_ne_u32_e32 vcc, 0, v1
	s_and_b64 s[78:79], vcc, s[26:27]
	s_and_saveexec_b64 s[26:27], s[78:79]
	s_cbranch_execz .LBB10_131
; %bb.130:                              ;   in Loop: Header=BB10_57 Depth=2
	v_mov_b32_e32 v0, 1
	s_waitcnt lgkmcnt(0)
	buffer_wbinvl1_vol
.LBB10_131:                             ;   in Loop: Header=BB10_57 Depth=2
	s_or_b64 exec, exec, s[26:27]
	s_andn2_saveexec_b64 s[26:27], s[76:77]
	s_cbranch_execnz .LBB10_528
.LBB10_132:                             ;   in Loop: Header=BB10_57 Depth=2
	s_or_b64 exec, exec, s[26:27]
	v_cmp_ne_u32_e32 vcc, 0, v0
	s_and_saveexec_b64 s[26:27], vcc
	s_cbranch_execz .LBB10_56
	s_branch .LBB10_546
.LBB10_133:                             ;   in Loop: Header=BB10_57 Depth=2
	v_ashrrev_i32_e32 v0, 31, v1
	v_lshrrev_b32_e32 v0, 19, v0
	v_add_u32_e32 v0, v1, v0
	v_ashrrev_i32_e32 v1, 13, v0
	buffer_load_dword v0, off, s[0:3], s33 offset:216 ; 4-byte Folded Reload
	s_waitcnt vmcnt(0)
	v_sub_u32_e32 v24, v1, v0
	v_cmp_lt_i32_e32 vcc, 0, v24
	s_and_saveexec_b64 s[26:27], vcc
	s_cbranch_execz .LBB10_393
; %bb.134:                              ;   in Loop: Header=BB10_57 Depth=2
	buffer_store_dword v1, off, s[0:3], s33 offset:376 ; 4-byte Folded Spill
	s_trap 2
	ds_read_b32 v0, v0
	buffer_load_dword v22, off, s[0:3], s33 offset:308 ; 4-byte Folded Reload
	buffer_load_dword v23, off, s[0:3], s33 offset:312 ; 4-byte Folded Reload
	;; [unrolled: 1-line block ×5, first 2 shown]
	s_mov_b64 s[76:77], 0
	s_waitcnt lgkmcnt(0)
	v_lshlrev_b32_e32 v28, 16, v0
	s_branch .LBB10_136
.LBB10_135:                             ;   in Loop: Header=BB10_136 Depth=3
	s_or_b64 exec, exec, s[78:79]
	v_lshrrev_b32_e32 v0, 16, v0
	v_lshrrev_b32_e32 v13, 16, v47
	;; [unrolled: 1-line block ×4, first 2 shown]
	v_and_or_b32 v44, v34, s66, v0
	v_lshrrev_b32_e32 v0, 16, v39
	v_and_or_b32 v14, v56, s66, v13
	v_and_or_b32 v13, v46, s66, v15
	;; [unrolled: 1-line block ×3, first 2 shown]
	v_lshrrev_b32_e32 v0, 16, v51
	v_and_or_b32 v47, v40, s66, v0
	v_lshrrev_b32_e32 v0, 16, v52
	v_lshrrev_b32_e32 v15, 16, v57
	;; [unrolled: 1-line block ×3, first 2 shown]
	v_and_or_b32 v51, v12, s66, v0
	v_lshrrev_b32_e32 v0, 16, v55
	v_and_or_b32 v15, v58, s66, v15
	v_and_or_b32 v58, v18, s66, v29
	v_lshrrev_b32_e32 v18, 16, v19
	v_and_or_b32 v52, v53, s66, v0
	v_lshrrev_b32_e32 v0, 16, v20
	v_lshrrev_b32_e32 v16, 16, v59
	v_and_or_b32 v59, v30, s66, v18
	v_lshrrev_b32_e32 v18, 16, v35
	v_and_or_b32 v53, v21, s66, v0
	;; [unrolled: 2-line block ×3, first 2 shown]
	v_and_or_b32 v18, v54, s66, v0
	v_lshrrev_b32_e32 v0, 16, v17
	v_and_or_b32 v17, v5, s66, v0
	v_lshrrev_b32_e32 v0, 16, v1
	;; [unrolled: 2-line block ×3, first 2 shown]
	v_and_or_b32 v20, v37, s66, v0
	buffer_load_dword v0, off, s[0:3], s33 offset:268 ; 4-byte Folded Reload
	buffer_load_dword v1, off, s[0:3], s33 offset:272 ; 4-byte Folded Reload
	v_lshrrev_b32_e32 v6, 16, v6
	v_lshrrev_b32_e32 v3, 16, v3
	v_and_or_b32 v50, v7, s66, v6
	v_and_or_b32 v4, v4, s66, v3
	v_lshrrev_b32_e32 v3, 16, v61
	v_lshrrev_b32_e32 v41, 16, v41
	;; [unrolled: 1-line block ×3, first 2 shown]
	v_and_or_b32 v6, v10, s66, v3
	v_lshrrev_b32_e32 v3, 16, v25
	v_and_or_b32 v16, v60, s66, v16
	v_and_or_b32 v57, v62, s66, v31
	;; [unrolled: 1-line block ×5, first 2 shown]
	buffer_load_dword v12, off, s[0:3], s33 offset:320 ; 4-byte Folded Reload
	s_waitcnt vmcnt(2)
	v_lshrrev_b32_e32 v0, 16, v0
	s_waitcnt vmcnt(1)
	v_and_or_b32 v34, v1, s66, v0
	buffer_load_dword v0, off, s[0:3], s33 offset:256 ; 4-byte Folded Reload
	buffer_load_dword v1, off, s[0:3], s33 offset:260 ; 4-byte Folded Reload
	s_waitcnt vmcnt(1)
	v_lshrrev_b32_e32 v0, 16, v0
	s_waitcnt vmcnt(0)
	v_and_or_b32 v33, v1, s66, v0
	buffer_load_dword v0, off, s[0:3], s33 offset:276 ; 4-byte Folded Reload
	;; [unrolled: 6-line block ×7, first 2 shown]
	buffer_load_dword v1, off, s[0:3], s33 offset:248 ; 4-byte Folded Reload
	s_waitcnt vmcnt(1)
	v_lshrrev_b32_e32 v0, 16, v0
	s_waitcnt vmcnt(0)
	v_and_or_b32 v40, v1, s66, v0
	v_add_co_u32_e32 v0, vcc, v12, v22
	v_addc_co_u32_e32 v1, vcc, 0, v23, vcc
	global_store_dwordx4 v[0:1], v[37:40], off glc slc
	global_store_dwordx4 v[0:1], v[33:36], off offset:1024 glc slc
	global_store_dwordx4 v[0:1], v[17:20], off offset:2048 glc slc
	;; [unrolled: 1-line block ×3, first 2 shown]
	v_add_co_u32_e32 v0, vcc, s67, v0
	v_addc_co_u32_e32 v1, vcc, 0, v1, vcc
	global_store_dwordx4 v[0:1], v[44:47], off glc slc
	global_store_dwordx4 v[0:1], v[56:59], off offset:1024 glc slc
	global_store_dwordx4 v[0:1], v[13:16], off offset:2048 glc slc
	;; [unrolled: 1-line block ×3, first 2 shown]
	buffer_load_dword v0, off, s[0:3], s33 offset:88 ; 4-byte Folded Reload
	s_waitcnt vmcnt(0)
	v_sub_u32_e32 v24, v24, v0
	buffer_load_dword v0, off, s[0:3], s33 offset:324 ; 4-byte Folded Reload
	s_waitcnt vmcnt(0)
	v_add_co_u32_e32 v26, vcc, v26, v0
	v_addc_co_u32_e32 v27, vcc, 0, v27, vcc
	v_cmp_gt_i32_e32 vcc, 1, v24
	s_or_b64 s[76:77], vcc, s[76:77]
	v_add_co_u32_e32 v22, vcc, v22, v0
	v_addc_co_u32_e32 v23, vcc, 0, v23, vcc
	s_andn2_b64 exec, exec, s[76:77]
	s_cbranch_execz .LBB10_392
.LBB10_136:                             ;   Parent Loop BB10_47 Depth=1
                                        ;     Parent Loop BB10_57 Depth=2
                                        ; =>    This Inner Loop Header: Depth=3
	s_waitcnt vmcnt(0)
	v_add_co_u32_e32 v3, vcc, v12, v26
	v_addc_co_u32_e32 v4, vcc, 0, v27, vcc
	global_load_dwordx4 v[8:11], v[3:4], off glc slc
	s_waitcnt vmcnt(0)
	v_lshlrev_b32_e32 v0, 16, v8
	v_mul_f32_e32 v0, v28, v0
	v_and_b32_e32 v1, 0x7f800000, v0
	v_cmp_ne_u32_e32 vcc, s64, v1
                                        ; implicit-def: $vgpr1
                                        ; kill: killed $vgpr1
	s_and_saveexec_b64 s[78:79], vcc
	s_xor_b64 s[78:79], exec, s[78:79]
	s_cbranch_execz .LBB10_138
; %bb.137:                              ;   in Loop: Header=BB10_136 Depth=3
	v_bfe_u32 v1, v0, 16, 1
	v_add3_u32 v0, v0, v1, s65
	buffer_store_dword v0, off, s[0:3], s33 offset:184 ; 4-byte Folded Spill
                                        ; implicit-def: $vgpr0
.LBB10_138:                             ;   in Loop: Header=BB10_136 Depth=3
	s_andn2_saveexec_b64 s[78:79], s[78:79]
	s_cbranch_execz .LBB10_140
; %bb.139:                              ;   in Loop: Header=BB10_136 Depth=3
	v_or_b32_e32 v1, 0x10000, v0
	v_cmp_eq_u32_sdwa vcc, v0, v2 src0_sel:WORD_0 src1_sel:DWORD
	v_cndmask_b32_e32 v0, v1, v0, vcc
	buffer_store_dword v0, off, s[0:3], s33 offset:184 ; 4-byte Folded Spill
.LBB10_140:                             ;   in Loop: Header=BB10_136 Depth=3
	s_or_b64 exec, exec, s[78:79]
	v_and_b32_e32 v0, 0xffff0000, v8
	v_mul_f32_e32 v0, v28, v0
	v_and_b32_e32 v1, 0x7f800000, v0
	v_cmp_ne_u32_e32 vcc, s64, v1
                                        ; implicit-def: $vgpr1
                                        ; kill: killed $vgpr1
	s_and_saveexec_b64 s[78:79], vcc
	s_xor_b64 s[78:79], exec, s[78:79]
	s_cbranch_execz .LBB10_142
; %bb.141:                              ;   in Loop: Header=BB10_136 Depth=3
	v_bfe_u32 v1, v0, 16, 1
	v_add3_u32 v0, v0, v1, s65
	buffer_store_dword v0, off, s[0:3], s33 offset:200 ; 4-byte Folded Spill
                                        ; implicit-def: $vgpr0
.LBB10_142:                             ;   in Loop: Header=BB10_136 Depth=3
	s_andn2_saveexec_b64 s[78:79], s[78:79]
	s_cbranch_execz .LBB10_144
; %bb.143:                              ;   in Loop: Header=BB10_136 Depth=3
	v_or_b32_e32 v1, 0x10000, v0
	v_cmp_eq_u32_sdwa vcc, v0, v2 src0_sel:WORD_0 src1_sel:DWORD
	v_cndmask_b32_e32 v0, v1, v0, vcc
	buffer_store_dword v0, off, s[0:3], s33 offset:200 ; 4-byte Folded Spill
.LBB10_144:                             ;   in Loop: Header=BB10_136 Depth=3
	s_or_b64 exec, exec, s[78:79]
	v_lshlrev_b32_e32 v0, 16, v9
	v_mul_f32_e32 v0, v28, v0
	v_and_b32_e32 v1, 0x7f800000, v0
	v_cmp_ne_u32_e32 vcc, s64, v1
                                        ; implicit-def: $vgpr1
                                        ; kill: killed $vgpr1
	s_and_saveexec_b64 s[78:79], vcc
	s_xor_b64 s[78:79], exec, s[78:79]
	s_cbranch_execz .LBB10_146
; %bb.145:                              ;   in Loop: Header=BB10_136 Depth=3
	v_bfe_u32 v1, v0, 16, 1
	v_add3_u32 v0, v0, v1, s65
	buffer_store_dword v0, off, s[0:3], s33 offset:208 ; 4-byte Folded Spill
                                        ; implicit-def: $vgpr0
.LBB10_146:                             ;   in Loop: Header=BB10_136 Depth=3
	s_andn2_saveexec_b64 s[78:79], s[78:79]
	s_cbranch_execz .LBB10_148
; %bb.147:                              ;   in Loop: Header=BB10_136 Depth=3
	v_or_b32_e32 v1, 0x10000, v0
	v_cmp_eq_u32_sdwa vcc, v0, v2 src0_sel:WORD_0 src1_sel:DWORD
	v_cndmask_b32_e32 v0, v1, v0, vcc
	buffer_store_dword v0, off, s[0:3], s33 offset:208 ; 4-byte Folded Spill
.LBB10_148:                             ;   in Loop: Header=BB10_136 Depth=3
	s_or_b64 exec, exec, s[78:79]
	v_and_b32_e32 v0, 0xffff0000, v9
	v_mul_f32_e32 v0, v28, v0
	v_and_b32_e32 v1, 0x7f800000, v0
	v_cmp_ne_u32_e32 vcc, s64, v1
                                        ; implicit-def: $vgpr1
                                        ; kill: killed $vgpr1
	s_and_saveexec_b64 s[78:79], vcc
	s_xor_b64 s[78:79], exec, s[78:79]
	s_cbranch_execz .LBB10_150
; %bb.149:                              ;   in Loop: Header=BB10_136 Depth=3
	v_bfe_u32 v1, v0, 16, 1
	v_add3_u32 v0, v0, v1, s65
	buffer_store_dword v0, off, s[0:3], s33 offset:220 ; 4-byte Folded Spill
                                        ; implicit-def: $vgpr0
.LBB10_150:                             ;   in Loop: Header=BB10_136 Depth=3
	s_andn2_saveexec_b64 s[78:79], s[78:79]
	s_cbranch_execz .LBB10_152
; %bb.151:                              ;   in Loop: Header=BB10_136 Depth=3
	v_or_b32_e32 v1, 0x10000, v0
	v_cmp_eq_u32_sdwa vcc, v0, v2 src0_sel:WORD_0 src1_sel:DWORD
	v_cndmask_b32_e32 v0, v1, v0, vcc
	buffer_store_dword v0, off, s[0:3], s33 offset:220 ; 4-byte Folded Spill
.LBB10_152:                             ;   in Loop: Header=BB10_136 Depth=3
	s_or_b64 exec, exec, s[78:79]
	;; [unrolled: 48-line block ×4, first 2 shown]
	global_load_dwordx4 v[8:11], v[3:4], off offset:1024 glc slc
	s_waitcnt vmcnt(0)
	v_lshlrev_b32_e32 v0, 16, v8
	v_mul_f32_e32 v0, v28, v0
	v_and_b32_e32 v1, 0x7f800000, v0
	v_cmp_ne_u32_e32 vcc, s64, v1
                                        ; implicit-def: $vgpr1
                                        ; kill: killed $vgpr1
	s_and_saveexec_b64 s[78:79], vcc
	s_xor_b64 s[78:79], exec, s[78:79]
	s_cbranch_execz .LBB10_170
; %bb.169:                              ;   in Loop: Header=BB10_136 Depth=3
	v_bfe_u32 v1, v0, 16, 1
	v_add3_u32 v0, v0, v1, s65
	buffer_store_dword v0, off, s[0:3], s33 offset:256 ; 4-byte Folded Spill
                                        ; implicit-def: $vgpr0
.LBB10_170:                             ;   in Loop: Header=BB10_136 Depth=3
	s_andn2_saveexec_b64 s[78:79], s[78:79]
	s_cbranch_execz .LBB10_172
; %bb.171:                              ;   in Loop: Header=BB10_136 Depth=3
	v_or_b32_e32 v1, 0x10000, v0
	v_cmp_eq_u32_sdwa vcc, v0, v2 src0_sel:WORD_0 src1_sel:DWORD
	v_cndmask_b32_e32 v0, v1, v0, vcc
	buffer_store_dword v0, off, s[0:3], s33 offset:256 ; 4-byte Folded Spill
.LBB10_172:                             ;   in Loop: Header=BB10_136 Depth=3
	s_or_b64 exec, exec, s[78:79]
	v_and_b32_e32 v0, 0xffff0000, v8
	v_mul_f32_e32 v0, v28, v0
	v_and_b32_e32 v1, 0x7f800000, v0
	v_cmp_ne_u32_e32 vcc, s64, v1
                                        ; implicit-def: $vgpr1
                                        ; kill: killed $vgpr1
	s_and_saveexec_b64 s[78:79], vcc
	s_xor_b64 s[78:79], exec, s[78:79]
	s_cbranch_execz .LBB10_174
; %bb.173:                              ;   in Loop: Header=BB10_136 Depth=3
	v_bfe_u32 v1, v0, 16, 1
	v_add3_u32 v0, v0, v1, s65
	buffer_store_dword v0, off, s[0:3], s33 offset:260 ; 4-byte Folded Spill
                                        ; implicit-def: $vgpr0
.LBB10_174:                             ;   in Loop: Header=BB10_136 Depth=3
	s_andn2_saveexec_b64 s[78:79], s[78:79]
	s_cbranch_execz .LBB10_176
; %bb.175:                              ;   in Loop: Header=BB10_136 Depth=3
	v_or_b32_e32 v1, 0x10000, v0
	v_cmp_eq_u32_sdwa vcc, v0, v2 src0_sel:WORD_0 src1_sel:DWORD
	v_cndmask_b32_e32 v0, v1, v0, vcc
	buffer_store_dword v0, off, s[0:3], s33 offset:260 ; 4-byte Folded Spill
.LBB10_176:                             ;   in Loop: Header=BB10_136 Depth=3
	s_or_b64 exec, exec, s[78:79]
	v_lshlrev_b32_e32 v0, 16, v9
	v_mul_f32_e32 v0, v28, v0
	v_and_b32_e32 v1, 0x7f800000, v0
	v_cmp_ne_u32_e32 vcc, s64, v1
                                        ; implicit-def: $vgpr1
                                        ; kill: killed $vgpr1
	s_and_saveexec_b64 s[78:79], vcc
	s_xor_b64 s[78:79], exec, s[78:79]
	s_cbranch_execz .LBB10_178
; %bb.177:                              ;   in Loop: Header=BB10_136 Depth=3
	v_bfe_u32 v1, v0, 16, 1
	v_add3_u32 v0, v0, v1, s65
	buffer_store_dword v0, off, s[0:3], s33 offset:268 ; 4-byte Folded Spill
                                        ; implicit-def: $vgpr0
.LBB10_178:                             ;   in Loop: Header=BB10_136 Depth=3
	s_andn2_saveexec_b64 s[78:79], s[78:79]
	s_cbranch_execz .LBB10_180
; %bb.179:                              ;   in Loop: Header=BB10_136 Depth=3
	v_or_b32_e32 v1, 0x10000, v0
	v_cmp_eq_u32_sdwa vcc, v0, v2 src0_sel:WORD_0 src1_sel:DWORD
	v_cndmask_b32_e32 v0, v1, v0, vcc
	buffer_store_dword v0, off, s[0:3], s33 offset:268 ; 4-byte Folded Spill
.LBB10_180:                             ;   in Loop: Header=BB10_136 Depth=3
	s_or_b64 exec, exec, s[78:79]
	v_and_b32_e32 v0, 0xffff0000, v9
	v_mul_f32_e32 v0, v28, v0
	v_and_b32_e32 v1, 0x7f800000, v0
	v_cmp_ne_u32_e32 vcc, s64, v1
                                        ; implicit-def: $vgpr1
                                        ; kill: killed $vgpr1
	s_and_saveexec_b64 s[78:79], vcc
	s_xor_b64 s[78:79], exec, s[78:79]
	s_cbranch_execz .LBB10_182
; %bb.181:                              ;   in Loop: Header=BB10_136 Depth=3
	v_bfe_u32 v1, v0, 16, 1
	v_add3_u32 v0, v0, v1, s65
	buffer_store_dword v0, off, s[0:3], s33 offset:272 ; 4-byte Folded Spill
                                        ; implicit-def: $vgpr0
.LBB10_182:                             ;   in Loop: Header=BB10_136 Depth=3
	s_andn2_saveexec_b64 s[78:79], s[78:79]
	s_cbranch_execz .LBB10_184
; %bb.183:                              ;   in Loop: Header=BB10_136 Depth=3
	v_or_b32_e32 v1, 0x10000, v0
	v_cmp_eq_u32_sdwa vcc, v0, v2 src0_sel:WORD_0 src1_sel:DWORD
	v_cndmask_b32_e32 v0, v1, v0, vcc
	buffer_store_dword v0, off, s[0:3], s33 offset:272 ; 4-byte Folded Spill
.LBB10_184:                             ;   in Loop: Header=BB10_136 Depth=3
	s_or_b64 exec, exec, s[78:79]
	;; [unrolled: 48-line block ×4, first 2 shown]
	global_load_dwordx4 v[8:11], v[3:4], off offset:2048 glc slc
                                        ; implicit-def: $vgpr17
	s_waitcnt vmcnt(0)
	v_lshlrev_b32_e32 v0, 16, v8
	v_mul_f32_e32 v0, v28, v0
	v_and_b32_e32 v1, 0x7f800000, v0
	v_cmp_ne_u32_e32 vcc, s64, v1
	s_and_saveexec_b64 s[78:79], vcc
	s_xor_b64 s[78:79], exec, s[78:79]
; %bb.201:                              ;   in Loop: Header=BB10_136 Depth=3
	v_bfe_u32 v1, v0, 16, 1
	v_add3_u32 v17, v0, v1, s65
                                        ; implicit-def: $vgpr0
; %bb.202:                              ;   in Loop: Header=BB10_136 Depth=3
	s_andn2_saveexec_b64 s[78:79], s[78:79]
; %bb.203:                              ;   in Loop: Header=BB10_136 Depth=3
	v_or_b32_e32 v1, 0x10000, v0
	v_cmp_eq_u32_sdwa vcc, v0, v2 src0_sel:WORD_0 src1_sel:DWORD
	v_cndmask_b32_e32 v17, v1, v0, vcc
; %bb.204:                              ;   in Loop: Header=BB10_136 Depth=3
	s_or_b64 exec, exec, s[78:79]
	v_and_b32_e32 v0, 0xffff0000, v8
	v_mul_f32_e32 v0, v28, v0
	v_and_b32_e32 v1, 0x7f800000, v0
	v_cmp_ne_u32_e32 vcc, s64, v1
                                        ; implicit-def: $vgpr5
	s_and_saveexec_b64 s[78:79], vcc
	s_xor_b64 s[78:79], exec, s[78:79]
; %bb.205:                              ;   in Loop: Header=BB10_136 Depth=3
	v_bfe_u32 v1, v0, 16, 1
	v_add3_u32 v5, v0, v1, s65
                                        ; implicit-def: $vgpr0
; %bb.206:                              ;   in Loop: Header=BB10_136 Depth=3
	s_andn2_saveexec_b64 s[78:79], s[78:79]
; %bb.207:                              ;   in Loop: Header=BB10_136 Depth=3
	v_or_b32_e32 v1, 0x10000, v0
	v_cmp_eq_u32_sdwa vcc, v0, v2 src0_sel:WORD_0 src1_sel:DWORD
	v_cndmask_b32_e32 v5, v1, v0, vcc
; %bb.208:                              ;   in Loop: Header=BB10_136 Depth=3
	s_or_b64 exec, exec, s[78:79]
	v_lshlrev_b32_e32 v0, 16, v9
	v_mul_f32_e32 v0, v28, v0
	v_and_b32_e32 v1, 0x7f800000, v0
	v_cmp_ne_u32_e32 vcc, s64, v1
                                        ; implicit-def: $vgpr33
	s_and_saveexec_b64 s[78:79], vcc
	s_xor_b64 s[78:79], exec, s[78:79]
; %bb.209:                              ;   in Loop: Header=BB10_136 Depth=3
	v_bfe_u32 v1, v0, 16, 1
	v_add3_u32 v33, v0, v1, s65
                                        ; implicit-def: $vgpr0
; %bb.210:                              ;   in Loop: Header=BB10_136 Depth=3
	s_andn2_saveexec_b64 s[78:79], s[78:79]
; %bb.211:                              ;   in Loop: Header=BB10_136 Depth=3
	v_or_b32_e32 v1, 0x10000, v0
	v_cmp_eq_u32_sdwa vcc, v0, v2 src0_sel:WORD_0 src1_sel:DWORD
	v_cndmask_b32_e32 v33, v1, v0, vcc
; %bb.212:                              ;   in Loop: Header=BB10_136 Depth=3
	s_or_b64 exec, exec, s[78:79]
	v_and_b32_e32 v0, 0xffff0000, v9
	v_mul_f32_e32 v0, v28, v0
	v_and_b32_e32 v1, 0x7f800000, v0
	v_cmp_ne_u32_e32 vcc, s64, v1
                                        ; implicit-def: $vgpr54
	s_and_saveexec_b64 s[78:79], vcc
	s_xor_b64 s[78:79], exec, s[78:79]
; %bb.213:                              ;   in Loop: Header=BB10_136 Depth=3
	v_bfe_u32 v1, v0, 16, 1
	v_add3_u32 v54, v0, v1, s65
                                        ; implicit-def: $vgpr0
; %bb.214:                              ;   in Loop: Header=BB10_136 Depth=3
	s_andn2_saveexec_b64 s[78:79], s[78:79]
; %bb.215:                              ;   in Loop: Header=BB10_136 Depth=3
	v_or_b32_e32 v1, 0x10000, v0
	v_cmp_eq_u32_sdwa vcc, v0, v2 src0_sel:WORD_0 src1_sel:DWORD
	v_cndmask_b32_e32 v54, v1, v0, vcc
; %bb.216:                              ;   in Loop: Header=BB10_136 Depth=3
	s_or_b64 exec, exec, s[78:79]
	v_lshlrev_b32_e32 v0, 16, v10
	v_mul_f32_e32 v0, v28, v0
	v_and_b32_e32 v1, 0x7f800000, v0
	v_cmp_ne_u32_e32 vcc, s64, v1
                                        ; implicit-def: $vgpr1
	s_and_saveexec_b64 s[78:79], vcc
	s_xor_b64 s[78:79], exec, s[78:79]
; %bb.217:                              ;   in Loop: Header=BB10_136 Depth=3
	v_bfe_u32 v1, v0, 16, 1
	v_add3_u32 v1, v0, v1, s65
                                        ; implicit-def: $vgpr0
; %bb.218:                              ;   in Loop: Header=BB10_136 Depth=3
	s_andn2_saveexec_b64 s[78:79], s[78:79]
; %bb.219:                              ;   in Loop: Header=BB10_136 Depth=3
	v_or_b32_e32 v1, 0x10000, v0
	v_cmp_eq_u32_sdwa vcc, v0, v2 src0_sel:WORD_0 src1_sel:DWORD
	v_cndmask_b32_e32 v1, v1, v0, vcc
; %bb.220:                              ;   in Loop: Header=BB10_136 Depth=3
	s_or_b64 exec, exec, s[78:79]
	v_and_b32_e32 v0, 0xffff0000, v10
	v_mul_f32_e32 v0, v28, v0
	v_and_b32_e32 v6, 0x7f800000, v0
	v_cmp_ne_u32_e32 vcc, s64, v6
                                        ; implicit-def: $vgpr43
	s_and_saveexec_b64 s[78:79], vcc
	s_xor_b64 s[78:79], exec, s[78:79]
; %bb.221:                              ;   in Loop: Header=BB10_136 Depth=3
	v_bfe_u32 v6, v0, 16, 1
	v_add3_u32 v43, v0, v6, s65
                                        ; implicit-def: $vgpr0
; %bb.222:                              ;   in Loop: Header=BB10_136 Depth=3
	s_andn2_saveexec_b64 s[78:79], s[78:79]
; %bb.223:                              ;   in Loop: Header=BB10_136 Depth=3
	v_or_b32_e32 v6, 0x10000, v0
	v_cmp_eq_u32_sdwa vcc, v0, v2 src0_sel:WORD_0 src1_sel:DWORD
	v_cndmask_b32_e32 v43, v6, v0, vcc
; %bb.224:                              ;   in Loop: Header=BB10_136 Depth=3
	s_or_b64 exec, exec, s[78:79]
	v_lshlrev_b32_e32 v0, 16, v11
	v_mul_f32_e32 v0, v28, v0
	v_and_b32_e32 v6, 0x7f800000, v0
	v_cmp_ne_u32_e32 vcc, s64, v6
                                        ; implicit-def: $vgpr36
	s_and_saveexec_b64 s[78:79], vcc
	s_xor_b64 s[78:79], exec, s[78:79]
; %bb.225:                              ;   in Loop: Header=BB10_136 Depth=3
	v_bfe_u32 v6, v0, 16, 1
	v_add3_u32 v36, v0, v6, s65
                                        ; implicit-def: $vgpr0
; %bb.226:                              ;   in Loop: Header=BB10_136 Depth=3
	s_andn2_saveexec_b64 s[78:79], s[78:79]
; %bb.227:                              ;   in Loop: Header=BB10_136 Depth=3
	v_or_b32_e32 v6, 0x10000, v0
	v_cmp_eq_u32_sdwa vcc, v0, v2 src0_sel:WORD_0 src1_sel:DWORD
	v_cndmask_b32_e32 v36, v6, v0, vcc
; %bb.228:                              ;   in Loop: Header=BB10_136 Depth=3
	s_or_b64 exec, exec, s[78:79]
	v_and_b32_e32 v0, 0xffff0000, v11
	v_mul_f32_e32 v0, v28, v0
	v_and_b32_e32 v6, 0x7f800000, v0
	v_cmp_ne_u32_e32 vcc, s64, v6
                                        ; implicit-def: $vgpr37
	s_and_saveexec_b64 s[78:79], vcc
	s_xor_b64 s[78:79], exec, s[78:79]
; %bb.229:                              ;   in Loop: Header=BB10_136 Depth=3
	v_bfe_u32 v6, v0, 16, 1
	v_add3_u32 v37, v0, v6, s65
                                        ; implicit-def: $vgpr0
; %bb.230:                              ;   in Loop: Header=BB10_136 Depth=3
	s_andn2_saveexec_b64 s[78:79], s[78:79]
; %bb.231:                              ;   in Loop: Header=BB10_136 Depth=3
	v_or_b32_e32 v6, 0x10000, v0
	v_cmp_eq_u32_sdwa vcc, v0, v2 src0_sel:WORD_0 src1_sel:DWORD
	v_cndmask_b32_e32 v37, v6, v0, vcc
; %bb.232:                              ;   in Loop: Header=BB10_136 Depth=3
	s_or_b64 exec, exec, s[78:79]
	global_load_dwordx4 v[8:11], v[3:4], off offset:3072 glc slc
	s_waitcnt vmcnt(0)
	v_lshlrev_b32_e32 v0, 16, v8
	v_mul_f32_e32 v0, v28, v0
	v_and_b32_e32 v6, 0x7f800000, v0
	v_cmp_ne_u32_e32 vcc, s64, v6
                                        ; implicit-def: $vgpr6
	s_and_saveexec_b64 s[78:79], vcc
	s_xor_b64 s[78:79], exec, s[78:79]
; %bb.233:                              ;   in Loop: Header=BB10_136 Depth=3
	v_bfe_u32 v6, v0, 16, 1
	v_add3_u32 v6, v0, v6, s65
                                        ; implicit-def: $vgpr0
; %bb.234:                              ;   in Loop: Header=BB10_136 Depth=3
	s_andn2_saveexec_b64 s[78:79], s[78:79]
; %bb.235:                              ;   in Loop: Header=BB10_136 Depth=3
	v_or_b32_e32 v6, 0x10000, v0
	v_cmp_eq_u32_sdwa vcc, v0, v2 src0_sel:WORD_0 src1_sel:DWORD
	v_cndmask_b32_e32 v6, v6, v0, vcc
; %bb.236:                              ;   in Loop: Header=BB10_136 Depth=3
	s_or_b64 exec, exec, s[78:79]
	v_and_b32_e32 v0, 0xffff0000, v8
	v_mul_f32_e32 v0, v28, v0
	v_and_b32_e32 v7, 0x7f800000, v0
	v_cmp_ne_u32_e32 vcc, s64, v7
                                        ; implicit-def: $vgpr7
	s_and_saveexec_b64 s[78:79], vcc
	s_xor_b64 s[78:79], exec, s[78:79]
; %bb.237:                              ;   in Loop: Header=BB10_136 Depth=3
	v_bfe_u32 v7, v0, 16, 1
	v_add3_u32 v7, v0, v7, s65
                                        ; implicit-def: $vgpr0
; %bb.238:                              ;   in Loop: Header=BB10_136 Depth=3
	s_andn2_saveexec_b64 s[78:79], s[78:79]
; %bb.239:                              ;   in Loop: Header=BB10_136 Depth=3
	v_or_b32_e32 v7, 0x10000, v0
	v_cmp_eq_u32_sdwa vcc, v0, v2 src0_sel:WORD_0 src1_sel:DWORD
	v_cndmask_b32_e32 v7, v7, v0, vcc
; %bb.240:                              ;   in Loop: Header=BB10_136 Depth=3
	s_or_b64 exec, exec, s[78:79]
	v_lshlrev_b32_e32 v0, 16, v9
	v_mul_f32_e32 v0, v28, v0
	v_and_b32_e32 v8, 0x7f800000, v0
	v_cmp_ne_u32_e32 vcc, s64, v8
                                        ; implicit-def: $vgpr52
	s_and_saveexec_b64 s[78:79], vcc
	s_xor_b64 s[78:79], exec, s[78:79]
; %bb.241:                              ;   in Loop: Header=BB10_136 Depth=3
	v_bfe_u32 v8, v0, 16, 1
	v_add3_u32 v52, v0, v8, s65
                                        ; implicit-def: $vgpr0
; %bb.242:                              ;   in Loop: Header=BB10_136 Depth=3
	s_andn2_saveexec_b64 s[78:79], s[78:79]
; %bb.243:                              ;   in Loop: Header=BB10_136 Depth=3
	v_or_b32_e32 v8, 0x10000, v0
	v_cmp_eq_u32_sdwa vcc, v0, v2 src0_sel:WORD_0 src1_sel:DWORD
	v_cndmask_b32_e32 v52, v8, v0, vcc
; %bb.244:                              ;   in Loop: Header=BB10_136 Depth=3
	s_or_b64 exec, exec, s[78:79]
	v_and_b32_e32 v0, 0xffff0000, v9
	v_mul_f32_e32 v0, v28, v0
	v_and_b32_e32 v8, 0x7f800000, v0
	v_cmp_ne_u32_e32 vcc, s64, v8
                                        ; implicit-def: $vgpr12
	s_and_saveexec_b64 s[78:79], vcc
	s_xor_b64 s[78:79], exec, s[78:79]
; %bb.245:                              ;   in Loop: Header=BB10_136 Depth=3
	v_bfe_u32 v8, v0, 16, 1
	v_add3_u32 v12, v0, v8, s65
                                        ; implicit-def: $vgpr0
; %bb.246:                              ;   in Loop: Header=BB10_136 Depth=3
	s_andn2_saveexec_b64 s[78:79], s[78:79]
; %bb.247:                              ;   in Loop: Header=BB10_136 Depth=3
	v_or_b32_e32 v8, 0x10000, v0
	v_cmp_eq_u32_sdwa vcc, v0, v2 src0_sel:WORD_0 src1_sel:DWORD
	v_cndmask_b32_e32 v12, v8, v0, vcc
; %bb.248:                              ;   in Loop: Header=BB10_136 Depth=3
	s_or_b64 exec, exec, s[78:79]
	v_lshlrev_b32_e32 v0, 16, v10
	v_mul_f32_e32 v0, v28, v0
	v_and_b32_e32 v8, 0x7f800000, v0
	v_cmp_ne_u32_e32 vcc, s64, v8
                                        ; implicit-def: $vgpr55
	s_and_saveexec_b64 s[78:79], vcc
	s_xor_b64 s[78:79], exec, s[78:79]
; %bb.249:                              ;   in Loop: Header=BB10_136 Depth=3
	v_bfe_u32 v8, v0, 16, 1
	v_add3_u32 v55, v0, v8, s65
                                        ; implicit-def: $vgpr0
; %bb.250:                              ;   in Loop: Header=BB10_136 Depth=3
	s_andn2_saveexec_b64 s[78:79], s[78:79]
; %bb.251:                              ;   in Loop: Header=BB10_136 Depth=3
	v_or_b32_e32 v8, 0x10000, v0
	v_cmp_eq_u32_sdwa vcc, v0, v2 src0_sel:WORD_0 src1_sel:DWORD
	v_cndmask_b32_e32 v55, v8, v0, vcc
; %bb.252:                              ;   in Loop: Header=BB10_136 Depth=3
	s_or_b64 exec, exec, s[78:79]
	v_and_b32_e32 v0, 0xffff0000, v10
	v_mul_f32_e32 v0, v28, v0
	v_and_b32_e32 v8, 0x7f800000, v0
	v_cmp_ne_u32_e32 vcc, s64, v8
                                        ; implicit-def: $vgpr53
	s_and_saveexec_b64 s[78:79], vcc
	s_xor_b64 s[78:79], exec, s[78:79]
; %bb.253:                              ;   in Loop: Header=BB10_136 Depth=3
	v_bfe_u32 v8, v0, 16, 1
	v_add3_u32 v53, v0, v8, s65
                                        ; implicit-def: $vgpr0
; %bb.254:                              ;   in Loop: Header=BB10_136 Depth=3
	s_andn2_saveexec_b64 s[78:79], s[78:79]
; %bb.255:                              ;   in Loop: Header=BB10_136 Depth=3
	v_or_b32_e32 v8, 0x10000, v0
	v_cmp_eq_u32_sdwa vcc, v0, v2 src0_sel:WORD_0 src1_sel:DWORD
	v_cndmask_b32_e32 v53, v8, v0, vcc
; %bb.256:                              ;   in Loop: Header=BB10_136 Depth=3
	s_or_b64 exec, exec, s[78:79]
	v_lshlrev_b32_e32 v0, 16, v11
	v_mul_f32_e32 v0, v28, v0
	v_and_b32_e32 v8, 0x7f800000, v0
	v_cmp_ne_u32_e32 vcc, s64, v8
                                        ; implicit-def: $vgpr20
	s_and_saveexec_b64 s[78:79], vcc
	s_xor_b64 s[78:79], exec, s[78:79]
; %bb.257:                              ;   in Loop: Header=BB10_136 Depth=3
	v_bfe_u32 v8, v0, 16, 1
	v_add3_u32 v20, v0, v8, s65
                                        ; implicit-def: $vgpr0
; %bb.258:                              ;   in Loop: Header=BB10_136 Depth=3
	s_andn2_saveexec_b64 s[78:79], s[78:79]
; %bb.259:                              ;   in Loop: Header=BB10_136 Depth=3
	v_or_b32_e32 v8, 0x10000, v0
	v_cmp_eq_u32_sdwa vcc, v0, v2 src0_sel:WORD_0 src1_sel:DWORD
	v_cndmask_b32_e32 v20, v8, v0, vcc
; %bb.260:                              ;   in Loop: Header=BB10_136 Depth=3
	s_or_b64 exec, exec, s[78:79]
	v_and_b32_e32 v0, 0xffff0000, v11
	v_mul_f32_e32 v0, v28, v0
	v_and_b32_e32 v8, 0x7f800000, v0
	v_cmp_ne_u32_e32 vcc, s64, v8
                                        ; implicit-def: $vgpr21
	s_and_saveexec_b64 s[78:79], vcc
	s_xor_b64 s[78:79], exec, s[78:79]
; %bb.261:                              ;   in Loop: Header=BB10_136 Depth=3
	v_bfe_u32 v8, v0, 16, 1
	v_add3_u32 v21, v0, v8, s65
                                        ; implicit-def: $vgpr0
; %bb.262:                              ;   in Loop: Header=BB10_136 Depth=3
	s_andn2_saveexec_b64 s[78:79], s[78:79]
; %bb.263:                              ;   in Loop: Header=BB10_136 Depth=3
	v_or_b32_e32 v8, 0x10000, v0
	v_cmp_eq_u32_sdwa vcc, v0, v2 src0_sel:WORD_0 src1_sel:DWORD
	v_cndmask_b32_e32 v21, v8, v0, vcc
; %bb.264:                              ;   in Loop: Header=BB10_136 Depth=3
	s_or_b64 exec, exec, s[78:79]
	v_add_co_u32_e32 v8, vcc, 0x1000, v3
	v_addc_co_u32_e32 v9, vcc, 0, v4, vcc
	global_load_dwordx4 v[8:11], v[8:9], off glc slc
	s_waitcnt vmcnt(0)
	v_lshlrev_b32_e32 v0, 16, v8
	v_mul_f32_e32 v18, v28, v0
	v_and_b32_e32 v0, 0x7f800000, v18
	v_cmp_ne_u32_e32 vcc, s64, v0
                                        ; implicit-def: $vgpr0
	s_and_saveexec_b64 s[78:79], vcc
	s_xor_b64 s[78:79], exec, s[78:79]
; %bb.265:                              ;   in Loop: Header=BB10_136 Depth=3
	v_bfe_u32 v0, v18, 16, 1
	v_add3_u32 v0, v18, v0, s65
                                        ; implicit-def: $vgpr18
; %bb.266:                              ;   in Loop: Header=BB10_136 Depth=3
	s_andn2_saveexec_b64 s[78:79], s[78:79]
; %bb.267:                              ;   in Loop: Header=BB10_136 Depth=3
	v_or_b32_e32 v0, 0x10000, v18
	v_cmp_eq_u32_sdwa vcc, v18, v2 src0_sel:WORD_0 src1_sel:DWORD
	v_cndmask_b32_e32 v0, v0, v18, vcc
; %bb.268:                              ;   in Loop: Header=BB10_136 Depth=3
	s_or_b64 exec, exec, s[78:79]
	v_and_b32_e32 v8, 0xffff0000, v8
	v_mul_f32_e32 v8, v28, v8
	v_and_b32_e32 v13, 0x7f800000, v8
	v_cmp_ne_u32_e32 vcc, s64, v13
                                        ; implicit-def: $vgpr34
	s_and_saveexec_b64 s[78:79], vcc
	s_xor_b64 s[78:79], exec, s[78:79]
; %bb.269:                              ;   in Loop: Header=BB10_136 Depth=3
	v_bfe_u32 v13, v8, 16, 1
	v_add3_u32 v34, v8, v13, s65
                                        ; implicit-def: $vgpr8
; %bb.270:                              ;   in Loop: Header=BB10_136 Depth=3
	s_andn2_saveexec_b64 s[78:79], s[78:79]
; %bb.271:                              ;   in Loop: Header=BB10_136 Depth=3
	v_or_b32_e32 v13, 0x10000, v8
	v_cmp_eq_u32_sdwa vcc, v8, v2 src0_sel:WORD_0 src1_sel:DWORD
	v_cndmask_b32_e32 v34, v13, v8, vcc
; %bb.272:                              ;   in Loop: Header=BB10_136 Depth=3
	s_or_b64 exec, exec, s[78:79]
	v_lshlrev_b32_e32 v8, 16, v9
	v_mul_f32_e32 v8, v28, v8
	v_and_b32_e32 v13, 0x7f800000, v8
	v_cmp_ne_u32_e32 vcc, s64, v13
                                        ; implicit-def: $vgpr35
	s_and_saveexec_b64 s[78:79], vcc
	s_xor_b64 s[78:79], exec, s[78:79]
; %bb.273:                              ;   in Loop: Header=BB10_136 Depth=3
	v_bfe_u32 v13, v8, 16, 1
	v_add3_u32 v35, v8, v13, s65
                                        ; implicit-def: $vgpr8
; %bb.274:                              ;   in Loop: Header=BB10_136 Depth=3
	s_andn2_saveexec_b64 s[78:79], s[78:79]
; %bb.275:                              ;   in Loop: Header=BB10_136 Depth=3
	v_or_b32_e32 v13, 0x10000, v8
	v_cmp_eq_u32_sdwa vcc, v8, v2 src0_sel:WORD_0 src1_sel:DWORD
	v_cndmask_b32_e32 v35, v13, v8, vcc
; %bb.276:                              ;   in Loop: Header=BB10_136 Depth=3
	s_or_b64 exec, exec, s[78:79]
	v_and_b32_e32 v8, 0xffff0000, v9
	v_mul_f32_e32 v8, v28, v8
	v_and_b32_e32 v9, 0x7f800000, v8
	v_cmp_ne_u32_e32 vcc, s64, v9
                                        ; implicit-def: $vgpr38
	s_and_saveexec_b64 s[78:79], vcc
	s_xor_b64 s[78:79], exec, s[78:79]
; %bb.277:                              ;   in Loop: Header=BB10_136 Depth=3
	v_bfe_u32 v9, v8, 16, 1
	v_add3_u32 v38, v8, v9, s65
                                        ; implicit-def: $vgpr8
; %bb.278:                              ;   in Loop: Header=BB10_136 Depth=3
	s_andn2_saveexec_b64 s[78:79], s[78:79]
; %bb.279:                              ;   in Loop: Header=BB10_136 Depth=3
	v_or_b32_e32 v9, 0x10000, v8
	v_cmp_eq_u32_sdwa vcc, v8, v2 src0_sel:WORD_0 src1_sel:DWORD
	v_cndmask_b32_e32 v38, v9, v8, vcc
; %bb.280:                              ;   in Loop: Header=BB10_136 Depth=3
	s_or_b64 exec, exec, s[78:79]
	v_lshlrev_b32_e32 v8, 16, v10
	v_mul_f32_e32 v8, v28, v8
	v_and_b32_e32 v9, 0x7f800000, v8
	v_cmp_ne_u32_e32 vcc, s64, v9
                                        ; implicit-def: $vgpr39
	s_and_saveexec_b64 s[78:79], vcc
	s_xor_b64 s[78:79], exec, s[78:79]
; %bb.281:                              ;   in Loop: Header=BB10_136 Depth=3
	v_bfe_u32 v9, v8, 16, 1
	v_add3_u32 v39, v8, v9, s65
                                        ; implicit-def: $vgpr8
; %bb.282:                              ;   in Loop: Header=BB10_136 Depth=3
	s_andn2_saveexec_b64 s[78:79], s[78:79]
; %bb.283:                              ;   in Loop: Header=BB10_136 Depth=3
	v_or_b32_e32 v9, 0x10000, v8
	v_cmp_eq_u32_sdwa vcc, v8, v2 src0_sel:WORD_0 src1_sel:DWORD
	v_cndmask_b32_e32 v39, v9, v8, vcc
; %bb.284:                              ;   in Loop: Header=BB10_136 Depth=3
	s_or_b64 exec, exec, s[78:79]
	v_and_b32_e32 v8, 0xffff0000, v10
	v_mul_f32_e32 v8, v28, v8
	v_and_b32_e32 v9, 0x7f800000, v8
	v_cmp_ne_u32_e32 vcc, s64, v9
                                        ; implicit-def: $vgpr50
	s_and_saveexec_b64 s[78:79], vcc
	s_xor_b64 s[78:79], exec, s[78:79]
; %bb.285:                              ;   in Loop: Header=BB10_136 Depth=3
	v_bfe_u32 v9, v8, 16, 1
	v_add3_u32 v50, v8, v9, s65
                                        ; implicit-def: $vgpr8
; %bb.286:                              ;   in Loop: Header=BB10_136 Depth=3
	s_andn2_saveexec_b64 s[78:79], s[78:79]
; %bb.287:                              ;   in Loop: Header=BB10_136 Depth=3
	v_or_b32_e32 v9, 0x10000, v8
	v_cmp_eq_u32_sdwa vcc, v8, v2 src0_sel:WORD_0 src1_sel:DWORD
	v_cndmask_b32_e32 v50, v9, v8, vcc
; %bb.288:                              ;   in Loop: Header=BB10_136 Depth=3
	s_or_b64 exec, exec, s[78:79]
	v_lshlrev_b32_e32 v8, 16, v11
	v_mul_f32_e32 v8, v28, v8
	v_and_b32_e32 v9, 0x7f800000, v8
	v_cmp_ne_u32_e32 vcc, s64, v9
                                        ; implicit-def: $vgpr51
	s_and_saveexec_b64 s[78:79], vcc
	s_xor_b64 s[78:79], exec, s[78:79]
; %bb.289:                              ;   in Loop: Header=BB10_136 Depth=3
	v_bfe_u32 v9, v8, 16, 1
	v_add3_u32 v51, v8, v9, s65
                                        ; implicit-def: $vgpr8
; %bb.290:                              ;   in Loop: Header=BB10_136 Depth=3
	s_andn2_saveexec_b64 s[78:79], s[78:79]
; %bb.291:                              ;   in Loop: Header=BB10_136 Depth=3
	v_or_b32_e32 v9, 0x10000, v8
	v_cmp_eq_u32_sdwa vcc, v8, v2 src0_sel:WORD_0 src1_sel:DWORD
	v_cndmask_b32_e32 v51, v9, v8, vcc
; %bb.292:                              ;   in Loop: Header=BB10_136 Depth=3
	s_or_b64 exec, exec, s[78:79]
	v_and_b32_e32 v8, 0xffff0000, v11
	v_mul_f32_e32 v8, v28, v8
	v_and_b32_e32 v9, 0x7f800000, v8
	v_cmp_ne_u32_e32 vcc, s64, v9
                                        ; implicit-def: $vgpr40
	s_and_saveexec_b64 s[78:79], vcc
	s_xor_b64 s[78:79], exec, s[78:79]
; %bb.293:                              ;   in Loop: Header=BB10_136 Depth=3
	v_bfe_u32 v9, v8, 16, 1
	v_add3_u32 v40, v8, v9, s65
                                        ; implicit-def: $vgpr8
; %bb.294:                              ;   in Loop: Header=BB10_136 Depth=3
	s_andn2_saveexec_b64 s[78:79], s[78:79]
; %bb.295:                              ;   in Loop: Header=BB10_136 Depth=3
	v_or_b32_e32 v9, 0x10000, v8
	v_cmp_eq_u32_sdwa vcc, v8, v2 src0_sel:WORD_0 src1_sel:DWORD
	v_cndmask_b32_e32 v40, v9, v8, vcc
; %bb.296:                              ;   in Loop: Header=BB10_136 Depth=3
	s_or_b64 exec, exec, s[78:79]
	v_add_co_u32_e32 v8, vcc, 0x1000, v3
	v_addc_co_u32_e32 v9, vcc, 0, v4, vcc
	global_load_dwordx4 v[8:11], v[8:9], off offset:1024 glc slc
                                        ; implicit-def: $vgpr41
	s_waitcnt vmcnt(0)
	v_lshlrev_b32_e32 v13, 16, v8
	v_mul_f32_e32 v18, v28, v13
	v_and_b32_e32 v13, 0x7f800000, v18
	v_cmp_ne_u32_e32 vcc, s64, v13
	s_and_saveexec_b64 s[78:79], vcc
	s_xor_b64 s[78:79], exec, s[78:79]
; %bb.297:                              ;   in Loop: Header=BB10_136 Depth=3
	v_bfe_u32 v13, v18, 16, 1
	v_add3_u32 v41, v18, v13, s65
                                        ; implicit-def: $vgpr18
; %bb.298:                              ;   in Loop: Header=BB10_136 Depth=3
	s_andn2_saveexec_b64 s[78:79], s[78:79]
; %bb.299:                              ;   in Loop: Header=BB10_136 Depth=3
	v_or_b32_e32 v13, 0x10000, v18
	v_cmp_eq_u32_sdwa vcc, v18, v2 src0_sel:WORD_0 src1_sel:DWORD
	v_cndmask_b32_e32 v41, v13, v18, vcc
; %bb.300:                              ;   in Loop: Header=BB10_136 Depth=3
	s_or_b64 exec, exec, s[78:79]
	v_and_b32_e32 v8, 0xffff0000, v8
	v_mul_f32_e32 v8, v28, v8
	v_and_b32_e32 v13, 0x7f800000, v8
	v_cmp_ne_u32_e32 vcc, s64, v13
                                        ; implicit-def: $vgpr42
	s_and_saveexec_b64 s[78:79], vcc
	s_xor_b64 s[78:79], exec, s[78:79]
; %bb.301:                              ;   in Loop: Header=BB10_136 Depth=3
	v_bfe_u32 v13, v8, 16, 1
	v_add3_u32 v42, v8, v13, s65
                                        ; implicit-def: $vgpr8
; %bb.302:                              ;   in Loop: Header=BB10_136 Depth=3
	s_andn2_saveexec_b64 s[78:79], s[78:79]
; %bb.303:                              ;   in Loop: Header=BB10_136 Depth=3
	v_or_b32_e32 v13, 0x10000, v8
	v_cmp_eq_u32_sdwa vcc, v8, v2 src0_sel:WORD_0 src1_sel:DWORD
	v_cndmask_b32_e32 v42, v13, v8, vcc
; %bb.304:                              ;   in Loop: Header=BB10_136 Depth=3
	s_or_b64 exec, exec, s[78:79]
	v_lshlrev_b32_e32 v8, 16, v9
	v_mul_f32_e32 v8, v28, v8
	v_and_b32_e32 v13, 0x7f800000, v8
	v_cmp_ne_u32_e32 vcc, s64, v13
                                        ; implicit-def: $vgpr44
	s_and_saveexec_b64 s[78:79], vcc
	s_xor_b64 s[78:79], exec, s[78:79]
; %bb.305:                              ;   in Loop: Header=BB10_136 Depth=3
	v_bfe_u32 v13, v8, 16, 1
	v_add3_u32 v44, v8, v13, s65
                                        ; implicit-def: $vgpr8
; %bb.306:                              ;   in Loop: Header=BB10_136 Depth=3
	s_andn2_saveexec_b64 s[78:79], s[78:79]
; %bb.307:                              ;   in Loop: Header=BB10_136 Depth=3
	v_or_b32_e32 v13, 0x10000, v8
	v_cmp_eq_u32_sdwa vcc, v8, v2 src0_sel:WORD_0 src1_sel:DWORD
	v_cndmask_b32_e32 v44, v13, v8, vcc
; %bb.308:                              ;   in Loop: Header=BB10_136 Depth=3
	s_or_b64 exec, exec, s[78:79]
	v_and_b32_e32 v8, 0xffff0000, v9
	v_mul_f32_e32 v8, v28, v8
	v_and_b32_e32 v9, 0x7f800000, v8
	v_cmp_ne_u32_e32 vcc, s64, v9
                                        ; implicit-def: $vgpr62
	s_and_saveexec_b64 s[78:79], vcc
	s_xor_b64 s[78:79], exec, s[78:79]
; %bb.309:                              ;   in Loop: Header=BB10_136 Depth=3
	v_bfe_u32 v9, v8, 16, 1
	v_add3_u32 v62, v8, v9, s65
                                        ; implicit-def: $vgpr8
; %bb.310:                              ;   in Loop: Header=BB10_136 Depth=3
	s_andn2_saveexec_b64 s[78:79], s[78:79]
; %bb.311:                              ;   in Loop: Header=BB10_136 Depth=3
	v_or_b32_e32 v9, 0x10000, v8
	v_cmp_eq_u32_sdwa vcc, v8, v2 src0_sel:WORD_0 src1_sel:DWORD
	v_cndmask_b32_e32 v62, v9, v8, vcc
; %bb.312:                              ;   in Loop: Header=BB10_136 Depth=3
	s_or_b64 exec, exec, s[78:79]
	v_lshlrev_b32_e32 v8, 16, v10
	v_mul_f32_e32 v8, v28, v8
	v_and_b32_e32 v9, 0x7f800000, v8
	v_cmp_ne_u32_e32 vcc, s64, v9
                                        ; implicit-def: $vgpr29
	s_and_saveexec_b64 s[78:79], vcc
	s_xor_b64 s[78:79], exec, s[78:79]
; %bb.313:                              ;   in Loop: Header=BB10_136 Depth=3
	v_bfe_u32 v9, v8, 16, 1
	v_add3_u32 v29, v8, v9, s65
                                        ; implicit-def: $vgpr8
; %bb.314:                              ;   in Loop: Header=BB10_136 Depth=3
	s_andn2_saveexec_b64 s[78:79], s[78:79]
; %bb.315:                              ;   in Loop: Header=BB10_136 Depth=3
	v_or_b32_e32 v9, 0x10000, v8
	v_cmp_eq_u32_sdwa vcc, v8, v2 src0_sel:WORD_0 src1_sel:DWORD
	v_cndmask_b32_e32 v29, v9, v8, vcc
; %bb.316:                              ;   in Loop: Header=BB10_136 Depth=3
	s_or_b64 exec, exec, s[78:79]
	v_and_b32_e32 v8, 0xffff0000, v10
	v_mul_f32_e32 v8, v28, v8
	v_and_b32_e32 v9, 0x7f800000, v8
	v_cmp_ne_u32_e32 vcc, s64, v9
                                        ; implicit-def: $vgpr18
	s_and_saveexec_b64 s[78:79], vcc
	s_xor_b64 s[78:79], exec, s[78:79]
; %bb.317:                              ;   in Loop: Header=BB10_136 Depth=3
	v_bfe_u32 v9, v8, 16, 1
	v_add3_u32 v18, v8, v9, s65
                                        ; implicit-def: $vgpr8
; %bb.318:                              ;   in Loop: Header=BB10_136 Depth=3
	s_andn2_saveexec_b64 s[78:79], s[78:79]
; %bb.319:                              ;   in Loop: Header=BB10_136 Depth=3
	v_or_b32_e32 v9, 0x10000, v8
	v_cmp_eq_u32_sdwa vcc, v8, v2 src0_sel:WORD_0 src1_sel:DWORD
	v_cndmask_b32_e32 v18, v9, v8, vcc
; %bb.320:                              ;   in Loop: Header=BB10_136 Depth=3
	s_or_b64 exec, exec, s[78:79]
	v_lshlrev_b32_e32 v8, 16, v11
	v_mul_f32_e32 v8, v28, v8
	v_and_b32_e32 v9, 0x7f800000, v8
	v_cmp_ne_u32_e32 vcc, s64, v9
                                        ; implicit-def: $vgpr19
	s_and_saveexec_b64 s[78:79], vcc
	s_xor_b64 s[78:79], exec, s[78:79]
; %bb.321:                              ;   in Loop: Header=BB10_136 Depth=3
	v_bfe_u32 v9, v8, 16, 1
	v_add3_u32 v19, v8, v9, s65
                                        ; implicit-def: $vgpr8
; %bb.322:                              ;   in Loop: Header=BB10_136 Depth=3
	s_andn2_saveexec_b64 s[78:79], s[78:79]
; %bb.323:                              ;   in Loop: Header=BB10_136 Depth=3
	v_or_b32_e32 v9, 0x10000, v8
	v_cmp_eq_u32_sdwa vcc, v8, v2 src0_sel:WORD_0 src1_sel:DWORD
	v_cndmask_b32_e32 v19, v9, v8, vcc
; %bb.324:                              ;   in Loop: Header=BB10_136 Depth=3
	s_or_b64 exec, exec, s[78:79]
	v_and_b32_e32 v8, 0xffff0000, v11
	v_mul_f32_e32 v8, v28, v8
	v_and_b32_e32 v9, 0x7f800000, v8
	v_cmp_ne_u32_e32 vcc, s64, v9
                                        ; implicit-def: $vgpr30
	s_and_saveexec_b64 s[78:79], vcc
	s_xor_b64 s[78:79], exec, s[78:79]
; %bb.325:                              ;   in Loop: Header=BB10_136 Depth=3
	v_bfe_u32 v9, v8, 16, 1
	v_add3_u32 v30, v8, v9, s65
                                        ; implicit-def: $vgpr8
; %bb.326:                              ;   in Loop: Header=BB10_136 Depth=3
	s_andn2_saveexec_b64 s[78:79], s[78:79]
; %bb.327:                              ;   in Loop: Header=BB10_136 Depth=3
	v_or_b32_e32 v9, 0x10000, v8
	v_cmp_eq_u32_sdwa vcc, v8, v2 src0_sel:WORD_0 src1_sel:DWORD
	v_cndmask_b32_e32 v30, v9, v8, vcc
; %bb.328:                              ;   in Loop: Header=BB10_136 Depth=3
	s_or_b64 exec, exec, s[78:79]
	v_add_co_u32_e32 v8, vcc, 0x1000, v3
	v_addc_co_u32_e32 v9, vcc, 0, v4, vcc
	global_load_dwordx4 v[8:11], v[8:9], off offset:2048 glc slc
                                        ; implicit-def: $vgpr31
	s_waitcnt vmcnt(0)
	v_lshlrev_b32_e32 v13, 16, v8
	v_mul_f32_e32 v25, v28, v13
	v_and_b32_e32 v13, 0x7f800000, v25
	v_cmp_ne_u32_e32 vcc, s64, v13
	s_and_saveexec_b64 s[78:79], vcc
	s_xor_b64 s[78:79], exec, s[78:79]
; %bb.329:                              ;   in Loop: Header=BB10_136 Depth=3
	v_bfe_u32 v13, v25, 16, 1
	v_add3_u32 v31, v25, v13, s65
                                        ; implicit-def: $vgpr25
; %bb.330:                              ;   in Loop: Header=BB10_136 Depth=3
	s_andn2_saveexec_b64 s[78:79], s[78:79]
; %bb.331:                              ;   in Loop: Header=BB10_136 Depth=3
	v_or_b32_e32 v13, 0x10000, v25
	v_cmp_eq_u32_sdwa vcc, v25, v2 src0_sel:WORD_0 src1_sel:DWORD
	v_cndmask_b32_e32 v31, v13, v25, vcc
; %bb.332:                              ;   in Loop: Header=BB10_136 Depth=3
	s_or_b64 exec, exec, s[78:79]
	v_and_b32_e32 v8, 0xffff0000, v8
	v_mul_f32_e32 v8, v28, v8
	v_and_b32_e32 v13, 0x7f800000, v8
	v_cmp_ne_u32_e32 vcc, s64, v13
                                        ; implicit-def: $vgpr46
	s_and_saveexec_b64 s[78:79], vcc
	s_xor_b64 s[78:79], exec, s[78:79]
; %bb.333:                              ;   in Loop: Header=BB10_136 Depth=3
	v_bfe_u32 v13, v8, 16, 1
	v_add3_u32 v46, v8, v13, s65
                                        ; implicit-def: $vgpr8
; %bb.334:                              ;   in Loop: Header=BB10_136 Depth=3
	s_andn2_saveexec_b64 s[78:79], s[78:79]
; %bb.335:                              ;   in Loop: Header=BB10_136 Depth=3
	v_or_b32_e32 v13, 0x10000, v8
	v_cmp_eq_u32_sdwa vcc, v8, v2 src0_sel:WORD_0 src1_sel:DWORD
	v_cndmask_b32_e32 v46, v13, v8, vcc
; %bb.336:                              ;   in Loop: Header=BB10_136 Depth=3
	s_or_b64 exec, exec, s[78:79]
	v_lshlrev_b32_e32 v8, 16, v9
	v_mul_f32_e32 v8, v28, v8
	v_and_b32_e32 v13, 0x7f800000, v8
	v_cmp_ne_u32_e32 vcc, s64, v13
                                        ; implicit-def: $vgpr47
	s_and_saveexec_b64 s[78:79], vcc
	s_xor_b64 s[78:79], exec, s[78:79]
; %bb.337:                              ;   in Loop: Header=BB10_136 Depth=3
	v_bfe_u32 v13, v8, 16, 1
	v_add3_u32 v47, v8, v13, s65
                                        ; implicit-def: $vgpr8
; %bb.338:                              ;   in Loop: Header=BB10_136 Depth=3
	s_andn2_saveexec_b64 s[78:79], s[78:79]
; %bb.339:                              ;   in Loop: Header=BB10_136 Depth=3
	v_or_b32_e32 v13, 0x10000, v8
	v_cmp_eq_u32_sdwa vcc, v8, v2 src0_sel:WORD_0 src1_sel:DWORD
	v_cndmask_b32_e32 v47, v13, v8, vcc
; %bb.340:                              ;   in Loop: Header=BB10_136 Depth=3
	s_or_b64 exec, exec, s[78:79]
	v_and_b32_e32 v8, 0xffff0000, v9
	v_mul_f32_e32 v8, v28, v8
	v_and_b32_e32 v9, 0x7f800000, v8
	v_cmp_ne_u32_e32 vcc, s64, v9
                                        ; implicit-def: $vgpr56
	s_and_saveexec_b64 s[78:79], vcc
	s_xor_b64 s[78:79], exec, s[78:79]
; %bb.341:                              ;   in Loop: Header=BB10_136 Depth=3
	v_bfe_u32 v9, v8, 16, 1
	v_add3_u32 v56, v8, v9, s65
                                        ; implicit-def: $vgpr8
; %bb.342:                              ;   in Loop: Header=BB10_136 Depth=3
	s_andn2_saveexec_b64 s[78:79], s[78:79]
; %bb.343:                              ;   in Loop: Header=BB10_136 Depth=3
	v_or_b32_e32 v9, 0x10000, v8
	v_cmp_eq_u32_sdwa vcc, v8, v2 src0_sel:WORD_0 src1_sel:DWORD
	v_cndmask_b32_e32 v56, v9, v8, vcc
; %bb.344:                              ;   in Loop: Header=BB10_136 Depth=3
	s_or_b64 exec, exec, s[78:79]
	v_lshlrev_b32_e32 v8, 16, v10
	v_mul_f32_e32 v8, v28, v8
	v_and_b32_e32 v9, 0x7f800000, v8
	v_cmp_ne_u32_e32 vcc, s64, v9
                                        ; implicit-def: $vgpr57
	s_and_saveexec_b64 s[78:79], vcc
	s_xor_b64 s[78:79], exec, s[78:79]
; %bb.345:                              ;   in Loop: Header=BB10_136 Depth=3
	v_bfe_u32 v9, v8, 16, 1
	v_add3_u32 v57, v8, v9, s65
                                        ; implicit-def: $vgpr8
; %bb.346:                              ;   in Loop: Header=BB10_136 Depth=3
	s_andn2_saveexec_b64 s[78:79], s[78:79]
; %bb.347:                              ;   in Loop: Header=BB10_136 Depth=3
	v_or_b32_e32 v9, 0x10000, v8
	v_cmp_eq_u32_sdwa vcc, v8, v2 src0_sel:WORD_0 src1_sel:DWORD
	v_cndmask_b32_e32 v57, v9, v8, vcc
; %bb.348:                              ;   in Loop: Header=BB10_136 Depth=3
	s_or_b64 exec, exec, s[78:79]
	v_and_b32_e32 v8, 0xffff0000, v10
	v_mul_f32_e32 v8, v28, v8
	v_and_b32_e32 v9, 0x7f800000, v8
	v_cmp_ne_u32_e32 vcc, s64, v9
                                        ; implicit-def: $vgpr58
	s_and_saveexec_b64 s[78:79], vcc
	s_xor_b64 s[78:79], exec, s[78:79]
; %bb.349:                              ;   in Loop: Header=BB10_136 Depth=3
	v_bfe_u32 v9, v8, 16, 1
	v_add3_u32 v58, v8, v9, s65
                                        ; implicit-def: $vgpr8
; %bb.350:                              ;   in Loop: Header=BB10_136 Depth=3
	s_andn2_saveexec_b64 s[78:79], s[78:79]
; %bb.351:                              ;   in Loop: Header=BB10_136 Depth=3
	v_or_b32_e32 v9, 0x10000, v8
	v_cmp_eq_u32_sdwa vcc, v8, v2 src0_sel:WORD_0 src1_sel:DWORD
	v_cndmask_b32_e32 v58, v9, v8, vcc
; %bb.352:                              ;   in Loop: Header=BB10_136 Depth=3
	s_or_b64 exec, exec, s[78:79]
	v_lshlrev_b32_e32 v8, 16, v11
	v_mul_f32_e32 v8, v28, v8
	v_and_b32_e32 v9, 0x7f800000, v8
	v_cmp_ne_u32_e32 vcc, s64, v9
                                        ; implicit-def: $vgpr59
	s_and_saveexec_b64 s[78:79], vcc
	s_xor_b64 s[78:79], exec, s[78:79]
; %bb.353:                              ;   in Loop: Header=BB10_136 Depth=3
	v_bfe_u32 v9, v8, 16, 1
	v_add3_u32 v59, v8, v9, s65
                                        ; implicit-def: $vgpr8
; %bb.354:                              ;   in Loop: Header=BB10_136 Depth=3
	s_andn2_saveexec_b64 s[78:79], s[78:79]
; %bb.355:                              ;   in Loop: Header=BB10_136 Depth=3
	v_or_b32_e32 v9, 0x10000, v8
	v_cmp_eq_u32_sdwa vcc, v8, v2 src0_sel:WORD_0 src1_sel:DWORD
	v_cndmask_b32_e32 v59, v9, v8, vcc
; %bb.356:                              ;   in Loop: Header=BB10_136 Depth=3
	s_or_b64 exec, exec, s[78:79]
	v_and_b32_e32 v8, 0xffff0000, v11
	v_mul_f32_e32 v8, v28, v8
	v_and_b32_e32 v9, 0x7f800000, v8
	v_cmp_ne_u32_e32 vcc, s64, v9
                                        ; implicit-def: $vgpr60
	s_and_saveexec_b64 s[78:79], vcc
	s_xor_b64 s[78:79], exec, s[78:79]
; %bb.357:                              ;   in Loop: Header=BB10_136 Depth=3
	v_bfe_u32 v9, v8, 16, 1
	v_add3_u32 v60, v8, v9, s65
                                        ; implicit-def: $vgpr8
; %bb.358:                              ;   in Loop: Header=BB10_136 Depth=3
	s_andn2_saveexec_b64 s[78:79], s[78:79]
; %bb.359:                              ;   in Loop: Header=BB10_136 Depth=3
	v_or_b32_e32 v9, 0x10000, v8
	v_cmp_eq_u32_sdwa vcc, v8, v2 src0_sel:WORD_0 src1_sel:DWORD
	v_cndmask_b32_e32 v60, v9, v8, vcc
; %bb.360:                              ;   in Loop: Header=BB10_136 Depth=3
	s_or_b64 exec, exec, s[78:79]
	v_add_co_u32_e32 v3, vcc, 0x1000, v3
	v_addc_co_u32_e32 v4, vcc, 0, v4, vcc
	global_load_dwordx4 v[8:11], v[3:4], off offset:3072 glc slc
	s_waitcnt vmcnt(0)
	v_lshlrev_b32_e32 v3, 16, v8
	v_mul_f32_e32 v4, v28, v3
	v_and_b32_e32 v3, 0x7f800000, v4
	v_cmp_ne_u32_e32 vcc, s64, v3
                                        ; implicit-def: $vgpr3
	s_and_saveexec_b64 s[78:79], vcc
	s_xor_b64 s[78:79], exec, s[78:79]
; %bb.361:                              ;   in Loop: Header=BB10_136 Depth=3
	v_bfe_u32 v3, v4, 16, 1
	v_add3_u32 v3, v4, v3, s65
                                        ; implicit-def: $vgpr4
; %bb.362:                              ;   in Loop: Header=BB10_136 Depth=3
	s_andn2_saveexec_b64 s[78:79], s[78:79]
; %bb.363:                              ;   in Loop: Header=BB10_136 Depth=3
	v_or_b32_e32 v3, 0x10000, v4
	v_cmp_eq_u32_sdwa vcc, v4, v2 src0_sel:WORD_0 src1_sel:DWORD
	v_cndmask_b32_e32 v3, v3, v4, vcc
; %bb.364:                              ;   in Loop: Header=BB10_136 Depth=3
	s_or_b64 exec, exec, s[78:79]
	v_and_b32_e32 v4, 0xffff0000, v8
	v_mul_f32_e32 v8, v28, v4
	v_and_b32_e32 v4, 0x7f800000, v8
	v_cmp_ne_u32_e32 vcc, s64, v4
                                        ; implicit-def: $vgpr4
	s_and_saveexec_b64 s[78:79], vcc
	s_xor_b64 s[78:79], exec, s[78:79]
; %bb.365:                              ;   in Loop: Header=BB10_136 Depth=3
	v_bfe_u32 v4, v8, 16, 1
	v_add3_u32 v4, v8, v4, s65
                                        ; implicit-def: $vgpr8
; %bb.366:                              ;   in Loop: Header=BB10_136 Depth=3
	s_andn2_saveexec_b64 s[78:79], s[78:79]
; %bb.367:                              ;   in Loop: Header=BB10_136 Depth=3
	v_or_b32_e32 v4, 0x10000, v8
	v_cmp_eq_u32_sdwa vcc, v8, v2 src0_sel:WORD_0 src1_sel:DWORD
	v_cndmask_b32_e32 v4, v4, v8, vcc
; %bb.368:                              ;   in Loop: Header=BB10_136 Depth=3
	s_or_b64 exec, exec, s[78:79]
	v_lshlrev_b32_e32 v8, 16, v9
	v_mul_f32_e32 v25, v28, v8
	v_and_b32_e32 v8, 0x7f800000, v25
	v_cmp_ne_u32_e32 vcc, s64, v8
                                        ; implicit-def: $vgpr8
	s_and_saveexec_b64 s[78:79], vcc
	s_xor_b64 s[78:79], exec, s[78:79]
; %bb.369:                              ;   in Loop: Header=BB10_136 Depth=3
	v_bfe_u32 v8, v25, 16, 1
	v_add3_u32 v8, v25, v8, s65
                                        ; implicit-def: $vgpr25
; %bb.370:                              ;   in Loop: Header=BB10_136 Depth=3
	s_andn2_saveexec_b64 s[78:79], s[78:79]
; %bb.371:                              ;   in Loop: Header=BB10_136 Depth=3
	v_or_b32_e32 v8, 0x10000, v25
	v_cmp_eq_u32_sdwa vcc, v25, v2 src0_sel:WORD_0 src1_sel:DWORD
	v_cndmask_b32_e32 v8, v8, v25, vcc
; %bb.372:                              ;   in Loop: Header=BB10_136 Depth=3
	s_or_b64 exec, exec, s[78:79]
	v_and_b32_e32 v9, 0xffff0000, v9
	v_mul_f32_e32 v25, v28, v9
	v_and_b32_e32 v9, 0x7f800000, v25
	v_cmp_ne_u32_e32 vcc, s64, v9
                                        ; implicit-def: $vgpr9
	s_and_saveexec_b64 s[78:79], vcc
	s_xor_b64 s[78:79], exec, s[78:79]
; %bb.373:                              ;   in Loop: Header=BB10_136 Depth=3
	v_bfe_u32 v9, v25, 16, 1
	v_add3_u32 v9, v25, v9, s65
                                        ; implicit-def: $vgpr25
; %bb.374:                              ;   in Loop: Header=BB10_136 Depth=3
	s_andn2_saveexec_b64 s[78:79], s[78:79]
; %bb.375:                              ;   in Loop: Header=BB10_136 Depth=3
	v_or_b32_e32 v9, 0x10000, v25
	v_cmp_eq_u32_sdwa vcc, v25, v2 src0_sel:WORD_0 src1_sel:DWORD
	v_cndmask_b32_e32 v9, v9, v25, vcc
; %bb.376:                              ;   in Loop: Header=BB10_136 Depth=3
	s_or_b64 exec, exec, s[78:79]
	v_lshlrev_b32_e32 v13, 16, v10
	v_mul_f32_e32 v25, v28, v13
	v_and_b32_e32 v13, 0x7f800000, v25
	v_cmp_ne_u32_e32 vcc, s64, v13
                                        ; implicit-def: $vgpr61
	s_and_saveexec_b64 s[78:79], vcc
	s_xor_b64 s[78:79], exec, s[78:79]
; %bb.377:                              ;   in Loop: Header=BB10_136 Depth=3
	v_bfe_u32 v13, v25, 16, 1
	v_add3_u32 v61, v25, v13, s65
                                        ; implicit-def: $vgpr25
; %bb.378:                              ;   in Loop: Header=BB10_136 Depth=3
	s_andn2_saveexec_b64 s[78:79], s[78:79]
; %bb.379:                              ;   in Loop: Header=BB10_136 Depth=3
	v_or_b32_e32 v13, 0x10000, v25
	v_cmp_eq_u32_sdwa vcc, v25, v2 src0_sel:WORD_0 src1_sel:DWORD
	v_cndmask_b32_e32 v61, v13, v25, vcc
; %bb.380:                              ;   in Loop: Header=BB10_136 Depth=3
	s_or_b64 exec, exec, s[78:79]
	v_and_b32_e32 v10, 0xffff0000, v10
	v_mul_f32_e32 v25, v28, v10
	v_and_b32_e32 v10, 0x7f800000, v25
	v_cmp_ne_u32_e32 vcc, s64, v10
                                        ; implicit-def: $vgpr10
	s_and_saveexec_b64 s[78:79], vcc
	s_xor_b64 s[78:79], exec, s[78:79]
; %bb.381:                              ;   in Loop: Header=BB10_136 Depth=3
	v_bfe_u32 v10, v25, 16, 1
	v_add3_u32 v10, v25, v10, s65
                                        ; implicit-def: $vgpr25
; %bb.382:                              ;   in Loop: Header=BB10_136 Depth=3
	s_andn2_saveexec_b64 s[78:79], s[78:79]
; %bb.383:                              ;   in Loop: Header=BB10_136 Depth=3
	v_or_b32_e32 v10, 0x10000, v25
	v_cmp_eq_u32_sdwa vcc, v25, v2 src0_sel:WORD_0 src1_sel:DWORD
	v_cndmask_b32_e32 v10, v10, v25, vcc
; %bb.384:                              ;   in Loop: Header=BB10_136 Depth=3
	s_or_b64 exec, exec, s[78:79]
	v_lshlrev_b32_e32 v13, 16, v11
	v_mul_f32_e32 v16, v28, v13
	v_and_b32_e32 v13, 0x7f800000, v16
	v_cmp_ne_u32_e32 vcc, s64, v13
                                        ; implicit-def: $vgpr25
	s_and_saveexec_b64 s[78:79], vcc
	s_xor_b64 s[78:79], exec, s[78:79]
; %bb.385:                              ;   in Loop: Header=BB10_136 Depth=3
	v_bfe_u32 v13, v16, 16, 1
	v_add3_u32 v25, v16, v13, s65
                                        ; implicit-def: $vgpr16
; %bb.386:                              ;   in Loop: Header=BB10_136 Depth=3
	s_andn2_saveexec_b64 s[78:79], s[78:79]
; %bb.387:                              ;   in Loop: Header=BB10_136 Depth=3
	v_or_b32_e32 v13, 0x10000, v16
	v_cmp_eq_u32_sdwa vcc, v16, v2 src0_sel:WORD_0 src1_sel:DWORD
	v_cndmask_b32_e32 v25, v13, v16, vcc
; %bb.388:                              ;   in Loop: Header=BB10_136 Depth=3
	s_or_b64 exec, exec, s[78:79]
	v_and_b32_e32 v11, 0xffff0000, v11
	v_mul_f32_e32 v16, v28, v11
	v_and_b32_e32 v11, 0x7f800000, v16
	v_cmp_ne_u32_e32 vcc, s64, v11
                                        ; implicit-def: $vgpr11
	s_and_saveexec_b64 s[78:79], vcc
	s_xor_b64 s[78:79], exec, s[78:79]
; %bb.389:                              ;   in Loop: Header=BB10_136 Depth=3
	v_bfe_u32 v11, v16, 16, 1
	v_add3_u32 v11, v16, v11, s65
                                        ; implicit-def: $vgpr16
; %bb.390:                              ;   in Loop: Header=BB10_136 Depth=3
	s_andn2_saveexec_b64 s[78:79], s[78:79]
	s_cbranch_execz .LBB10_135
; %bb.391:                              ;   in Loop: Header=BB10_136 Depth=3
	v_or_b32_e32 v11, 0x10000, v16
	v_cmp_eq_u32_sdwa vcc, v16, v2 src0_sel:WORD_0 src1_sel:DWORD
	v_cndmask_b32_e32 v11, v11, v16, vcc
	s_branch .LBB10_135
.LBB10_392:                             ;   in Loop: Header=BB10_57 Depth=2
	s_or_b64 exec, exec, s[76:77]
	buffer_load_dword v12, off, s[0:3], s33 offset:364 ; 4-byte Folded Reload
	buffer_load_dword v1, off, s[0:3], s33 offset:376 ; 4-byte Folded Reload
.LBB10_393:                             ;   in Loop: Header=BB10_57 Depth=2
	s_or_b64 exec, exec, s[26:27]
	buffer_load_dword v0, off, s[0:3], s33 offset:348 ; 4-byte Folded Reload
	s_waitcnt vmcnt(1)
	v_lshlrev_b32_e32 v3, 13, v1
	s_mov_b64 s[78:79], 0
                                        ; implicit-def: $vgpr1
	s_waitcnt vmcnt(0)
	v_cmp_ne_u32_e32 vcc, v0, v3
	v_mov_b32_e32 v0, 0
	s_and_saveexec_b64 s[76:77], vcc
	s_cbranch_execz .LBB10_431
; %bb.394:                              ;   in Loop: Header=BB10_57 Depth=2
	buffer_load_dword v0, off, s[0:3], s33 offset:348 ; 4-byte Folded Reload
	buffer_load_dword v1, off, s[0:3], s33 offset:328 ; 4-byte Folded Reload
	s_waitcnt vmcnt(1)
	v_sub_u32_e32 v4, v0, v3
	v_lshlrev_b32_e32 v0, 6, v24
	s_waitcnt vmcnt(0)
	v_sub_u32_e32 v0, v1, v0
	v_ashrrev_i32_e32 v1, 31, v0
	v_lshrrev_b32_e32 v1, 26, v1
	v_add_u32_e32 v1, v0, v1
	v_ashrrev_i32_e32 v5, 6, v1
	v_and_b32_e32 v1, 0xffffffc0, v1
	v_sub_u32_e32 v1, v0, v1
	v_lshlrev_b32_e32 v0, 4, v1
	v_lshl_add_u32 v7, v5, 10, v0
	v_ashrrev_i32_e32 v0, 31, v4
	v_lshrrev_b32_e32 v0, 22, v0
	v_add_u32_e32 v0, v4, v0
	v_ashrrev_i32_e32 v8, 10, v0
	v_and_b32_e32 v0, 0xfffffc00, v0
	v_sub_u32_e32 v6, v4, v7
	v_sub_u32_e32 v4, v4, v0
	v_cmp_lt_i32_e32 vcc, 15, v4
	v_addc_co_u32_e64 v8, s[26:27], 0, v8, vcc
	v_sub_u32_e32 v5, v8, v5
	v_cmp_lt_i32_e64 s[26:27], 15, v6
	s_and_saveexec_b64 s[78:79], s[26:27]
	s_cbranch_execz .LBB10_430
; %bb.395:                              ;   in Loop: Header=BB10_57 Depth=2
	s_trap 2
	ds_read_b32 v8, v0
	v_add_u32_e32 v7, v7, v3
	v_ashrrev_i32_e32 v12, 31, v7
	s_mov_b64 s[88:89], 0
	s_waitcnt lgkmcnt(0)
	v_lshlrev_b32_e32 v13, 16, v8
	s_branch .LBB10_397
.LBB10_396:                             ;   in Loop: Header=BB10_397 Depth=3
	s_or_b64 exec, exec, s[90:91]
	buffer_load_dword v19, off, s[0:3], s33 offset:308 ; 4-byte Folded Reload
	buffer_load_dword v20, off, s[0:3], s33 offset:312 ; 4-byte Folded Reload
	v_lshrrev_b32_e32 v14, 16, v16
	v_and_or_b32 v9, v9, s66, v14
	v_lshrrev_b32_e32 v14, 16, v15
	v_and_or_b32 v8, v8, s66, v14
	;; [unrolled: 2-line block ×4, first 2 shown]
	s_waitcnt vmcnt(1)
	v_add_co_u32_e64 v19, s[26:27], v19, v7
	s_waitcnt vmcnt(0)
	v_addc_co_u32_e64 v20, s[26:27], v20, v12, s[26:27]
	global_store_dwordx4 v[19:20], v[8:11], off glc slc
	buffer_load_dword v9, off, s[0:3], s33 offset:136 ; 4-byte Folded Reload
	s_nop 0
	buffer_load_dword v8, off, s[0:3], s33 offset:88 ; 4-byte Folded Reload
	s_waitcnt vmcnt(1)
	v_sub_u32_e32 v6, v6, v9
	v_cmp_gt_i32_e64 s[26:27], 16, v6
	s_or_b64 s[88:89], s[26:27], s[88:89]
	v_add_co_u32_e64 v7, s[26:27], v7, v9
	s_waitcnt vmcnt(0)
	v_sub_u32_e32 v5, v5, v8
	v_addc_co_u32_e64 v12, s[26:27], 0, v12, s[26:27]
	s_andn2_b64 exec, exec, s[88:89]
	s_cbranch_execz .LBB10_429
.LBB10_397:                             ;   Parent Loop BB10_47 Depth=1
                                        ;     Parent Loop BB10_57 Depth=2
                                        ; =>    This Inner Loop Header: Depth=3
	buffer_load_dword v8, off, s[0:3], s33 offset:300 ; 4-byte Folded Reload
	buffer_load_dword v9, off, s[0:3], s33 offset:304 ; 4-byte Folded Reload
                                        ; implicit-def: $vgpr15
	s_waitcnt vmcnt(1)
	v_add_co_u32_e64 v8, s[26:27], v8, v7
	s_waitcnt vmcnt(0)
	v_addc_co_u32_e64 v9, s[26:27], v9, v12, s[26:27]
	global_load_dwordx4 v[8:11], v[8:9], off glc slc
	s_waitcnt vmcnt(0)
	v_lshlrev_b32_e32 v14, 16, v8
	v_mul_f32_e32 v16, v13, v14
	v_and_b32_e32 v14, 0x7f800000, v16
	v_cmp_ne_u32_e64 s[26:27], s64, v14
	s_and_saveexec_b64 s[90:91], s[26:27]
	s_xor_b64 s[26:27], exec, s[90:91]
; %bb.398:                              ;   in Loop: Header=BB10_397 Depth=3
	v_bfe_u32 v14, v16, 16, 1
	v_add3_u32 v15, v16, v14, s65
                                        ; implicit-def: $vgpr16
; %bb.399:                              ;   in Loop: Header=BB10_397 Depth=3
	s_andn2_saveexec_b64 s[90:91], s[26:27]
; %bb.400:                              ;   in Loop: Header=BB10_397 Depth=3
	v_or_b32_e32 v14, 0x10000, v16
	v_cmp_eq_u32_sdwa s[26:27], v16, v2 src0_sel:WORD_0 src1_sel:DWORD
	v_cndmask_b32_e64 v15, v14, v16, s[26:27]
; %bb.401:                              ;   in Loop: Header=BB10_397 Depth=3
	s_or_b64 exec, exec, s[90:91]
	v_and_b32_e32 v8, 0xffff0000, v8
	v_mul_f32_e32 v16, v13, v8
	v_and_b32_e32 v8, 0x7f800000, v16
	v_cmp_ne_u32_e64 s[26:27], s64, v8
                                        ; implicit-def: $vgpr8
	s_and_saveexec_b64 s[90:91], s[26:27]
	s_xor_b64 s[26:27], exec, s[90:91]
; %bb.402:                              ;   in Loop: Header=BB10_397 Depth=3
	v_bfe_u32 v8, v16, 16, 1
	v_add3_u32 v8, v16, v8, s65
                                        ; implicit-def: $vgpr16
; %bb.403:                              ;   in Loop: Header=BB10_397 Depth=3
	s_andn2_saveexec_b64 s[90:91], s[26:27]
; %bb.404:                              ;   in Loop: Header=BB10_397 Depth=3
	v_or_b32_e32 v8, 0x10000, v16
	v_cmp_eq_u32_sdwa s[26:27], v16, v2 src0_sel:WORD_0 src1_sel:DWORD
	v_cndmask_b32_e64 v8, v8, v16, s[26:27]
; %bb.405:                              ;   in Loop: Header=BB10_397 Depth=3
	s_or_b64 exec, exec, s[90:91]
	v_lshlrev_b32_e32 v14, 16, v9
	v_mul_f32_e32 v17, v13, v14
	v_and_b32_e32 v14, 0x7f800000, v17
	v_cmp_ne_u32_e64 s[26:27], s64, v14
                                        ; implicit-def: $vgpr16
	s_and_saveexec_b64 s[90:91], s[26:27]
	s_xor_b64 s[26:27], exec, s[90:91]
; %bb.406:                              ;   in Loop: Header=BB10_397 Depth=3
	v_bfe_u32 v14, v17, 16, 1
	v_add3_u32 v16, v17, v14, s65
                                        ; implicit-def: $vgpr17
; %bb.407:                              ;   in Loop: Header=BB10_397 Depth=3
	s_andn2_saveexec_b64 s[90:91], s[26:27]
; %bb.408:                              ;   in Loop: Header=BB10_397 Depth=3
	v_or_b32_e32 v14, 0x10000, v17
	v_cmp_eq_u32_sdwa s[26:27], v17, v2 src0_sel:WORD_0 src1_sel:DWORD
	v_cndmask_b32_e64 v16, v14, v17, s[26:27]
; %bb.409:                              ;   in Loop: Header=BB10_397 Depth=3
	s_or_b64 exec, exec, s[90:91]
	v_and_b32_e32 v9, 0xffff0000, v9
	v_mul_f32_e32 v17, v13, v9
	v_and_b32_e32 v9, 0x7f800000, v17
	v_cmp_ne_u32_e64 s[26:27], s64, v9
                                        ; implicit-def: $vgpr9
	s_and_saveexec_b64 s[90:91], s[26:27]
	s_xor_b64 s[26:27], exec, s[90:91]
; %bb.410:                              ;   in Loop: Header=BB10_397 Depth=3
	v_bfe_u32 v9, v17, 16, 1
	v_add3_u32 v9, v17, v9, s65
                                        ; implicit-def: $vgpr17
; %bb.411:                              ;   in Loop: Header=BB10_397 Depth=3
	s_andn2_saveexec_b64 s[90:91], s[26:27]
; %bb.412:                              ;   in Loop: Header=BB10_397 Depth=3
	v_or_b32_e32 v9, 0x10000, v17
	v_cmp_eq_u32_sdwa s[26:27], v17, v2 src0_sel:WORD_0 src1_sel:DWORD
	v_cndmask_b32_e64 v9, v9, v17, s[26:27]
; %bb.413:                              ;   in Loop: Header=BB10_397 Depth=3
	s_or_b64 exec, exec, s[90:91]
	v_lshlrev_b32_e32 v14, 16, v10
	v_mul_f32_e32 v18, v13, v14
	v_and_b32_e32 v14, 0x7f800000, v18
	v_cmp_ne_u32_e64 s[26:27], s64, v14
                                        ; implicit-def: $vgpr17
	s_and_saveexec_b64 s[90:91], s[26:27]
	s_xor_b64 s[26:27], exec, s[90:91]
; %bb.414:                              ;   in Loop: Header=BB10_397 Depth=3
	v_bfe_u32 v14, v18, 16, 1
	v_add3_u32 v17, v18, v14, s65
                                        ; implicit-def: $vgpr18
; %bb.415:                              ;   in Loop: Header=BB10_397 Depth=3
	s_andn2_saveexec_b64 s[90:91], s[26:27]
; %bb.416:                              ;   in Loop: Header=BB10_397 Depth=3
	v_or_b32_e32 v14, 0x10000, v18
	v_cmp_eq_u32_sdwa s[26:27], v18, v2 src0_sel:WORD_0 src1_sel:DWORD
	v_cndmask_b32_e64 v17, v14, v18, s[26:27]
; %bb.417:                              ;   in Loop: Header=BB10_397 Depth=3
	s_or_b64 exec, exec, s[90:91]
	v_and_b32_e32 v10, 0xffff0000, v10
	v_mul_f32_e32 v18, v13, v10
	v_and_b32_e32 v10, 0x7f800000, v18
	v_cmp_ne_u32_e64 s[26:27], s64, v10
                                        ; implicit-def: $vgpr10
	s_and_saveexec_b64 s[90:91], s[26:27]
	s_xor_b64 s[26:27], exec, s[90:91]
; %bb.418:                              ;   in Loop: Header=BB10_397 Depth=3
	v_bfe_u32 v10, v18, 16, 1
	v_add3_u32 v10, v18, v10, s65
                                        ; implicit-def: $vgpr18
; %bb.419:                              ;   in Loop: Header=BB10_397 Depth=3
	s_andn2_saveexec_b64 s[90:91], s[26:27]
; %bb.420:                              ;   in Loop: Header=BB10_397 Depth=3
	v_or_b32_e32 v10, 0x10000, v18
	v_cmp_eq_u32_sdwa s[26:27], v18, v2 src0_sel:WORD_0 src1_sel:DWORD
	v_cndmask_b32_e64 v10, v10, v18, s[26:27]
; %bb.421:                              ;   in Loop: Header=BB10_397 Depth=3
	s_or_b64 exec, exec, s[90:91]
	v_lshlrev_b32_e32 v14, 16, v11
	v_mul_f32_e32 v19, v13, v14
	v_and_b32_e32 v14, 0x7f800000, v19
	v_cmp_ne_u32_e64 s[26:27], s64, v14
                                        ; implicit-def: $vgpr18
	s_and_saveexec_b64 s[90:91], s[26:27]
	s_xor_b64 s[26:27], exec, s[90:91]
; %bb.422:                              ;   in Loop: Header=BB10_397 Depth=3
	v_bfe_u32 v14, v19, 16, 1
	v_add3_u32 v18, v19, v14, s65
                                        ; implicit-def: $vgpr19
; %bb.423:                              ;   in Loop: Header=BB10_397 Depth=3
	s_andn2_saveexec_b64 s[90:91], s[26:27]
; %bb.424:                              ;   in Loop: Header=BB10_397 Depth=3
	v_or_b32_e32 v14, 0x10000, v19
	v_cmp_eq_u32_sdwa s[26:27], v19, v2 src0_sel:WORD_0 src1_sel:DWORD
	v_cndmask_b32_e64 v18, v14, v19, s[26:27]
; %bb.425:                              ;   in Loop: Header=BB10_397 Depth=3
	s_or_b64 exec, exec, s[90:91]
	v_and_b32_e32 v11, 0xffff0000, v11
	v_mul_f32_e32 v19, v13, v11
	v_and_b32_e32 v11, 0x7f800000, v19
	v_cmp_ne_u32_e64 s[26:27], s64, v11
                                        ; implicit-def: $vgpr11
	s_and_saveexec_b64 s[90:91], s[26:27]
	s_xor_b64 s[26:27], exec, s[90:91]
; %bb.426:                              ;   in Loop: Header=BB10_397 Depth=3
	v_bfe_u32 v11, v19, 16, 1
	v_add3_u32 v11, v19, v11, s65
                                        ; implicit-def: $vgpr19
; %bb.427:                              ;   in Loop: Header=BB10_397 Depth=3
	s_andn2_saveexec_b64 s[90:91], s[26:27]
	s_cbranch_execz .LBB10_396
; %bb.428:                              ;   in Loop: Header=BB10_397 Depth=3
	v_or_b32_e32 v11, 0x10000, v19
	v_cmp_eq_u32_sdwa s[26:27], v19, v2 src0_sel:WORD_0 src1_sel:DWORD
	v_cndmask_b32_e64 v11, v11, v19, s[26:27]
	s_branch .LBB10_396
.LBB10_429:                             ;   in Loop: Header=BB10_57 Depth=2
	s_or_b64 exec, exec, s[88:89]
	buffer_load_dword v12, off, s[0:3], s33 offset:364 ; 4-byte Folded Reload
.LBB10_430:                             ;   in Loop: Header=BB10_57 Depth=2
	s_or_b64 exec, exec, s[78:79]
	buffer_load_dword v6, off, s[0:3], s33 offset:348 ; 4-byte Folded Reload
	s_waitcnt vmcnt(0)
	v_and_b32_e32 v6, 14, v6
	v_sub_u32_e32 v7, v4, v6
	v_cndmask_b32_e32 v7, 0, v7, vcc
	v_add3_u32 v0, v0, v3, v7
	buffer_load_dword v3, off, s[0:3], s33 offset:88 ; 4-byte Folded Reload
	v_cndmask_b32_e32 v4, v4, v6, vcc
	v_cmp_lt_i32_e32 vcc, 0, v5
	buffer_store_dword v4, off, s[0:3], s33 offset:348 ; 4-byte Folded Spill
	s_waitcnt vmcnt(1)
	v_cndmask_b32_e32 v3, 0, v3, vcc
	v_sub_u32_e32 v3, v3, v5
	v_cmp_ne_u32_e32 vcc, 0, v4
	v_lshl_add_u32 v1, v3, 6, v1
	s_and_b64 s[78:79], vcc, exec
.LBB10_431:                             ;   in Loop: Header=BB10_57 Depth=2
	s_or_b64 exec, exec, s[76:77]
	s_and_saveexec_b64 s[26:27], s[78:79]
	s_cbranch_execz .LBB10_508
.LBB10_432:                             ;   in Loop: Header=BB10_57 Depth=2
	buffer_load_dword v6, off, s[0:3], s33 offset:348 ; 4-byte Folded Reload
	s_waitcnt vmcnt(1)
	v_ashrrev_i32_e32 v3, 31, v1
	v_lshrrev_b32_e32 v3, 26, v3
	v_add_u32_e32 v3, v1, v3
	v_ashrrev_i32_e32 v5, 6, v3
	s_waitcnt vmcnt(0)
	v_ashrrev_i32_e32 v4, 31, v6
	v_lshrrev_b32_e32 v4, 21, v4
	v_add_u32_e32 v4, v6, v4
	v_ashrrev_i32_e32 v7, 11, v4
	v_sub_u32_e32 v6, v7, v5
	v_cmp_lt_i32_e32 vcc, 0, v6
	s_and_saveexec_b64 s[76:77], vcc
	s_cbranch_execz .LBB10_500
; %bb.433:                              ;   in Loop: Header=BB10_57 Depth=2
	s_trap 2
	ds_read_b32 v4, v0
	v_and_b32_e32 v3, 0x7fffffc0, v3
	v_sub_u32_e32 v3, v1, v3
	v_lshlrev_b32_e32 v3, 1, v3
	v_lshlrev_b32_e32 v8, 11, v5
	v_add3_u32 v12, v3, v0, v8
	s_waitcnt lgkmcnt(0)
	v_lshlrev_b32_e32 v15, 16, v4
	buffer_load_dword v3, off, s[0:3], s33 offset:308 ; 4-byte Folded Reload
	buffer_load_dword v4, off, s[0:3], s33 offset:312 ; 4-byte Folded Reload
	buffer_load_dword v8, off, s[0:3], s33 offset:300 ; 4-byte Folded Reload
	buffer_load_dword v9, off, s[0:3], s33 offset:304 ; 4-byte Folded Reload
	v_ashrrev_i32_e32 v13, 31, v12
	s_mov_b64 s[78:79], 0
	s_branch .LBB10_435
.LBB10_434:                             ;   in Loop: Header=BB10_435 Depth=3
	s_or_b64 exec, exec, s[88:89]
	v_add_co_u32_e32 v33, vcc, v12, v3
	v_addc_co_u32_e32 v34, vcc, v13, v4, vcc
	flat_store_short_d16_hi v[33:34], v16 glc slc
	flat_store_short_d16_hi v[33:34], v17 offset:128 glc slc
	flat_store_short_d16_hi v[33:34], v18 offset:256 glc slc
	;; [unrolled: 1-line block ×15, first 2 shown]
	buffer_load_dword v10, off, s[0:3], s33 offset:88 ; 4-byte Folded Reload
	s_waitcnt vmcnt(0)
	v_sub_u32_e32 v6, v6, v10
	buffer_load_dword v10, off, s[0:3], s33 offset:92 ; 4-byte Folded Reload
	s_waitcnt vmcnt(0)
	v_add_co_u32_e32 v8, vcc, v8, v10
	v_addc_co_u32_e32 v9, vcc, 0, v9, vcc
	v_cmp_gt_i32_e32 vcc, 1, v6
	s_or_b64 s[78:79], vcc, s[78:79]
	v_add_co_u32_e32 v3, vcc, v3, v10
	v_addc_co_u32_e32 v4, vcc, 0, v4, vcc
	s_andn2_b64 exec, exec, s[78:79]
	s_cbranch_execz .LBB10_499
.LBB10_435:                             ;   Parent Loop BB10_47 Depth=1
                                        ;     Parent Loop BB10_57 Depth=2
                                        ; =>    This Inner Loop Header: Depth=3
	s_waitcnt vmcnt(0)
	v_add_co_u32_e32 v10, vcc, v12, v8
	s_waitcnt vmcnt(0)
	v_addc_co_u32_e32 v11, vcc, v13, v9, vcc
	flat_load_ushort v14, v[10:11] glc slc
                                        ; implicit-def: $vgpr16
	s_waitcnt vmcnt(0) lgkmcnt(0)
	v_lshlrev_b32_e32 v14, 16, v14
	v_mul_f32_e32 v17, v15, v14
	v_and_b32_e32 v14, 0x7f800000, v17
	v_cmp_ne_u32_e32 vcc, s64, v14
	s_and_saveexec_b64 s[88:89], vcc
	s_xor_b64 s[88:89], exec, s[88:89]
; %bb.436:                              ;   in Loop: Header=BB10_435 Depth=3
	v_bfe_u32 v14, v17, 16, 1
	v_add3_u32 v16, v17, v14, s65
                                        ; implicit-def: $vgpr17
; %bb.437:                              ;   in Loop: Header=BB10_435 Depth=3
	s_andn2_saveexec_b64 s[88:89], s[88:89]
; %bb.438:                              ;   in Loop: Header=BB10_435 Depth=3
	v_or_b32_e32 v14, 0x10000, v17
	v_cmp_eq_u32_sdwa vcc, v17, v2 src0_sel:WORD_0 src1_sel:DWORD
	v_cndmask_b32_e32 v16, v14, v17, vcc
; %bb.439:                              ;   in Loop: Header=BB10_435 Depth=3
	s_or_b64 exec, exec, s[88:89]
	flat_load_ushort v14, v[10:11] offset:128 glc slc
                                        ; implicit-def: $vgpr17
	s_waitcnt vmcnt(0) lgkmcnt(0)
	v_lshlrev_b32_e32 v14, 16, v14
	v_mul_f32_e32 v18, v15, v14
	v_and_b32_e32 v14, 0x7f800000, v18
	v_cmp_ne_u32_e32 vcc, s64, v14
	s_and_saveexec_b64 s[88:89], vcc
	s_xor_b64 s[88:89], exec, s[88:89]
; %bb.440:                              ;   in Loop: Header=BB10_435 Depth=3
	v_bfe_u32 v14, v18, 16, 1
	v_add3_u32 v17, v18, v14, s65
                                        ; implicit-def: $vgpr18
; %bb.441:                              ;   in Loop: Header=BB10_435 Depth=3
	s_andn2_saveexec_b64 s[88:89], s[88:89]
; %bb.442:                              ;   in Loop: Header=BB10_435 Depth=3
	v_or_b32_e32 v14, 0x10000, v18
	v_cmp_eq_u32_sdwa vcc, v18, v2 src0_sel:WORD_0 src1_sel:DWORD
	v_cndmask_b32_e32 v17, v14, v18, vcc
; %bb.443:                              ;   in Loop: Header=BB10_435 Depth=3
	s_or_b64 exec, exec, s[88:89]
	flat_load_ushort v14, v[10:11] offset:256 glc slc
                                        ; implicit-def: $vgpr18
	s_waitcnt vmcnt(0) lgkmcnt(0)
	v_lshlrev_b32_e32 v14, 16, v14
	v_mul_f32_e32 v19, v15, v14
	v_and_b32_e32 v14, 0x7f800000, v19
	v_cmp_ne_u32_e32 vcc, s64, v14
	s_and_saveexec_b64 s[88:89], vcc
	s_xor_b64 s[88:89], exec, s[88:89]
; %bb.444:                              ;   in Loop: Header=BB10_435 Depth=3
	v_bfe_u32 v14, v19, 16, 1
	v_add3_u32 v18, v19, v14, s65
                                        ; implicit-def: $vgpr19
; %bb.445:                              ;   in Loop: Header=BB10_435 Depth=3
	s_andn2_saveexec_b64 s[88:89], s[88:89]
; %bb.446:                              ;   in Loop: Header=BB10_435 Depth=3
	v_or_b32_e32 v14, 0x10000, v19
	v_cmp_eq_u32_sdwa vcc, v19, v2 src0_sel:WORD_0 src1_sel:DWORD
	v_cndmask_b32_e32 v18, v14, v19, vcc
; %bb.447:                              ;   in Loop: Header=BB10_435 Depth=3
	s_or_b64 exec, exec, s[88:89]
	flat_load_ushort v14, v[10:11] offset:384 glc slc
                                        ; implicit-def: $vgpr19
	s_waitcnt vmcnt(0) lgkmcnt(0)
	v_lshlrev_b32_e32 v14, 16, v14
	v_mul_f32_e32 v20, v15, v14
	v_and_b32_e32 v14, 0x7f800000, v20
	v_cmp_ne_u32_e32 vcc, s64, v14
	s_and_saveexec_b64 s[88:89], vcc
	s_xor_b64 s[88:89], exec, s[88:89]
; %bb.448:                              ;   in Loop: Header=BB10_435 Depth=3
	v_bfe_u32 v14, v20, 16, 1
	v_add3_u32 v19, v20, v14, s65
                                        ; implicit-def: $vgpr20
; %bb.449:                              ;   in Loop: Header=BB10_435 Depth=3
	s_andn2_saveexec_b64 s[88:89], s[88:89]
; %bb.450:                              ;   in Loop: Header=BB10_435 Depth=3
	v_or_b32_e32 v14, 0x10000, v20
	v_cmp_eq_u32_sdwa vcc, v20, v2 src0_sel:WORD_0 src1_sel:DWORD
	v_cndmask_b32_e32 v19, v14, v20, vcc
; %bb.451:                              ;   in Loop: Header=BB10_435 Depth=3
	s_or_b64 exec, exec, s[88:89]
	flat_load_ushort v14, v[10:11] offset:512 glc slc
                                        ; implicit-def: $vgpr20
	s_waitcnt vmcnt(0) lgkmcnt(0)
	v_lshlrev_b32_e32 v14, 16, v14
	v_mul_f32_e32 v21, v15, v14
	v_and_b32_e32 v14, 0x7f800000, v21
	v_cmp_ne_u32_e32 vcc, s64, v14
	s_and_saveexec_b64 s[88:89], vcc
	s_xor_b64 s[88:89], exec, s[88:89]
; %bb.452:                              ;   in Loop: Header=BB10_435 Depth=3
	v_bfe_u32 v14, v21, 16, 1
	v_add3_u32 v20, v21, v14, s65
                                        ; implicit-def: $vgpr21
; %bb.453:                              ;   in Loop: Header=BB10_435 Depth=3
	s_andn2_saveexec_b64 s[88:89], s[88:89]
; %bb.454:                              ;   in Loop: Header=BB10_435 Depth=3
	v_or_b32_e32 v14, 0x10000, v21
	v_cmp_eq_u32_sdwa vcc, v21, v2 src0_sel:WORD_0 src1_sel:DWORD
	v_cndmask_b32_e32 v20, v14, v21, vcc
; %bb.455:                              ;   in Loop: Header=BB10_435 Depth=3
	s_or_b64 exec, exec, s[88:89]
	flat_load_ushort v14, v[10:11] offset:640 glc slc
                                        ; implicit-def: $vgpr21
	s_waitcnt vmcnt(0) lgkmcnt(0)
	v_lshlrev_b32_e32 v14, 16, v14
	v_mul_f32_e32 v22, v15, v14
	v_and_b32_e32 v14, 0x7f800000, v22
	v_cmp_ne_u32_e32 vcc, s64, v14
	s_and_saveexec_b64 s[88:89], vcc
	s_xor_b64 s[88:89], exec, s[88:89]
; %bb.456:                              ;   in Loop: Header=BB10_435 Depth=3
	v_bfe_u32 v14, v22, 16, 1
	v_add3_u32 v21, v22, v14, s65
                                        ; implicit-def: $vgpr22
; %bb.457:                              ;   in Loop: Header=BB10_435 Depth=3
	s_andn2_saveexec_b64 s[88:89], s[88:89]
; %bb.458:                              ;   in Loop: Header=BB10_435 Depth=3
	v_or_b32_e32 v14, 0x10000, v22
	v_cmp_eq_u32_sdwa vcc, v22, v2 src0_sel:WORD_0 src1_sel:DWORD
	v_cndmask_b32_e32 v21, v14, v22, vcc
; %bb.459:                              ;   in Loop: Header=BB10_435 Depth=3
	s_or_b64 exec, exec, s[88:89]
	flat_load_ushort v14, v[10:11] offset:768 glc slc
                                        ; implicit-def: $vgpr22
	s_waitcnt vmcnt(0) lgkmcnt(0)
	v_lshlrev_b32_e32 v14, 16, v14
	v_mul_f32_e32 v23, v15, v14
	v_and_b32_e32 v14, 0x7f800000, v23
	v_cmp_ne_u32_e32 vcc, s64, v14
	s_and_saveexec_b64 s[88:89], vcc
	s_xor_b64 s[88:89], exec, s[88:89]
; %bb.460:                              ;   in Loop: Header=BB10_435 Depth=3
	v_bfe_u32 v14, v23, 16, 1
	v_add3_u32 v22, v23, v14, s65
                                        ; implicit-def: $vgpr23
; %bb.461:                              ;   in Loop: Header=BB10_435 Depth=3
	s_andn2_saveexec_b64 s[88:89], s[88:89]
; %bb.462:                              ;   in Loop: Header=BB10_435 Depth=3
	v_or_b32_e32 v14, 0x10000, v23
	v_cmp_eq_u32_sdwa vcc, v23, v2 src0_sel:WORD_0 src1_sel:DWORD
	v_cndmask_b32_e32 v22, v14, v23, vcc
; %bb.463:                              ;   in Loop: Header=BB10_435 Depth=3
	s_or_b64 exec, exec, s[88:89]
	flat_load_ushort v14, v[10:11] offset:896 glc slc
                                        ; implicit-def: $vgpr23
	s_waitcnt vmcnt(0) lgkmcnt(0)
	v_lshlrev_b32_e32 v14, 16, v14
	v_mul_f32_e32 v24, v15, v14
	v_and_b32_e32 v14, 0x7f800000, v24
	v_cmp_ne_u32_e32 vcc, s64, v14
	s_and_saveexec_b64 s[88:89], vcc
	s_xor_b64 s[88:89], exec, s[88:89]
; %bb.464:                              ;   in Loop: Header=BB10_435 Depth=3
	v_bfe_u32 v14, v24, 16, 1
	v_add3_u32 v23, v24, v14, s65
                                        ; implicit-def: $vgpr24
; %bb.465:                              ;   in Loop: Header=BB10_435 Depth=3
	s_andn2_saveexec_b64 s[88:89], s[88:89]
; %bb.466:                              ;   in Loop: Header=BB10_435 Depth=3
	v_or_b32_e32 v14, 0x10000, v24
	v_cmp_eq_u32_sdwa vcc, v24, v2 src0_sel:WORD_0 src1_sel:DWORD
	v_cndmask_b32_e32 v23, v14, v24, vcc
; %bb.467:                              ;   in Loop: Header=BB10_435 Depth=3
	s_or_b64 exec, exec, s[88:89]
	flat_load_ushort v14, v[10:11] offset:1024 glc slc
                                        ; implicit-def: $vgpr24
	s_waitcnt vmcnt(0) lgkmcnt(0)
	v_lshlrev_b32_e32 v14, 16, v14
	v_mul_f32_e32 v25, v15, v14
	v_and_b32_e32 v14, 0x7f800000, v25
	v_cmp_ne_u32_e32 vcc, s64, v14
	s_and_saveexec_b64 s[88:89], vcc
	s_xor_b64 s[88:89], exec, s[88:89]
; %bb.468:                              ;   in Loop: Header=BB10_435 Depth=3
	v_bfe_u32 v14, v25, 16, 1
	v_add3_u32 v24, v25, v14, s65
                                        ; implicit-def: $vgpr25
; %bb.469:                              ;   in Loop: Header=BB10_435 Depth=3
	s_andn2_saveexec_b64 s[88:89], s[88:89]
; %bb.470:                              ;   in Loop: Header=BB10_435 Depth=3
	v_or_b32_e32 v14, 0x10000, v25
	v_cmp_eq_u32_sdwa vcc, v25, v2 src0_sel:WORD_0 src1_sel:DWORD
	v_cndmask_b32_e32 v24, v14, v25, vcc
; %bb.471:                              ;   in Loop: Header=BB10_435 Depth=3
	s_or_b64 exec, exec, s[88:89]
	flat_load_ushort v14, v[10:11] offset:1152 glc slc
                                        ; implicit-def: $vgpr25
	s_waitcnt vmcnt(0) lgkmcnt(0)
	v_lshlrev_b32_e32 v14, 16, v14
	v_mul_f32_e32 v26, v15, v14
	v_and_b32_e32 v14, 0x7f800000, v26
	v_cmp_ne_u32_e32 vcc, s64, v14
	s_and_saveexec_b64 s[88:89], vcc
	s_xor_b64 s[88:89], exec, s[88:89]
; %bb.472:                              ;   in Loop: Header=BB10_435 Depth=3
	v_bfe_u32 v14, v26, 16, 1
	v_add3_u32 v25, v26, v14, s65
                                        ; implicit-def: $vgpr26
; %bb.473:                              ;   in Loop: Header=BB10_435 Depth=3
	s_andn2_saveexec_b64 s[88:89], s[88:89]
; %bb.474:                              ;   in Loop: Header=BB10_435 Depth=3
	v_or_b32_e32 v14, 0x10000, v26
	v_cmp_eq_u32_sdwa vcc, v26, v2 src0_sel:WORD_0 src1_sel:DWORD
	v_cndmask_b32_e32 v25, v14, v26, vcc
; %bb.475:                              ;   in Loop: Header=BB10_435 Depth=3
	s_or_b64 exec, exec, s[88:89]
	flat_load_ushort v14, v[10:11] offset:1280 glc slc
                                        ; implicit-def: $vgpr26
	s_waitcnt vmcnt(0) lgkmcnt(0)
	v_lshlrev_b32_e32 v14, 16, v14
	v_mul_f32_e32 v27, v15, v14
	v_and_b32_e32 v14, 0x7f800000, v27
	v_cmp_ne_u32_e32 vcc, s64, v14
	s_and_saveexec_b64 s[88:89], vcc
	s_xor_b64 s[88:89], exec, s[88:89]
; %bb.476:                              ;   in Loop: Header=BB10_435 Depth=3
	v_bfe_u32 v14, v27, 16, 1
	v_add3_u32 v26, v27, v14, s65
                                        ; implicit-def: $vgpr27
; %bb.477:                              ;   in Loop: Header=BB10_435 Depth=3
	s_andn2_saveexec_b64 s[88:89], s[88:89]
; %bb.478:                              ;   in Loop: Header=BB10_435 Depth=3
	v_or_b32_e32 v14, 0x10000, v27
	v_cmp_eq_u32_sdwa vcc, v27, v2 src0_sel:WORD_0 src1_sel:DWORD
	v_cndmask_b32_e32 v26, v14, v27, vcc
; %bb.479:                              ;   in Loop: Header=BB10_435 Depth=3
	s_or_b64 exec, exec, s[88:89]
	flat_load_ushort v14, v[10:11] offset:1408 glc slc
                                        ; implicit-def: $vgpr27
	s_waitcnt vmcnt(0) lgkmcnt(0)
	v_lshlrev_b32_e32 v14, 16, v14
	v_mul_f32_e32 v28, v15, v14
	v_and_b32_e32 v14, 0x7f800000, v28
	v_cmp_ne_u32_e32 vcc, s64, v14
	s_and_saveexec_b64 s[88:89], vcc
	s_xor_b64 s[88:89], exec, s[88:89]
; %bb.480:                              ;   in Loop: Header=BB10_435 Depth=3
	v_bfe_u32 v14, v28, 16, 1
	v_add3_u32 v27, v28, v14, s65
                                        ; implicit-def: $vgpr28
; %bb.481:                              ;   in Loop: Header=BB10_435 Depth=3
	s_andn2_saveexec_b64 s[88:89], s[88:89]
; %bb.482:                              ;   in Loop: Header=BB10_435 Depth=3
	v_or_b32_e32 v14, 0x10000, v28
	v_cmp_eq_u32_sdwa vcc, v28, v2 src0_sel:WORD_0 src1_sel:DWORD
	v_cndmask_b32_e32 v27, v14, v28, vcc
; %bb.483:                              ;   in Loop: Header=BB10_435 Depth=3
	s_or_b64 exec, exec, s[88:89]
	flat_load_ushort v14, v[10:11] offset:1536 glc slc
                                        ; implicit-def: $vgpr28
	s_waitcnt vmcnt(0) lgkmcnt(0)
	v_lshlrev_b32_e32 v14, 16, v14
	v_mul_f32_e32 v29, v15, v14
	v_and_b32_e32 v14, 0x7f800000, v29
	v_cmp_ne_u32_e32 vcc, s64, v14
	s_and_saveexec_b64 s[88:89], vcc
	s_xor_b64 s[88:89], exec, s[88:89]
; %bb.484:                              ;   in Loop: Header=BB10_435 Depth=3
	v_bfe_u32 v14, v29, 16, 1
	v_add3_u32 v28, v29, v14, s65
                                        ; implicit-def: $vgpr29
; %bb.485:                              ;   in Loop: Header=BB10_435 Depth=3
	s_andn2_saveexec_b64 s[88:89], s[88:89]
; %bb.486:                              ;   in Loop: Header=BB10_435 Depth=3
	v_or_b32_e32 v14, 0x10000, v29
	v_cmp_eq_u32_sdwa vcc, v29, v2 src0_sel:WORD_0 src1_sel:DWORD
	v_cndmask_b32_e32 v28, v14, v29, vcc
; %bb.487:                              ;   in Loop: Header=BB10_435 Depth=3
	s_or_b64 exec, exec, s[88:89]
	flat_load_ushort v14, v[10:11] offset:1664 glc slc
                                        ; implicit-def: $vgpr29
	s_waitcnt vmcnt(0) lgkmcnt(0)
	v_lshlrev_b32_e32 v14, 16, v14
	v_mul_f32_e32 v30, v15, v14
	v_and_b32_e32 v14, 0x7f800000, v30
	v_cmp_ne_u32_e32 vcc, s64, v14
	s_and_saveexec_b64 s[88:89], vcc
	s_xor_b64 s[88:89], exec, s[88:89]
; %bb.488:                              ;   in Loop: Header=BB10_435 Depth=3
	v_bfe_u32 v14, v30, 16, 1
	v_add3_u32 v29, v30, v14, s65
                                        ; implicit-def: $vgpr30
; %bb.489:                              ;   in Loop: Header=BB10_435 Depth=3
	s_andn2_saveexec_b64 s[88:89], s[88:89]
; %bb.490:                              ;   in Loop: Header=BB10_435 Depth=3
	v_or_b32_e32 v14, 0x10000, v30
	v_cmp_eq_u32_sdwa vcc, v30, v2 src0_sel:WORD_0 src1_sel:DWORD
	v_cndmask_b32_e32 v29, v14, v30, vcc
; %bb.491:                              ;   in Loop: Header=BB10_435 Depth=3
	s_or_b64 exec, exec, s[88:89]
	flat_load_ushort v14, v[10:11] offset:1792 glc slc
                                        ; implicit-def: $vgpr30
	s_waitcnt vmcnt(0) lgkmcnt(0)
	v_lshlrev_b32_e32 v14, 16, v14
	v_mul_f32_e32 v31, v15, v14
	v_and_b32_e32 v14, 0x7f800000, v31
	v_cmp_ne_u32_e32 vcc, s64, v14
	s_and_saveexec_b64 s[88:89], vcc
	s_xor_b64 s[88:89], exec, s[88:89]
; %bb.492:                              ;   in Loop: Header=BB10_435 Depth=3
	v_bfe_u32 v14, v31, 16, 1
	v_add3_u32 v30, v31, v14, s65
                                        ; implicit-def: $vgpr31
; %bb.493:                              ;   in Loop: Header=BB10_435 Depth=3
	s_andn2_saveexec_b64 s[88:89], s[88:89]
; %bb.494:                              ;   in Loop: Header=BB10_435 Depth=3
	v_or_b32_e32 v14, 0x10000, v31
	v_cmp_eq_u32_sdwa vcc, v31, v2 src0_sel:WORD_0 src1_sel:DWORD
	v_cndmask_b32_e32 v30, v14, v31, vcc
; %bb.495:                              ;   in Loop: Header=BB10_435 Depth=3
	s_or_b64 exec, exec, s[88:89]
	flat_load_ushort v10, v[10:11] offset:1920 glc slc
	s_waitcnt vmcnt(0) lgkmcnt(0)
	v_lshlrev_b32_e32 v10, 16, v10
	v_mul_f32_e32 v11, v15, v10
	v_and_b32_e32 v10, 0x7f800000, v11
	v_cmp_ne_u32_e32 vcc, s64, v10
                                        ; implicit-def: $vgpr10
	s_and_saveexec_b64 s[88:89], vcc
	s_xor_b64 s[88:89], exec, s[88:89]
; %bb.496:                              ;   in Loop: Header=BB10_435 Depth=3
	v_bfe_u32 v10, v11, 16, 1
	v_add3_u32 v10, v11, v10, s65
                                        ; implicit-def: $vgpr11
; %bb.497:                              ;   in Loop: Header=BB10_435 Depth=3
	s_andn2_saveexec_b64 s[88:89], s[88:89]
	s_cbranch_execz .LBB10_434
; %bb.498:                              ;   in Loop: Header=BB10_435 Depth=3
	v_or_b32_e32 v10, 0x10000, v11
	v_cmp_eq_u32_sdwa vcc, v11, v2 src0_sel:WORD_0 src1_sel:DWORD
	v_cndmask_b32_e32 v10, v10, v11, vcc
	s_branch .LBB10_434
.LBB10_499:                             ;   in Loop: Header=BB10_57 Depth=2
	s_or_b64 exec, exec, s[78:79]
	buffer_load_dword v12, off, s[0:3], s33 offset:364 ; 4-byte Folded Reload
.LBB10_500:                             ;   in Loop: Header=BB10_57 Depth=2
	s_or_b64 exec, exec, s[76:77]
	buffer_load_dword v4, off, s[0:3], s33 offset:348 ; 4-byte Folded Reload
	v_lshlrev_b32_e32 v3, 11, v7
	s_waitcnt vmcnt(0)
	v_cmp_ne_u32_e32 vcc, v4, v3
	s_and_b64 exec, exec, vcc
	s_cbranch_execz .LBB10_508
; %bb.501:                              ;   in Loop: Header=BB10_57 Depth=2
	v_lshlrev_b32_e32 v4, 6, v5
	v_sub_u32_e32 v1, v1, v4
	v_lshlrev_b32_e32 v4, 6, v6
	v_sub_u32_e32 v1, v1, v4
	v_ashrrev_i32_e32 v4, 31, v1
	v_lshrrev_b32_e32 v4, 26, v4
	v_add_u32_e32 v4, v1, v4
	v_and_b32_e32 v5, 0x7fffffc0, v4
	v_sub_u32_e32 v1, v1, v5
	v_lshlrev_b32_e32 v4, 1, v4
	v_and_b32_e32 v4, 0xffffff80, v4
	v_lshlrev_b32_e32 v1, 1, v1
	v_add3_u32 v3, v4, v1, v3
	buffer_load_dword v1, off, s[0:3], s33 offset:348 ; 4-byte Folded Reload
	s_waitcnt vmcnt(0)
	v_sub_u32_e32 v1, v1, v3
	v_cmp_lt_i32_e32 vcc, 1, v1
	s_and_b64 exec, exec, vcc
	s_cbranch_execz .LBB10_508
; %bb.502:                              ;   in Loop: Header=BB10_57 Depth=2
	s_trap 2
	ds_read_b32 v4, v0
	v_add_u32_e32 v0, v3, v0
	v_ashrrev_i32_e32 v3, 31, v0
	s_mov_b64 s[76:77], 0
	s_waitcnt lgkmcnt(0)
	v_lshlrev_b32_e32 v4, 16, v4
	s_branch .LBB10_504
.LBB10_503:                             ;   in Loop: Header=BB10_504 Depth=3
	s_or_b64 exec, exec, s[78:79]
	buffer_load_dword v6, off, s[0:3], s33 offset:308 ; 4-byte Folded Reload
	buffer_load_dword v7, off, s[0:3], s33 offset:312 ; 4-byte Folded Reload
	s_waitcnt vmcnt(1)
	v_add_co_u32_e32 v6, vcc, v6, v0
	s_waitcnt vmcnt(0)
	v_addc_co_u32_e32 v7, vcc, v7, v3, vcc
	flat_store_short_d16_hi v[6:7], v5 glc slc
	buffer_load_dword v5, off, s[0:3], s33 offset:96 ; 4-byte Folded Reload
	s_waitcnt vmcnt(0)
	v_sub_u32_e32 v1, v1, v5
	v_cmp_gt_i32_e32 vcc, 2, v1
	s_or_b64 s[76:77], vcc, s[76:77]
	v_add_co_u32_e32 v0, vcc, v0, v5
	v_addc_co_u32_e32 v3, vcc, 0, v3, vcc
	s_andn2_b64 exec, exec, s[76:77]
	s_cbranch_execz .LBB10_508
.LBB10_504:                             ;   Parent Loop BB10_47 Depth=1
                                        ;     Parent Loop BB10_57 Depth=2
                                        ; =>    This Inner Loop Header: Depth=3
	buffer_load_dword v5, off, s[0:3], s33 offset:300 ; 4-byte Folded Reload
	buffer_load_dword v6, off, s[0:3], s33 offset:304 ; 4-byte Folded Reload
	s_waitcnt vmcnt(0)
	v_add_co_u32_e32 v5, vcc, v5, v0
	s_waitcnt vmcnt(0)
	v_addc_co_u32_e32 v6, vcc, v6, v3, vcc
	flat_load_ushort v5, v[5:6] glc slc
	s_waitcnt vmcnt(0) lgkmcnt(0)
	v_lshlrev_b32_e32 v5, 16, v5
	v_mul_f32_e32 v6, v4, v5
	v_and_b32_e32 v5, 0x7f800000, v6
	v_cmp_ne_u32_e32 vcc, s64, v5
                                        ; implicit-def: $vgpr5
	s_and_saveexec_b64 s[78:79], vcc
	s_xor_b64 s[78:79], exec, s[78:79]
; %bb.505:                              ;   in Loop: Header=BB10_504 Depth=3
	v_bfe_u32 v5, v6, 16, 1
	v_add3_u32 v5, v6, v5, s65
                                        ; implicit-def: $vgpr6
; %bb.506:                              ;   in Loop: Header=BB10_504 Depth=3
	s_andn2_saveexec_b64 s[78:79], s[78:79]
	s_cbranch_execz .LBB10_503
; %bb.507:                              ;   in Loop: Header=BB10_504 Depth=3
	v_or_b32_e32 v5, 0x10000, v6
	v_cmp_eq_u32_sdwa vcc, v6, v2 src0_sel:WORD_0 src1_sel:DWORD
	v_cndmask_b32_e32 v5, v5, v6, vcc
	s_branch .LBB10_503
.LBB10_508:                             ;   in Loop: Header=BB10_57 Depth=2
	s_or_b64 exec, exec, s[26:27]
	buffer_load_dword v0, off, s[0:3], s33 offset:352 ; 4-byte Folded Reload
	s_waitcnt vmcnt(0)
	v_cmp_lt_i32_e64 s[26:27], 0, v0
	s_and_saveexec_b64 s[76:77], s[10:11]
	s_cbranch_execz .LBB10_128
.LBB10_509:                             ;   in Loop: Header=BB10_57 Depth=2
	s_and_saveexec_b64 s[78:79], s[56:57]
	s_xor_b64 s[78:79], exec, s[78:79]
	s_cbranch_execz .LBB10_524
; %bb.510:                              ;   in Loop: Header=BB10_57 Depth=2
	s_and_saveexec_b64 s[88:89], s[16:17]
	s_cbranch_execz .LBB10_523
; %bb.511:                              ;   in Loop: Header=BB10_57 Depth=2
	s_mov_b64 s[92:93], exec
	v_mbcnt_lo_u32_b32 v0, s92, 0
	v_mbcnt_hi_u32_b32 v0, s93, v0
	v_cmp_eq_u32_e32 vcc, 0, v0
	s_waitcnt vmcnt(0) lgkmcnt(0)
	buffer_wbinvl1_vol
	s_and_saveexec_b64 s[90:91], vcc
	s_cbranch_execz .LBB10_513
; %bb.512:                              ;   in Loop: Header=BB10_57 Depth=2
	s_bcnt1_i32_b64 s92, s[92:93]
	v_mov_b32_e32 v0, s92
	v_mov_b32_e32 v1, v2
	ds_add_u64 v0, v[0:1]
	s_trap 2
.LBB10_513:                             ;   in Loop: Header=BB10_57 Depth=2
	s_or_b64 exec, exec, s[90:91]
	s_trap 2
	ds_read_b64 v[0:1], v0
	s_waitcnt lgkmcnt(0)
	buffer_load_dword v3, off, s[0:3], s33 offset:72 ; 4-byte Folded Reload
	buffer_load_dword v4, off, s[0:3], s33 offset:76 ; 4-byte Folded Reload
	;; [unrolled: 1-line block ×3, first 2 shown]
	s_waitcnt vmcnt(0)
	v_add_co_u32_e32 v3, vcc, v3, v5
	v_addc_co_u32_e32 v4, vcc, 0, v4, vcc
	buffer_store_dword v3, off, s[0:3], s33 offset:72 ; 4-byte Folded Spill
	s_nop 0
	buffer_store_dword v4, off, s[0:3], s33 offset:76 ; 4-byte Folded Spill
	v_cmp_lt_u64_e32 vcc, v[0:1], v[3:4]
	s_and_saveexec_b64 s[90:91], vcc
	s_cbranch_execz .LBB10_522
; %bb.514:                              ;   in Loop: Header=BB10_57 Depth=2
	s_mov_b32 s38, 0
	s_mov_b64 s[92:93], 0
                                        ; implicit-def: $sgpr94_sgpr95
                                        ; implicit-def: $sgpr30_sgpr31
	s_branch .LBB10_516
.LBB10_515:                             ;   in Loop: Header=BB10_516 Depth=3
	s_or_b64 exec, exec, s[36:37]
	s_and_b64 vcc, exec, vcc
	s_or_b64 s[92:93], vcc, s[92:93]
	s_andn2_b64 s[94:95], s[94:95], exec
	s_and_b64 vcc, s[30:31], exec
	s_or_b64 s[94:95], s[94:95], vcc
	s_andn2_b64 exec, exec, s[92:93]
	s_cbranch_execz .LBB10_520
.LBB10_516:                             ;   Parent Loop BB10_47 Depth=1
                                        ;     Parent Loop BB10_57 Depth=2
                                        ; =>    This Inner Loop Header: Depth=3
	s_add_i32 s38, s38, 1
	s_cmpk_lg_i32 s38, 0x2710
	s_cselect_b64 s[34:35], -1, 0
	s_and_b64 vcc, exec, s[34:35]
	s_cbranch_vccz .LBB10_518
; %bb.517:                              ;   in Loop: Header=BB10_516 Depth=3
	s_mov_b64 vcc, -1
	s_or_b64 s[30:31], s[30:31], exec
	s_and_saveexec_b64 s[36:37], s[34:35]
	s_cbranch_execz .LBB10_515
	s_branch .LBB10_519
.LBB10_518:                             ;   in Loop: Header=BB10_516 Depth=3
	s_trap 2
	ds_read_b64 v[0:1], v0
	s_andn2_b64 s[34:35], s[34:35], exec
	s_mov_b32 s38, 0
	s_waitcnt vmcnt(0) lgkmcnt(0)
	flat_load_dword v0, v[0:1] glc
	s_waitcnt vmcnt(0) lgkmcnt(0)
	buffer_wbinvl1_vol
	v_cmp_eq_u32_e32 vcc, 0, v0
	s_and_b64 vcc, vcc, exec
	s_or_b64 s[34:35], s[34:35], vcc
	s_mov_b64 vcc, -1
	s_or_b64 s[30:31], s[30:31], exec
	s_and_saveexec_b64 s[36:37], s[34:35]
	s_cbranch_execz .LBB10_515
.LBB10_519:                             ;   in Loop: Header=BB10_516 Depth=3
	s_sleep 1
	s_trap 2
	ds_read_b64 v[0:1], v0
	s_waitcnt lgkmcnt(0)
	buffer_load_dword v3, off, s[0:3], s33 offset:72 ; 4-byte Folded Reload
	buffer_load_dword v4, off, s[0:3], s33 offset:76 ; 4-byte Folded Reload
	s_andn2_b64 s[30:31], s[30:31], exec
	s_waitcnt vmcnt(0)
	v_cmp_ge_u64_e32 vcc, v[0:1], v[3:4]
	s_orn2_b64 vcc, vcc, exec
	s_branch .LBB10_515
.LBB10_520:                             ;   in Loop: Header=BB10_57 Depth=2
	s_or_b64 exec, exec, s[92:93]
	s_and_saveexec_b64 s[92:93], s[94:95]
	s_xor_b64 s[92:93], exec, s[92:93]
	s_cbranch_execz .LBB10_522
; %bb.521:                              ;   in Loop: Header=BB10_57 Depth=2
	v_mov_b32_e32 v0, 1
	ds_write_b32 v0, v0
	s_trap 2
.LBB10_522:                             ;   in Loop: Header=BB10_57 Depth=2
	s_or_b64 exec, exec, s[90:91]
	;;#ASMSTART
	s_wakeup
	;;#ASMEND
.LBB10_523:                             ;   in Loop: Header=BB10_57 Depth=2
	s_or_b64 exec, exec, s[88:89]
.LBB10_524:                             ;   in Loop: Header=BB10_57 Depth=2
	s_andn2_saveexec_b64 s[78:79], s[78:79]
	s_cbranch_execz .LBB10_526
; %bb.525:                              ;   in Loop: Header=BB10_57 Depth=2
	s_waitcnt vmcnt(0) lgkmcnt(0)
	buffer_wbinvl1_vol
	s_barrier
.LBB10_526:                             ;   in Loop: Header=BB10_57 Depth=2
	s_or_b64 exec, exec, s[78:79]
	s_or_b64 exec, exec, s[76:77]
                                        ; implicit-def: $vgpr0
	s_and_saveexec_b64 s[76:77], s[24:25]
	s_xor_b64 s[76:77], exec, s[76:77]
	s_cbranch_execnz .LBB10_129
.LBB10_527:                             ;   in Loop: Header=BB10_57 Depth=2
	s_andn2_saveexec_b64 s[26:27], s[76:77]
	s_cbranch_execz .LBB10_132
.LBB10_528:                             ;   in Loop: Header=BB10_57 Depth=2
	s_and_saveexec_b64 s[76:77], s[56:57]
	s_xor_b64 s[76:77], exec, s[76:77]
	s_cbranch_execz .LBB10_543
; %bb.529:                              ;   in Loop: Header=BB10_57 Depth=2
	s_and_saveexec_b64 s[78:79], s[16:17]
	s_cbranch_execz .LBB10_542
; %bb.530:                              ;   in Loop: Header=BB10_57 Depth=2
	s_mov_b64 s[90:91], exec
	v_mbcnt_lo_u32_b32 v0, s90, 0
	v_mbcnt_hi_u32_b32 v0, s91, v0
	v_cmp_eq_u32_e32 vcc, 0, v0
	;;#ASMSTART
	s_waitcnt lgkmcnt(0) vmcnt(0)
	;;#ASMEND
	s_and_saveexec_b64 s[88:89], vcc
	s_cbranch_execz .LBB10_532
; %bb.531:                              ;   in Loop: Header=BB10_57 Depth=2
	s_bcnt1_i32_b64 s90, s[90:91]
	v_mov_b32_e32 v0, s90
	v_mov_b32_e32 v1, v2
	s_waitcnt lgkmcnt(0)
	ds_add_u64 v0, v[0:1]
	s_trap 2
.LBB10_532:                             ;   in Loop: Header=BB10_57 Depth=2
	s_or_b64 exec, exec, s[88:89]
	s_trap 2
	ds_read_b64 v[0:1], v0
	s_waitcnt lgkmcnt(0)
	buffer_load_dword v3, off, s[0:3], s33 offset:72 ; 4-byte Folded Reload
	buffer_load_dword v4, off, s[0:3], s33 offset:76 ; 4-byte Folded Reload
	;; [unrolled: 1-line block ×3, first 2 shown]
	s_waitcnt vmcnt(0)
	v_add_co_u32_e32 v3, vcc, v3, v5
	v_addc_co_u32_e32 v4, vcc, 0, v4, vcc
	buffer_store_dword v3, off, s[0:3], s33 offset:72 ; 4-byte Folded Spill
	s_nop 0
	buffer_store_dword v4, off, s[0:3], s33 offset:76 ; 4-byte Folded Spill
	v_cmp_lt_u64_e32 vcc, v[0:1], v[3:4]
	s_and_saveexec_b64 s[88:89], vcc
	s_cbranch_execz .LBB10_541
; %bb.533:                              ;   in Loop: Header=BB10_57 Depth=2
	s_mov_b32 s36, 0
	s_mov_b64 s[90:91], 0
                                        ; implicit-def: $sgpr92_sgpr93
                                        ; implicit-def: $sgpr94_sgpr95
	s_branch .LBB10_535
.LBB10_534:                             ;   in Loop: Header=BB10_535 Depth=3
	s_or_b64 exec, exec, s[34:35]
	s_and_b64 vcc, exec, vcc
	s_or_b64 s[90:91], vcc, s[90:91]
	s_andn2_b64 s[92:93], s[92:93], exec
	s_and_b64 vcc, s[94:95], exec
	s_or_b64 s[92:93], s[92:93], vcc
	s_andn2_b64 exec, exec, s[90:91]
	s_cbranch_execz .LBB10_539
.LBB10_535:                             ;   Parent Loop BB10_47 Depth=1
                                        ;     Parent Loop BB10_57 Depth=2
                                        ; =>    This Inner Loop Header: Depth=3
	s_add_i32 s36, s36, 1
	s_cmpk_lg_i32 s36, 0x2710
	s_cselect_b64 s[30:31], -1, 0
	s_and_b64 vcc, exec, s[30:31]
	s_cbranch_vccz .LBB10_537
; %bb.536:                              ;   in Loop: Header=BB10_535 Depth=3
	s_mov_b64 vcc, -1
	s_or_b64 s[94:95], s[94:95], exec
	s_and_saveexec_b64 s[34:35], s[30:31]
	s_cbranch_execz .LBB10_534
	s_branch .LBB10_538
.LBB10_537:                             ;   in Loop: Header=BB10_535 Depth=3
	s_trap 2
	ds_read_b64 v[0:1], v0
	s_andn2_b64 s[30:31], s[30:31], exec
	s_mov_b32 s36, 0
	s_waitcnt vmcnt(0) lgkmcnt(0)
	flat_load_dword v0, v[0:1] glc
	s_waitcnt vmcnt(0) lgkmcnt(0)
	buffer_wbinvl1_vol
	v_cmp_eq_u32_e32 vcc, 0, v0
	s_and_b64 vcc, vcc, exec
	s_or_b64 s[30:31], s[30:31], vcc
	s_mov_b64 vcc, -1
	s_or_b64 s[94:95], s[94:95], exec
	s_and_saveexec_b64 s[34:35], s[30:31]
	s_cbranch_execz .LBB10_534
.LBB10_538:                             ;   in Loop: Header=BB10_535 Depth=3
	s_sleep 1
	s_trap 2
	ds_read_b64 v[0:1], v0
	s_waitcnt lgkmcnt(0)
	buffer_load_dword v3, off, s[0:3], s33 offset:72 ; 4-byte Folded Reload
	buffer_load_dword v4, off, s[0:3], s33 offset:76 ; 4-byte Folded Reload
	s_andn2_b64 s[94:95], s[94:95], exec
	s_waitcnt vmcnt(0)
	v_cmp_ge_u64_e32 vcc, v[0:1], v[3:4]
	s_orn2_b64 vcc, vcc, exec
	s_branch .LBB10_534
.LBB10_539:                             ;   in Loop: Header=BB10_57 Depth=2
	s_or_b64 exec, exec, s[90:91]
	s_and_saveexec_b64 s[90:91], s[92:93]
	s_xor_b64 s[90:91], exec, s[90:91]
	s_cbranch_execz .LBB10_541
; %bb.540:                              ;   in Loop: Header=BB10_57 Depth=2
	v_mov_b32_e32 v0, 1
	ds_write_b32 v0, v0
	s_trap 2
.LBB10_541:                             ;   in Loop: Header=BB10_57 Depth=2
	s_or_b64 exec, exec, s[88:89]
	;;#ASMSTART
	s_wakeup
	;;#ASMEND
.LBB10_542:                             ;   in Loop: Header=BB10_57 Depth=2
	s_or_b64 exec, exec, s[78:79]
.LBB10_543:                             ;   in Loop: Header=BB10_57 Depth=2
	s_andn2_saveexec_b64 s[76:77], s[76:77]
	s_cbranch_execz .LBB10_545
; %bb.544:                              ;   in Loop: Header=BB10_57 Depth=2
	;;#ASMSTART
	s_waitcnt lgkmcnt(0) vmcnt(0)
	;;#ASMEND
	s_waitcnt vmcnt(0) lgkmcnt(0)
	s_barrier
.LBB10_545:                             ;   in Loop: Header=BB10_57 Depth=2
	s_or_b64 exec, exec, s[76:77]
	buffer_load_dword v0, off, s[0:3], s33 offset:68 ; 4-byte Folded Reload
	s_waitcnt vmcnt(0)
	v_and_b32_e32 v0, 16, v0
	s_or_b64 exec, exec, s[26:27]
	v_cmp_ne_u32_e32 vcc, 0, v0
	s_and_saveexec_b64 s[26:27], vcc
	s_cbranch_execz .LBB10_56
.LBB10_546:                             ;   in Loop: Header=BB10_57 Depth=2
	s_and_saveexec_b64 s[76:77], s[14:15]
	s_cbranch_execz .LBB10_55
; %bb.547:                              ;   in Loop: Header=BB10_57 Depth=2
	buffer_load_dword v0, off, s[0:3], s33 offset:128 ; 4-byte Folded Reload
	buffer_load_dword v1, off, s[0:3], s33 offset:132 ; 4-byte Folded Reload
	v_mov_b32_e32 v3, 1
	s_waitcnt vmcnt(0)
	flat_store_dword v[0:1], v3
	s_branch .LBB10_55
.LBB10_548:                             ;   in Loop: Header=BB10_47 Depth=1
	s_or_b64 exec, exec, s[40:41]
.LBB10_549:                             ;   in Loop: Header=BB10_47 Depth=1
	s_or_b64 exec, exec, s[28:29]
	v_cmp_gt_i32_e32 vcc, 2, v0
	s_and_saveexec_b64 s[28:29], vcc
	s_cbranch_execz .LBB10_621
; %bb.550:                              ;   in Loop: Header=BB10_47 Depth=1
	buffer_load_dword v13, off, s[0:3], s33 offset:292 ; 4-byte Folded Reload
	buffer_load_dword v14, off, s[0:3], s33 offset:296 ; 4-byte Folded Reload
	v_cmp_eq_u32_e64 s[42:43], 0, v0
	s_mov_b64 s[40:41], 0
	s_branch .LBB10_553
.LBB10_551:                             ;   in Loop: Header=BB10_553 Depth=2
	s_or_b64 exec, exec, s[42:43]
	buffer_load_dword v3, off, s[0:3], s33 offset:80 ; 4-byte Folded Reload
	buffer_load_dword v4, off, s[0:3], s33 offset:84 ; 4-byte Folded Reload
	;; [unrolled: 1-line block ×4, first 2 shown]
	s_waitcnt vmcnt(0)
	v_add_co_u32_e32 v3, vcc, 2, v3
	v_addc_co_u32_e32 v4, vcc, 0, v4, vcc
	buffer_store_dword v3, off, s[0:3], s33 offset:80 ; 4-byte Folded Spill
	s_nop 0
	buffer_store_dword v4, off, s[0:3], s33 offset:84 ; 4-byte Folded Spill
	flat_store_dwordx2 v[0:1], v[3:4]
.LBB10_552:                             ;   in Loop: Header=BB10_553 Depth=2
	s_or_b64 exec, exec, s[26:27]
	v_add_u32_e32 v32, v13, v32
	s_mov_b64 s[42:43], 0
	s_andn2_b64 exec, exec, s[40:41]
	s_cbranch_execz .LBB10_620
.LBB10_553:                             ;   Parent Loop BB10_47 Depth=1
                                        ; =>  This Loop Header: Depth=2
                                        ;       Child Loop BB10_559 Depth 3
                                        ;       Child Loop BB10_583 Depth 3
	;; [unrolled: 1-line block ×3, first 2 shown]
	v_sub_u32_e32 v0, v12, v32
	s_waitcnt vmcnt(0)
	v_min_i32_e32 v13, v13, v0
	buffer_load_dword v0, off, s[0:3], s33 offset:68 ; 4-byte Folded Reload
	s_waitcnt vmcnt(0)
	v_and_b32_e32 v0, 8, v0
	v_cmp_ne_u32_e32 vcc, 0, v0
	s_and_saveexec_b64 s[76:77], vcc
	s_cbranch_execz .LBB10_575
; %bb.554:                              ;   in Loop: Header=BB10_553 Depth=2
	buffer_load_dword v3, off, s[0:3], s33 offset:80 ; 4-byte Folded Reload
	buffer_load_dword v4, off, s[0:3], s33 offset:84 ; 4-byte Folded Reload
	s_waitcnt lgkmcnt(0)
	v_add_co_u32_e32 v0, vcc, 8, v48
	v_addc_co_u32_e32 v1, vcc, 0, v49, vcc
	s_waitcnt vmcnt(0)
	v_add_co_u32_e32 v3, vcc, 2, v3
	v_addc_co_u32_e32 v4, vcc, 0, v4, vcc
	v_cmp_lt_u64_e32 vcc, v[0:1], v[3:4]
	s_and_saveexec_b64 s[78:79], vcc
	s_cbranch_execz .LBB10_566
; %bb.555:                              ;   in Loop: Header=BB10_553 Depth=2
	buffer_load_dword v0, off, s[0:3], s33 offset:68 ; 4-byte Folded Reload
	s_mov_b32 s75, 0
	s_mov_b64 s[88:89], 0
                                        ; implicit-def: $sgpr90_sgpr91
                                        ; implicit-def: $sgpr92_sgpr93
                                        ; implicit-def: $sgpr94_sgpr95
	s_waitcnt vmcnt(0)
	v_and_b32_e32 v0, 64, v0
	v_cmp_eq_u32_e32 vcc, 0, v0
	s_branch .LBB10_559
.LBB10_556:                             ;   in Loop: Header=BB10_559 Depth=3
	s_waitcnt vmcnt(0) lgkmcnt(0)
	v_add_co_u32_e64 v5, s[26:27], 8, v48
	v_addc_co_u32_e64 v6, s[26:27], 0, v49, s[26:27]
	v_cmp_ge_u64_e64 s[26:27], v[5:6], v[3:4]
	s_or_b64 s[36:37], s[36:37], exec
	s_orn2_b64 s[34:35], s[26:27], exec
.LBB10_557:                             ;   in Loop: Header=BB10_559 Depth=3
	s_or_b64 exec, exec, s[48:49]
	s_andn2_b64 s[26:27], s[94:95], exec
	s_and_b64 s[94:95], s[36:37], exec
	s_or_b64 s[94:95], s[26:27], s[94:95]
	s_andn2_b64 s[26:27], s[92:93], exec
	s_and_b64 s[92:93], s[34:35], exec
	s_or_b64 s[92:93], s[26:27], s[92:93]
.LBB10_558:                             ;   in Loop: Header=BB10_559 Depth=3
	s_or_b64 exec, exec, s[30:31]
	s_and_b64 s[26:27], exec, s[92:93]
	s_or_b64 s[88:89], s[26:27], s[88:89]
	s_andn2_b64 s[26:27], s[90:91], exec
	s_and_b64 s[90:91], s[94:95], exec
	s_or_b64 s[90:91], s[26:27], s[90:91]
	s_andn2_b64 exec, exec, s[88:89]
	s_cbranch_execz .LBB10_563
.LBB10_559:                             ;   Parent Loop BB10_47 Depth=1
                                        ;     Parent Loop BB10_553 Depth=2
                                        ; =>    This Inner Loop Header: Depth=3
	s_sleep 1
	buffer_load_dword v0, off, s[0:3], s33 offset:60 ; 4-byte Folded Reload
	buffer_load_dword v1, off, s[0:3], s33 offset:64 ; 4-byte Folded Reload
	s_or_b64 s[94:95], s[94:95], exec
	s_or_b64 s[92:93], s[92:93], exec
	s_waitcnt vmcnt(0) lgkmcnt(0)
	flat_load_dwordx2 v[48:49], v[0:1] glc
                                        ; implicit-def: $vgpr0
	s_and_saveexec_b64 s[30:31], vcc
	s_cbranch_execz .LBB10_558
; %bb.560:                              ;   in Loop: Header=BB10_559 Depth=3
	s_cmpk_lt_i32 s75, 0x270f
	s_cselect_b64 s[38:39], -1, 0
	s_cmpk_gt_i32 s75, 0x270e
	s_mov_b64 s[34:35], -1
	s_cbranch_scc0 .LBB10_562
; %bb.561:                              ;   in Loop: Header=BB10_559 Depth=3
	s_trap 2
	ds_read_b64 v[0:1], v0
	s_andn2_b64 s[38:39], s[38:39], exec
	s_mov_b32 s75, 0
	s_mov_b64 s[36:37], 0
	s_waitcnt vmcnt(0) lgkmcnt(0)
	flat_load_dword v0, v[0:1] glc
	s_waitcnt vmcnt(0) lgkmcnt(0)
	buffer_wbinvl1_vol
	v_cmp_eq_u32_e64 s[26:27], 0, v0
	s_and_b64 s[26:27], s[26:27], exec
	s_or_b64 s[38:39], s[38:39], s[26:27]
	s_and_saveexec_b64 s[48:49], s[38:39]
	s_cbranch_execz .LBB10_557
	s_branch .LBB10_556
.LBB10_562:                             ;   in Loop: Header=BB10_559 Depth=3
	s_add_i32 s75, s75, 1
	s_mov_b64 s[36:37], -1
                                        ; implicit-def: $vgpr0
	s_and_saveexec_b64 s[48:49], s[38:39]
	s_cbranch_execz .LBB10_557
	s_branch .LBB10_556
.LBB10_563:                             ;   in Loop: Header=BB10_553 Depth=2
	s_or_b64 exec, exec, s[88:89]
	s_xor_b64 s[26:27], s[90:91], -1
	s_and_saveexec_b64 s[88:89], s[26:27]
	s_xor_b64 s[26:27], exec, s[88:89]
	s_cbranch_execz .LBB10_565
; %bb.564:                              ;   in Loop: Header=BB10_553 Depth=2
	s_waitcnt lgkmcnt(0)
	ds_write_b32 v0, v0
	s_trap 2
	buffer_load_dword v0, off, s[0:3], s33 offset:68 ; 4-byte Folded Reload
	s_waitcnt vmcnt(0)
	v_or_b32_e32 v0, 64, v0
	buffer_store_dword v0, off, s[0:3], s33 offset:68 ; 4-byte Folded Spill
.LBB10_565:                             ;   in Loop: Header=BB10_553 Depth=2
	s_or_b64 exec, exec, s[26:27]
.LBB10_566:                             ;   in Loop: Header=BB10_553 Depth=2
	s_or_b64 exec, exec, s[78:79]
	;;#ASMSTART
	s_wakeup
	;;#ASMEND
	buffer_load_dword v0, off, s[0:3], s33 offset:68 ; 4-byte Folded Reload
	s_mov_b64 s[26:27], -1
                                        ; implicit-def: $vgpr8_vgpr9
	s_waitcnt vmcnt(0)
	v_and_b32_e32 v0, 0x100, v0
	v_cmp_ne_u32_e32 vcc, 0, v0
	buffer_load_dword v0, off, s[0:3], s33 offset:80 ; 4-byte Folded Reload
	buffer_load_dword v1, off, s[0:3], s33 offset:84 ; 4-byte Folded Reload
	s_waitcnt vmcnt(0)
	v_and_b32_e32 v0, 7, v0
	s_and_saveexec_b64 s[78:79], vcc
	s_cbranch_execz .LBB10_570
; %bb.567:                              ;   in Loop: Header=BB10_553 Depth=2
	buffer_load_dword v5, off, s[0:3], s33 offset:112 ; 4-byte Folded Reload
	buffer_load_dword v6, off, s[0:3], s33 offset:116 ; 4-byte Folded Reload
	;; [unrolled: 1-line block ×4, first 2 shown]
                                        ; implicit-def: $vgpr8_vgpr9
	s_waitcnt vmcnt(0)
	v_mad_u64_u32 v[10:11], s[26:27], v0, 24, v[5:6]
	v_mov_b32_e32 v5, v13
	v_ashrrev_i32_e32 v6, 31, v5
	flat_load_dword v1, v[10:11]
	v_lshlrev_b64 v[5:6], 1, v[5:6]
	flat_store_dwordx2 v[10:11], v[5:6] offset:8
	s_waitcnt vmcnt(0) lgkmcnt(0)
	v_cmp_ne_u32_e32 vcc, 1, v1
	v_cmp_eq_u32_e64 s[26:27], 1, v1
	s_and_saveexec_b64 s[88:89], s[26:27]
	s_cbranch_execz .LBB10_569
; %bb.568:                              ;   in Loop: Header=BB10_553 Depth=2
	flat_load_dword v5, v[10:11] offset:4 glc
	s_waitcnt vmcnt(0) lgkmcnt(0)
	v_ashrrev_i32_e32 v6, 31, v5
	v_lshrrev_b64 v[8:9], 1, v[5:6]
.LBB10_569:                             ;   in Loop: Header=BB10_553 Depth=2
	s_or_b64 exec, exec, s[88:89]
	s_orn2_b64 s[26:27], vcc, exec
.LBB10_570:                             ;   in Loop: Header=BB10_553 Depth=2
	s_or_b64 exec, exec, s[78:79]
	s_and_saveexec_b64 s[78:79], s[26:27]
	s_cbranch_execz .LBB10_572
; %bb.571:                              ;   in Loop: Header=BB10_553 Depth=2
	buffer_load_dword v1, off, s[0:3], s33 offset:140 ; 4-byte Folded Reload
	s_waitcnt vmcnt(0)
	v_mad_i64_i32 v[8:9], s[26:27], v0, v1, 0
.LBB10_572:                             ;   in Loop: Header=BB10_553 Depth=2
	s_or_b64 exec, exec, s[78:79]
	buffer_load_dword v5, off, s[0:3], s33 offset:104 ; 4-byte Folded Reload
	buffer_load_dword v6, off, s[0:3], s33 offset:108 ; 4-byte Folded Reload
	v_lshlrev_b64 v[0:1], 1, v[8:9]
	s_waitcnt vmcnt(0)
	v_add_co_u32_e32 v0, vcc, v5, v0
	v_addc_co_u32_e32 v1, vcc, v6, v1, vcc
	ds_write_b64 v0, v[0:1] offset:784
	buffer_load_dword v0, off, s[0:3], s33 offset:68 ; 4-byte Folded Reload
	s_waitcnt vmcnt(0)
	v_and_b32_e32 v0, 0x2000, v0
	v_cmp_ne_u32_e32 vcc, 0, v0
	s_and_saveexec_b64 s[26:27], vcc
	s_cbranch_execz .LBB10_574
; %bb.573:                              ;   in Loop: Header=BB10_553 Depth=2
	ds_read_b64 v[0:1], v0 offset:872
	s_waitcnt lgkmcnt(0)
	v_add_co_u32_e32 v0, vcc, 1, v0
	v_addc_co_u32_e32 v1, vcc, 0, v1, vcc
	ds_write_b64 v0, v[0:1] offset:872
.LBB10_574:                             ;   in Loop: Header=BB10_553 Depth=2
	s_or_b64 exec, exec, s[26:27]
	buffer_store_dword v3, off, s[0:3], s33 offset:80 ; 4-byte Folded Spill
	s_nop 0
	buffer_store_dword v4, off, s[0:3], s33 offset:84 ; 4-byte Folded Spill
.LBB10_575:                             ;   in Loop: Header=BB10_553 Depth=2
	s_or_b64 exec, exec, s[76:77]
	s_xor_b64 s[26:27], s[42:43], -1
	s_and_b64 s[26:27], exec, s[26:27]
	s_or_b64 s[40:41], s[26:27], s[40:41]
	s_and_saveexec_b64 s[26:27], s[10:11]
	s_cbranch_execz .LBB10_594
; %bb.576:                              ;   in Loop: Header=BB10_553 Depth=2
	s_and_saveexec_b64 s[42:43], s[56:57]
	s_xor_b64 s[42:43], exec, s[42:43]
	s_cbranch_execz .LBB10_591
; %bb.577:                              ;   in Loop: Header=BB10_553 Depth=2
	s_and_saveexec_b64 s[76:77], s[16:17]
	s_cbranch_execz .LBB10_590
; %bb.578:                              ;   in Loop: Header=BB10_553 Depth=2
	s_mov_b64 s[88:89], exec
	v_mbcnt_lo_u32_b32 v0, s88, 0
	v_mbcnt_hi_u32_b32 v0, s89, v0
	v_cmp_eq_u32_e32 vcc, 0, v0
	s_waitcnt vmcnt(0) lgkmcnt(0)
	buffer_wbinvl1_vol
	s_and_saveexec_b64 s[78:79], vcc
	s_cbranch_execz .LBB10_580
; %bb.579:                              ;   in Loop: Header=BB10_553 Depth=2
	s_bcnt1_i32_b64 s75, s[88:89]
	v_mov_b32_e32 v0, s75
	v_mov_b32_e32 v1, v2
	ds_add_u64 v0, v[0:1]
	s_trap 2
.LBB10_580:                             ;   in Loop: Header=BB10_553 Depth=2
	s_or_b64 exec, exec, s[78:79]
	s_trap 2
	ds_read_b64 v[0:1], v0
	s_waitcnt lgkmcnt(0)
	buffer_load_dword v3, off, s[0:3], s33 offset:72 ; 4-byte Folded Reload
	buffer_load_dword v4, off, s[0:3], s33 offset:76 ; 4-byte Folded Reload
	;; [unrolled: 1-line block ×3, first 2 shown]
	s_waitcnt vmcnt(0)
	v_add_co_u32_e32 v3, vcc, v3, v5
	v_addc_co_u32_e32 v4, vcc, 0, v4, vcc
	buffer_store_dword v3, off, s[0:3], s33 offset:72 ; 4-byte Folded Spill
	s_nop 0
	buffer_store_dword v4, off, s[0:3], s33 offset:76 ; 4-byte Folded Spill
	v_cmp_lt_u64_e32 vcc, v[0:1], v[3:4]
	s_and_saveexec_b64 s[78:79], vcc
	s_cbranch_execz .LBB10_589
; %bb.581:                              ;   in Loop: Header=BB10_553 Depth=2
	s_mov_b32 s75, 0
	s_mov_b64 s[88:89], 0
                                        ; implicit-def: $sgpr90_sgpr91
                                        ; implicit-def: $sgpr92_sgpr93
	s_branch .LBB10_583
.LBB10_582:                             ;   in Loop: Header=BB10_583 Depth=3
	s_or_b64 exec, exec, s[30:31]
	s_and_b64 s[94:95], exec, vcc
	s_or_b64 s[88:89], s[94:95], s[88:89]
	s_andn2_b64 s[90:91], s[90:91], exec
	s_and_b64 s[94:95], s[92:93], exec
	s_or_b64 s[90:91], s[90:91], s[94:95]
	s_andn2_b64 exec, exec, s[88:89]
	s_cbranch_execz .LBB10_587
.LBB10_583:                             ;   Parent Loop BB10_47 Depth=1
                                        ;     Parent Loop BB10_553 Depth=2
                                        ; =>    This Inner Loop Header: Depth=3
	s_add_i32 s75, s75, 1
	s_cmpk_lg_i32 s75, 0x2710
	s_cselect_b64 s[94:95], -1, 0
	s_and_b64 vcc, exec, s[94:95]
	s_cbranch_vccz .LBB10_585
; %bb.584:                              ;   in Loop: Header=BB10_583 Depth=3
	s_mov_b64 vcc, -1
	s_or_b64 s[92:93], s[92:93], exec
	s_and_saveexec_b64 s[30:31], s[94:95]
	s_cbranch_execz .LBB10_582
	s_branch .LBB10_586
.LBB10_585:                             ;   in Loop: Header=BB10_583 Depth=3
	s_trap 2
	ds_read_b64 v[0:1], v0
	s_andn2_b64 s[94:95], s[94:95], exec
	s_mov_b32 s75, 0
	s_waitcnt vmcnt(0) lgkmcnt(0)
	flat_load_dword v0, v[0:1] glc
	s_waitcnt vmcnt(0) lgkmcnt(0)
	buffer_wbinvl1_vol
	v_cmp_eq_u32_e32 vcc, 0, v0
	s_and_b64 vcc, vcc, exec
	s_or_b64 s[94:95], s[94:95], vcc
	s_mov_b64 vcc, -1
	s_or_b64 s[92:93], s[92:93], exec
	s_and_saveexec_b64 s[30:31], s[94:95]
	s_cbranch_execz .LBB10_582
.LBB10_586:                             ;   in Loop: Header=BB10_583 Depth=3
	s_sleep 1
	s_trap 2
	ds_read_b64 v[0:1], v0
	s_waitcnt lgkmcnt(0)
	buffer_load_dword v3, off, s[0:3], s33 offset:72 ; 4-byte Folded Reload
	buffer_load_dword v4, off, s[0:3], s33 offset:76 ; 4-byte Folded Reload
	s_andn2_b64 s[92:93], s[92:93], exec
	s_waitcnt vmcnt(0)
	v_cmp_ge_u64_e32 vcc, v[0:1], v[3:4]
	s_orn2_b64 vcc, vcc, exec
	s_branch .LBB10_582
.LBB10_587:                             ;   in Loop: Header=BB10_553 Depth=2
	s_or_b64 exec, exec, s[88:89]
	s_and_saveexec_b64 s[88:89], s[90:91]
	s_xor_b64 s[88:89], exec, s[88:89]
	s_cbranch_execz .LBB10_589
; %bb.588:                              ;   in Loop: Header=BB10_553 Depth=2
	v_mov_b32_e32 v0, 1
	ds_write_b32 v0, v0
	s_trap 2
.LBB10_589:                             ;   in Loop: Header=BB10_553 Depth=2
	s_or_b64 exec, exec, s[78:79]
	;;#ASMSTART
	s_wakeup
	;;#ASMEND
.LBB10_590:                             ;   in Loop: Header=BB10_553 Depth=2
	s_or_b64 exec, exec, s[76:77]
.LBB10_591:                             ;   in Loop: Header=BB10_553 Depth=2
	s_andn2_saveexec_b64 s[42:43], s[42:43]
	s_cbranch_execz .LBB10_593
; %bb.592:                              ;   in Loop: Header=BB10_553 Depth=2
	s_waitcnt vmcnt(0) lgkmcnt(0)
	buffer_wbinvl1_vol
	s_barrier
.LBB10_593:                             ;   in Loop: Header=BB10_553 Depth=2
	s_or_b64 exec, exec, s[42:43]
.LBB10_594:                             ;   in Loop: Header=BB10_553 Depth=2
	s_or_b64 exec, exec, s[26:27]
                                        ; implicit-def: $vgpr0
	s_and_saveexec_b64 s[26:27], s[24:25]
	s_xor_b64 s[26:27], exec, s[26:27]
	s_cbranch_execz .LBB10_599
; %bb.595:                              ;   in Loop: Header=BB10_553 Depth=2
	s_trap 2
	buffer_load_dword v1, off, s[0:3], s33 offset:68 ; 4-byte Folded Reload
	ds_read_b32 v0, v0
	v_cmp_lt_i32_e32 vcc, 0, v13
	s_waitcnt lgkmcnt(0)
	v_readfirstlane_b32 s42, v0
	s_cmp_eq_u32 s42, 0
	s_cselect_b64 s[42:43], -1, 0
	s_and_b64 s[42:43], vcc, s[42:43]
	s_waitcnt vmcnt(0)
	v_and_b32_e32 v0, 16, v1
	v_and_b32_e32 v1, 16, v1
	v_cmp_ne_u32_e32 vcc, 0, v1
	s_and_b64 s[76:77], vcc, s[42:43]
	s_and_saveexec_b64 s[42:43], s[76:77]
	s_cbranch_execz .LBB10_597
; %bb.596:                              ;   in Loop: Header=BB10_553 Depth=2
	v_mov_b32_e32 v0, 1
	buffer_wbinvl1_vol
.LBB10_597:                             ;   in Loop: Header=BB10_553 Depth=2
	s_or_b64 exec, exec, s[42:43]
	s_andn2_saveexec_b64 s[26:27], s[26:27]
	s_cbranch_execnz .LBB10_600
.LBB10_598:                             ;   in Loop: Header=BB10_553 Depth=2
	s_or_b64 exec, exec, s[26:27]
	v_cmp_ne_u32_e32 vcc, 0, v0
	s_and_saveexec_b64 s[26:27], vcc
	s_cbranch_execz .LBB10_552
	s_branch .LBB10_618
.LBB10_599:                             ;   in Loop: Header=BB10_553 Depth=2
	s_andn2_saveexec_b64 s[26:27], s[26:27]
	s_cbranch_execz .LBB10_598
.LBB10_600:                             ;   in Loop: Header=BB10_553 Depth=2
	s_and_saveexec_b64 s[42:43], s[56:57]
	s_xor_b64 s[42:43], exec, s[42:43]
	s_cbranch_execz .LBB10_615
; %bb.601:                              ;   in Loop: Header=BB10_553 Depth=2
	s_and_saveexec_b64 s[76:77], s[16:17]
	s_cbranch_execz .LBB10_614
; %bb.602:                              ;   in Loop: Header=BB10_553 Depth=2
	s_mov_b64 s[88:89], exec
	v_mbcnt_lo_u32_b32 v0, s88, 0
	v_mbcnt_hi_u32_b32 v0, s89, v0
	v_cmp_eq_u32_e32 vcc, 0, v0
	;;#ASMSTART
	s_waitcnt lgkmcnt(0) vmcnt(0)
	;;#ASMEND
	s_and_saveexec_b64 s[78:79], vcc
	s_cbranch_execz .LBB10_604
; %bb.603:                              ;   in Loop: Header=BB10_553 Depth=2
	s_bcnt1_i32_b64 s75, s[88:89]
	v_mov_b32_e32 v0, s75
	v_mov_b32_e32 v1, v2
	s_waitcnt lgkmcnt(0)
	ds_add_u64 v0, v[0:1]
	s_trap 2
.LBB10_604:                             ;   in Loop: Header=BB10_553 Depth=2
	s_or_b64 exec, exec, s[78:79]
	s_trap 2
	ds_read_b64 v[0:1], v0
	s_waitcnt lgkmcnt(0)
	buffer_load_dword v3, off, s[0:3], s33 offset:72 ; 4-byte Folded Reload
	buffer_load_dword v4, off, s[0:3], s33 offset:76 ; 4-byte Folded Reload
	;; [unrolled: 1-line block ×3, first 2 shown]
	s_waitcnt vmcnt(0)
	v_add_co_u32_e32 v3, vcc, v3, v5
	v_addc_co_u32_e32 v4, vcc, 0, v4, vcc
	buffer_store_dword v3, off, s[0:3], s33 offset:72 ; 4-byte Folded Spill
	s_nop 0
	buffer_store_dword v4, off, s[0:3], s33 offset:76 ; 4-byte Folded Spill
	v_cmp_lt_u64_e32 vcc, v[0:1], v[3:4]
	s_and_saveexec_b64 s[78:79], vcc
	s_cbranch_execz .LBB10_613
; %bb.605:                              ;   in Loop: Header=BB10_553 Depth=2
	s_mov_b32 s75, 0
	s_mov_b64 s[88:89], 0
                                        ; implicit-def: $sgpr90_sgpr91
                                        ; implicit-def: $sgpr92_sgpr93
	s_branch .LBB10_607
.LBB10_606:                             ;   in Loop: Header=BB10_607 Depth=3
	s_or_b64 exec, exec, s[30:31]
	s_and_b64 s[94:95], exec, vcc
	s_or_b64 s[88:89], s[94:95], s[88:89]
	s_andn2_b64 s[90:91], s[90:91], exec
	s_and_b64 s[94:95], s[92:93], exec
	s_or_b64 s[90:91], s[90:91], s[94:95]
	s_andn2_b64 exec, exec, s[88:89]
	s_cbranch_execz .LBB10_611
.LBB10_607:                             ;   Parent Loop BB10_47 Depth=1
                                        ;     Parent Loop BB10_553 Depth=2
                                        ; =>    This Inner Loop Header: Depth=3
	s_add_i32 s75, s75, 1
	s_cmpk_lg_i32 s75, 0x2710
	s_cselect_b64 s[94:95], -1, 0
	s_and_b64 vcc, exec, s[94:95]
	s_cbranch_vccz .LBB10_609
; %bb.608:                              ;   in Loop: Header=BB10_607 Depth=3
	s_mov_b64 vcc, -1
	s_or_b64 s[92:93], s[92:93], exec
	s_and_saveexec_b64 s[30:31], s[94:95]
	s_cbranch_execz .LBB10_606
	s_branch .LBB10_610
.LBB10_609:                             ;   in Loop: Header=BB10_607 Depth=3
	s_trap 2
	ds_read_b64 v[0:1], v0
	s_andn2_b64 s[94:95], s[94:95], exec
	s_mov_b32 s75, 0
	s_waitcnt vmcnt(0) lgkmcnt(0)
	flat_load_dword v0, v[0:1] glc
	s_waitcnt vmcnt(0) lgkmcnt(0)
	buffer_wbinvl1_vol
	v_cmp_eq_u32_e32 vcc, 0, v0
	s_and_b64 vcc, vcc, exec
	s_or_b64 s[94:95], s[94:95], vcc
	s_mov_b64 vcc, -1
	s_or_b64 s[92:93], s[92:93], exec
	s_and_saveexec_b64 s[30:31], s[94:95]
	s_cbranch_execz .LBB10_606
.LBB10_610:                             ;   in Loop: Header=BB10_607 Depth=3
	s_sleep 1
	s_trap 2
	ds_read_b64 v[0:1], v0
	s_waitcnt lgkmcnt(0)
	buffer_load_dword v3, off, s[0:3], s33 offset:72 ; 4-byte Folded Reload
	buffer_load_dword v4, off, s[0:3], s33 offset:76 ; 4-byte Folded Reload
	s_andn2_b64 s[92:93], s[92:93], exec
	s_waitcnt vmcnt(0)
	v_cmp_ge_u64_e32 vcc, v[0:1], v[3:4]
	s_orn2_b64 vcc, vcc, exec
	s_branch .LBB10_606
.LBB10_611:                             ;   in Loop: Header=BB10_553 Depth=2
	s_or_b64 exec, exec, s[88:89]
	s_and_saveexec_b64 s[88:89], s[90:91]
	s_xor_b64 s[88:89], exec, s[88:89]
	s_cbranch_execz .LBB10_613
; %bb.612:                              ;   in Loop: Header=BB10_553 Depth=2
	v_mov_b32_e32 v0, 1
	ds_write_b32 v0, v0
	s_trap 2
.LBB10_613:                             ;   in Loop: Header=BB10_553 Depth=2
	s_or_b64 exec, exec, s[78:79]
	;;#ASMSTART
	s_wakeup
	;;#ASMEND
.LBB10_614:                             ;   in Loop: Header=BB10_553 Depth=2
	s_or_b64 exec, exec, s[76:77]
.LBB10_615:                             ;   in Loop: Header=BB10_553 Depth=2
	s_andn2_saveexec_b64 s[42:43], s[42:43]
	s_cbranch_execz .LBB10_617
; %bb.616:                              ;   in Loop: Header=BB10_553 Depth=2
	;;#ASMSTART
	s_waitcnt lgkmcnt(0) vmcnt(0)
	;;#ASMEND
	s_waitcnt vmcnt(0) lgkmcnt(0)
	s_barrier
.LBB10_617:                             ;   in Loop: Header=BB10_553 Depth=2
	s_or_b64 exec, exec, s[42:43]
	buffer_load_dword v0, off, s[0:3], s33 offset:68 ; 4-byte Folded Reload
	s_waitcnt vmcnt(0)
	v_and_b32_e32 v0, 16, v0
	s_or_b64 exec, exec, s[26:27]
	v_cmp_ne_u32_e32 vcc, 0, v0
	s_and_saveexec_b64 s[26:27], vcc
	s_cbranch_execz .LBB10_552
.LBB10_618:                             ;   in Loop: Header=BB10_553 Depth=2
	s_and_saveexec_b64 s[42:43], s[14:15]
	s_cbranch_execz .LBB10_551
; %bb.619:                              ;   in Loop: Header=BB10_553 Depth=2
	buffer_load_dword v0, off, s[0:3], s33 offset:128 ; 4-byte Folded Reload
	buffer_load_dword v1, off, s[0:3], s33 offset:132 ; 4-byte Folded Reload
	v_mov_b32_e32 v3, 1
	s_waitcnt vmcnt(0)
	flat_store_dword v[0:1], v3
	s_branch .LBB10_551
.LBB10_620:                             ;   in Loop: Header=BB10_47 Depth=1
	s_or_b64 exec, exec, s[40:41]
.LBB10_621:                             ;   in Loop: Header=BB10_47 Depth=1
	s_or_b64 exec, exec, s[28:29]
	v_cndmask_b32_e64 v0, 0, 1, s[60:61]
	v_cmp_ne_u32_e64 s[26:27], 1, v0
	s_andn2_b64 vcc, exec, s[60:61]
	s_cbranch_vccnz .LBB10_1300
; %bb.622:                              ;   in Loop: Header=BB10_47 Depth=1
	s_mov_b32 s75, 2
	s_branch .LBB10_625
.LBB10_623:                             ;   in Loop: Header=BB10_625 Depth=2
	s_or_b64 exec, exec, s[42:43]
.LBB10_624:                             ;   in Loop: Header=BB10_625 Depth=2
	s_or_b64 exec, exec, s[40:41]
	s_add_i32 s75, s75, 1
	s_cmp_eq_u32 s75, s52
	s_cbranch_scc1 .LBB10_1300
.LBB10_625:                             ;   Parent Loop BB10_47 Depth=1
                                        ; =>  This Loop Header: Depth=2
                                        ;       Child Loop BB10_628 Depth 3
                                        ;         Child Loop BB10_636 Depth 4
                                        ;         Child Loop BB10_664 Depth 4
	;; [unrolled: 1-line block ×9, first 2 shown]
                                        ;       Child Loop BB10_1228 Depth 3
                                        ;         Child Loop BB10_1234 Depth 4
                                        ;         Child Loop BB10_1262 Depth 4
	;; [unrolled: 1-line block ×3, first 2 shown]
	buffer_load_dword v5, off, s[0:3], s33 offset:340 ; 4-byte Folded Reload
	buffer_load_dword v6, off, s[0:3], s33 offset:344 ; 4-byte Folded Reload
	s_sub_i32 s28, s71, s75
	s_cmp_ge_i32 s28, s52
	s_cselect_b32 s29, s52, 0
	s_sub_i32 s28, s28, s29
	s_ashr_i32 s40, s28, 31
	v_mov_b32_e32 v46, 0
	s_waitcnt vmcnt(0)
	v_mul_lo_u32 v1, v5, s40
	v_mul_lo_u32 v0, v6, s28
	v_mad_u64_u32 v[3:4], s[28:29], v5, s28, 0
	v_add3_u32 v4, v4, v1, v0
	buffer_load_dword v0, off, s[0:3], s33 offset:332 ; 4-byte Folded Reload
	buffer_load_dword v1, off, s[0:3], s33 offset:336 ; 4-byte Folded Reload
	s_waitcnt vmcnt(0)
	v_sub_co_u32_e32 v0, vcc, v0, v3
	v_subb_co_u32_e32 v1, vcc, v1, v4, vcc
	v_cmp_lt_i64_e32 vcc, v[5:6], v[0:1]
	v_cndmask_b32_e32 v0, v0, v5, vcc
	v_max_i32_e32 v33, 0, v0
	v_add_u32_e32 v1, 31, v33
	v_lshrrev_b32_e32 v1, 1, v1
	v_and_b32_e32 v1, 0x3ffffff0, v1
	v_cmp_lt_i32_e32 vcc, 0, v0
	v_max_i32_e32 v26, s82, v1
	s_and_b64 s[28:29], s[72:73], vcc
	v_mov_b32_e32 v0, 0
	s_and_saveexec_b64 s[40:41], s[28:29]
	s_cbranch_execz .LBB10_1225
; %bb.626:                              ;   in Loop: Header=BB10_625 Depth=2
	s_mov_b32 s86, 1
	s_mov_b64 s[76:77], -1
	v_mov_b32_e32 v46, 0
	v_lshlrev_b64 v[41:42], 1, v[3:4]
	s_mov_b64 s[42:43], 0
	buffer_store_dword v33, off, s[0:3], s33 offset:224 ; 4-byte Folded Spill
	buffer_store_dword v41, off, s[0:3], s33 offset:232 ; 4-byte Folded Spill
	s_nop 0
	buffer_store_dword v42, off, s[0:3], s33 offset:236 ; 4-byte Folded Spill
	s_branch .LBB10_628
.LBB10_627:                             ;   in Loop: Header=BB10_628 Depth=3
	s_or_b64 exec, exec, s[28:29]
	v_add_u32_e32 v46, v26, v46
	v_cmp_ge_i32_e32 vcc, v46, v33
	s_xor_b64 s[28:29], s[76:77], -1
	s_or_b64 s[28:29], s[28:29], vcc
	s_and_b64 s[28:29], exec, s[28:29]
	s_or_b64 s[42:43], s[28:29], s[42:43]
	s_mov_b64 s[76:77], 0
	v_mov_b32_e32 v0, s86
	s_mov_b32 s86, 2
	s_andn2_b64 exec, exec, s[42:43]
	s_cbranch_execz .LBB10_1224
.LBB10_628:                             ;   Parent Loop BB10_47 Depth=1
                                        ;     Parent Loop BB10_625 Depth=2
                                        ; =>    This Loop Header: Depth=3
                                        ;         Child Loop BB10_636 Depth 4
                                        ;         Child Loop BB10_664 Depth 4
	;; [unrolled: 1-line block ×9, first 2 shown]
	s_and_saveexec_b64 s[28:29], s[4:5]
	s_cbranch_execz .LBB10_630
; %bb.629:                              ;   in Loop: Header=BB10_628 Depth=3
	s_trap 2
	ds_read_b64 v[0:1], v0
	buffer_load_dword v3, off, s[0:3], s33 offset:192 ; 4-byte Folded Reload
	buffer_load_dword v4, off, s[0:3], s33 offset:196 ; 4-byte Folded Reload
	v_ashrrev_i32_e32 v47, 31, v46
	s_waitcnt vmcnt(0)
	v_lshlrev_b64 v[3:4], 1, v[3:4]
	s_waitcnt lgkmcnt(0)
	v_add_co_u32_e32 v0, vcc, v0, v3
	v_addc_co_u32_e32 v1, vcc, v1, v4, vcc
	v_add_co_u32_e32 v3, vcc, v0, v41
	v_addc_co_u32_e32 v4, vcc, v1, v42, vcc
	v_lshlrev_b64 v[0:1], 1, v[46:47]
	v_add_co_u32_e32 v0, vcc, v3, v0
	v_addc_co_u32_e32 v1, vcc, v4, v1, vcc
	v_mov_b32_e32 v3, v2
	ds_write_b64 v0, v[0:1]
	ds_write_b64 v0, v[2:3]
.LBB10_630:                             ;   in Loop: Header=BB10_628 Depth=3
	s_or_b64 exec, exec, s[28:29]
	v_sub_u32_e32 v0, v33, v46
	v_min_i32_e32 v26, v26, v0
	buffer_load_dword v0, off, s[0:3], s33 offset:68 ; 4-byte Folded Reload
	s_waitcnt vmcnt(0)
	v_and_b32_e32 v0, 12, v0
	v_cmp_ne_u32_e32 vcc, 0, v0
	s_and_saveexec_b64 s[78:79], vcc
	s_cbranch_execz .LBB10_656
; %bb.631:                              ;   in Loop: Header=BB10_628 Depth=3
	buffer_load_dword v0, off, s[0:3], s33 offset:68 ; 4-byte Folded Reload
	buffer_load_dword v3, off, s[0:3], s33 offset:80 ; 4-byte Folded Reload
	;; [unrolled: 1-line block ×3, first 2 shown]
	s_waitcnt vmcnt(0)
	v_and_b32_e32 v0, 8, v0
	s_waitcnt lgkmcnt(0)
	v_add_co_u32_e32 v5, vcc, v48, v0
	v_addc_co_u32_e32 v6, vcc, 0, v49, vcc
	v_add_co_u32_e32 v3, vcc, 2, v3
	v_addc_co_u32_e32 v4, vcc, 0, v4, vcc
	v_cmp_lt_u64_e32 vcc, v[5:6], v[3:4]
	s_and_saveexec_b64 s[88:89], vcc
	s_cbranch_execz .LBB10_643
; %bb.632:                              ;   in Loop: Header=BB10_628 Depth=3
	buffer_load_dword v1, off, s[0:3], s33 offset:68 ; 4-byte Folded Reload
	s_mov_b32 s87, 0
	s_mov_b64 s[90:91], 0
                                        ; implicit-def: $sgpr92_sgpr93
                                        ; implicit-def: $sgpr94_sgpr95
                                        ; implicit-def: $sgpr30_sgpr31
	s_waitcnt vmcnt(0)
	v_and_b32_e32 v1, 64, v1
	v_cmp_eq_u32_e32 vcc, 0, v1
	s_branch .LBB10_636
.LBB10_633:                             ;   in Loop: Header=BB10_636 Depth=4
	s_waitcnt vmcnt(0) lgkmcnt(0)
	v_add_co_u32_e64 v5, s[28:29], v48, v0
	v_addc_co_u32_e64 v6, s[28:29], 0, v49, s[28:29]
	v_cmp_ge_u64_e64 s[28:29], v[5:6], v[3:4]
	s_or_b64 s[38:39], s[38:39], exec
	s_orn2_b64 s[36:37], s[28:29], exec
.LBB10_634:                             ;   in Loop: Header=BB10_636 Depth=4
	s_or_b64 exec, exec, s[50:51]
	s_andn2_b64 s[28:29], s[30:31], exec
	s_and_b64 s[30:31], s[38:39], exec
	s_or_b64 s[30:31], s[28:29], s[30:31]
	s_andn2_b64 s[28:29], s[94:95], exec
	s_and_b64 s[94:95], s[36:37], exec
	s_or_b64 s[94:95], s[28:29], s[94:95]
.LBB10_635:                             ;   in Loop: Header=BB10_636 Depth=4
	s_or_b64 exec, exec, s[34:35]
	s_and_b64 s[28:29], exec, s[94:95]
	s_or_b64 s[90:91], s[28:29], s[90:91]
	s_andn2_b64 s[28:29], s[92:93], exec
	s_and_b64 s[92:93], s[30:31], exec
	s_or_b64 s[92:93], s[28:29], s[92:93]
	s_andn2_b64 exec, exec, s[90:91]
	s_cbranch_execz .LBB10_640
.LBB10_636:                             ;   Parent Loop BB10_47 Depth=1
                                        ;     Parent Loop BB10_625 Depth=2
                                        ;       Parent Loop BB10_628 Depth=3
                                        ; =>      This Inner Loop Header: Depth=4
	s_sleep 1
	buffer_load_dword v5, off, s[0:3], s33 offset:60 ; 4-byte Folded Reload
	buffer_load_dword v6, off, s[0:3], s33 offset:64 ; 4-byte Folded Reload
	s_or_b64 s[30:31], s[30:31], exec
	s_or_b64 s[94:95], s[94:95], exec
                                        ; implicit-def: $vgpr1
	s_waitcnt vmcnt(0) lgkmcnt(0)
	flat_load_dwordx2 v[48:49], v[5:6] glc
	s_and_saveexec_b64 s[34:35], vcc
	s_cbranch_execz .LBB10_635
; %bb.637:                              ;   in Loop: Header=BB10_636 Depth=4
	s_cmpk_lt_i32 s87, 0x270f
	s_cselect_b64 s[48:49], -1, 0
	s_cmpk_gt_i32 s87, 0x270e
	s_mov_b64 s[36:37], -1
	s_cbranch_scc0 .LBB10_639
; %bb.638:                              ;   in Loop: Header=BB10_636 Depth=4
	s_trap 2
	ds_read_b64 v[5:6], v0
	s_andn2_b64 s[48:49], s[48:49], exec
	s_mov_b32 s87, 0
	s_mov_b64 s[38:39], 0
	s_waitcnt vmcnt(0) lgkmcnt(0)
	flat_load_dword v1, v[5:6] glc
	s_waitcnt vmcnt(0) lgkmcnt(0)
	buffer_wbinvl1_vol
	v_cmp_eq_u32_e64 s[28:29], 0, v1
	s_and_b64 s[28:29], s[28:29], exec
	s_or_b64 s[48:49], s[48:49], s[28:29]
	s_and_saveexec_b64 s[50:51], s[48:49]
	s_cbranch_execz .LBB10_634
	s_branch .LBB10_633
.LBB10_639:                             ;   in Loop: Header=BB10_636 Depth=4
	s_add_i32 s87, s87, 1
	s_mov_b64 s[38:39], -1
                                        ; implicit-def: $vgpr1
	s_and_saveexec_b64 s[50:51], s[48:49]
	s_cbranch_execz .LBB10_634
	s_branch .LBB10_633
.LBB10_640:                             ;   in Loop: Header=BB10_628 Depth=3
	s_or_b64 exec, exec, s[90:91]
	s_xor_b64 s[28:29], s[92:93], -1
	s_and_saveexec_b64 s[90:91], s[28:29]
	s_xor_b64 s[28:29], exec, s[90:91]
	s_cbranch_execz .LBB10_642
; %bb.641:                              ;   in Loop: Header=BB10_628 Depth=3
	s_waitcnt lgkmcnt(0)
	ds_write_b32 v0, v1
	s_trap 2
	buffer_load_dword v1, off, s[0:3], s33 offset:68 ; 4-byte Folded Reload
	s_waitcnt vmcnt(0)
	v_or_b32_e32 v1, 64, v1
	buffer_store_dword v1, off, s[0:3], s33 offset:68 ; 4-byte Folded Spill
.LBB10_642:                             ;   in Loop: Header=BB10_628 Depth=3
	s_or_b64 exec, exec, s[28:29]
.LBB10_643:                             ;   in Loop: Header=BB10_628 Depth=3
	s_or_b64 exec, exec, s[88:89]
	;;#ASMSTART
	s_wakeup
	;;#ASMEND
	buffer_load_dword v1, off, s[0:3], s33 offset:68 ; 4-byte Folded Reload
                                        ; implicit-def: $vgpr8_vgpr9
	s_waitcnt vmcnt(0)
	v_and_b32_e32 v1, 0x108, v1
	v_cmp_ne_u32_e32 vcc, s68, v1
	s_and_saveexec_b64 s[28:29], vcc
	s_xor_b64 s[28:29], exec, s[28:29]
	s_cbranch_execz .LBB10_645
; %bb.644:                              ;   in Loop: Header=BB10_628 Depth=3
	buffer_load_dword v5, off, s[0:3], s33 offset:80 ; 4-byte Folded Reload
	buffer_load_dword v6, off, s[0:3], s33 offset:84 ; 4-byte Folded Reload
	v_mov_b32_e32 v9, v2
	s_waitcnt vmcnt(0)
	v_and_b32_e32 v8, 7, v5
                                        ; implicit-def: $vgpr5_vgpr6
                                        ; kill: killed $vgpr5_vgpr6
.LBB10_645:                             ;   in Loop: Header=BB10_628 Depth=3
	s_andn2_saveexec_b64 s[28:29], s[28:29]
	s_cbranch_execz .LBB10_647
; %bb.646:                              ;   in Loop: Header=BB10_628 Depth=3
	buffer_load_dword v5, off, s[0:3], s33 offset:80 ; 4-byte Folded Reload
	buffer_load_dword v6, off, s[0:3], s33 offset:84 ; 4-byte Folded Reload
	;; [unrolled: 1-line block ×6, first 2 shown]
	v_ashrrev_i32_e32 v27, 31, v26
	s_waitcnt vmcnt(0)
	v_and_b32_e32 v8, 7, v5
	v_mad_u64_u32 v[5:6], s[88:89], v8, 24, v[9:10]
	v_lshlrev_b64 v[10:11], 1, v[26:27]
	v_mov_b32_e32 v9, v2
	flat_store_dwordx2 v[5:6], v[10:11] offset:8
.LBB10_647:                             ;   in Loop: Header=BB10_628 Depth=3
	s_or_b64 exec, exec, s[28:29]
	buffer_load_dword v1, off, s[0:3], s33 offset:68 ; 4-byte Folded Reload
	s_mov_b64 s[28:29], -1
                                        ; implicit-def: $vgpr10_vgpr11
	s_waitcnt vmcnt(0)
	v_and_b32_e32 v1, 0x100, v1
	v_cmp_ne_u32_e32 vcc, 0, v1
	s_and_saveexec_b64 s[88:89], vcc
	s_cbranch_execz .LBB10_651
; %bb.648:                              ;   in Loop: Header=BB10_628 Depth=3
	buffer_load_dword v10, off, s[0:3], s33 offset:112 ; 4-byte Folded Reload
	buffer_load_dword v11, off, s[0:3], s33 offset:116 ; 4-byte Folded Reload
	;; [unrolled: 1-line block ×4, first 2 shown]
	s_waitcnt vmcnt(0)
	v_mad_u64_u32 v[12:13], s[28:29], v8, 24, v[10:11]
                                        ; implicit-def: $vgpr10_vgpr11
	v_mov_b32_e32 v1, v13
	v_mad_u64_u32 v[5:6], s[28:29], v9, 24, v[1:2]
	v_mov_b32_e32 v13, v5
	flat_load_dword v1, v[12:13]
	s_waitcnt vmcnt(0) lgkmcnt(0)
	v_cmp_ne_u32_e32 vcc, 1, v1
	v_cmp_eq_u32_e64 s[28:29], 1, v1
	s_and_saveexec_b64 s[90:91], s[28:29]
	s_cbranch_execz .LBB10_650
; %bb.649:                              ;   in Loop: Header=BB10_628 Depth=3
	flat_load_dword v5, v[12:13] offset:4 glc
	s_waitcnt vmcnt(0) lgkmcnt(0)
	v_ashrrev_i32_e32 v6, 31, v5
	v_lshrrev_b64 v[10:11], 1, v[5:6]
.LBB10_650:                             ;   in Loop: Header=BB10_628 Depth=3
	s_or_b64 exec, exec, s[90:91]
	s_orn2_b64 s[28:29], vcc, exec
.LBB10_651:                             ;   in Loop: Header=BB10_628 Depth=3
	s_or_b64 exec, exec, s[88:89]
	s_and_saveexec_b64 s[88:89], s[28:29]
	s_cbranch_execz .LBB10_653
; %bb.652:                              ;   in Loop: Header=BB10_628 Depth=3
	buffer_load_dword v6, off, s[0:3], s33 offset:140 ; 4-byte Folded Reload
	buffer_load_dword v5, off, s[0:3], s33 offset:160 ; 4-byte Folded Reload
	s_waitcnt vmcnt(0)
	v_mul_lo_u32 v1, v9, v6
	v_mul_lo_u32 v5, v8, v5
	v_mad_u64_u32 v[10:11], s[28:29], v8, v6, 0
	v_add3_u32 v11, v11, v5, v1
.LBB10_653:                             ;   in Loop: Header=BB10_628 Depth=3
	s_or_b64 exec, exec, s[88:89]
	buffer_load_dword v6, off, s[0:3], s33 offset:104 ; 4-byte Folded Reload
	buffer_load_dword v7, off, s[0:3], s33 offset:108 ; 4-byte Folded Reload
	v_cmp_eq_u32_e32 vcc, 0, v0
	v_mov_b32_e32 v0, 0xc8
	v_mov_b32_e32 v1, 0x90
	v_cndmask_b32_e32 v5, v0, v1, vcc
	v_lshlrev_b64 v[0:1], 1, v[10:11]
	s_waitcnt vmcnt(0)
	v_add_co_u32_e32 v0, vcc, v6, v0
	v_addc_co_u32_e32 v1, vcc, v7, v1, vcc
	v_add_u32_e32 v5, v0, v5
	ds_write_b64 v5, v[0:1] offset:584
	buffer_load_dword v0, off, s[0:3], s33 offset:68 ; 4-byte Folded Reload
	s_waitcnt vmcnt(0)
	v_and_b32_e32 v0, 0x2000, v0
	v_cmp_ne_u32_e32 vcc, 0, v0
	s_and_saveexec_b64 s[28:29], vcc
	s_cbranch_execz .LBB10_655
; %bb.654:                              ;   in Loop: Header=BB10_628 Depth=3
	ds_read_b64 v[0:1], v0 offset:872
	s_waitcnt lgkmcnt(0)
	v_add_co_u32_e32 v0, vcc, 1, v0
	v_addc_co_u32_e32 v1, vcc, 0, v1, vcc
	ds_write_b64 v0, v[0:1] offset:872
.LBB10_655:                             ;   in Loop: Header=BB10_628 Depth=3
	s_or_b64 exec, exec, s[28:29]
	buffer_store_dword v3, off, s[0:3], s33 offset:80 ; 4-byte Folded Spill
	s_nop 0
	buffer_store_dword v4, off, s[0:3], s33 offset:84 ; 4-byte Folded Spill
.LBB10_656:                             ;   in Loop: Header=BB10_628 Depth=3
	s_or_b64 exec, exec, s[78:79]
	s_and_saveexec_b64 s[28:29], s[10:11]
	s_cbranch_execz .LBB10_675
; %bb.657:                              ;   in Loop: Header=BB10_628 Depth=3
	s_and_saveexec_b64 s[78:79], s[56:57]
	s_xor_b64 s[78:79], exec, s[78:79]
	s_cbranch_execz .LBB10_672
; %bb.658:                              ;   in Loop: Header=BB10_628 Depth=3
	s_and_saveexec_b64 s[88:89], s[16:17]
	s_cbranch_execz .LBB10_671
; %bb.659:                              ;   in Loop: Header=BB10_628 Depth=3
	s_mov_b64 s[92:93], exec
	v_mbcnt_lo_u32_b32 v0, s92, 0
	v_mbcnt_hi_u32_b32 v0, s93, v0
	v_cmp_eq_u32_e32 vcc, 0, v0
	s_waitcnt vmcnt(0) lgkmcnt(0)
	buffer_wbinvl1_vol
	s_and_saveexec_b64 s[90:91], vcc
	s_cbranch_execz .LBB10_661
; %bb.660:                              ;   in Loop: Header=BB10_628 Depth=3
	s_bcnt1_i32_b64 s92, s[92:93]
	v_mov_b32_e32 v0, s92
	v_mov_b32_e32 v1, v2
	ds_add_u64 v0, v[0:1]
	s_trap 2
.LBB10_661:                             ;   in Loop: Header=BB10_628 Depth=3
	s_or_b64 exec, exec, s[90:91]
	s_trap 2
	ds_read_b64 v[0:1], v0
	s_waitcnt lgkmcnt(0)
	buffer_load_dword v3, off, s[0:3], s33 offset:72 ; 4-byte Folded Reload
	buffer_load_dword v4, off, s[0:3], s33 offset:76 ; 4-byte Folded Reload
	;; [unrolled: 1-line block ×3, first 2 shown]
	s_waitcnt vmcnt(0)
	v_add_co_u32_e32 v3, vcc, v3, v5
	v_addc_co_u32_e32 v4, vcc, 0, v4, vcc
	buffer_store_dword v3, off, s[0:3], s33 offset:72 ; 4-byte Folded Spill
	s_nop 0
	buffer_store_dword v4, off, s[0:3], s33 offset:76 ; 4-byte Folded Spill
	v_cmp_lt_u64_e32 vcc, v[0:1], v[3:4]
	s_and_saveexec_b64 s[90:91], vcc
	s_cbranch_execz .LBB10_670
; %bb.662:                              ;   in Loop: Header=BB10_628 Depth=3
	s_mov_b32 s38, 0
	s_mov_b64 s[92:93], 0
                                        ; implicit-def: $sgpr94_sgpr95
                                        ; implicit-def: $sgpr30_sgpr31
	s_branch .LBB10_664
.LBB10_663:                             ;   in Loop: Header=BB10_664 Depth=4
	s_or_b64 exec, exec, s[36:37]
	s_and_b64 vcc, exec, vcc
	s_or_b64 s[92:93], vcc, s[92:93]
	s_andn2_b64 s[94:95], s[94:95], exec
	s_and_b64 vcc, s[30:31], exec
	s_or_b64 s[94:95], s[94:95], vcc
	s_andn2_b64 exec, exec, s[92:93]
	s_cbranch_execz .LBB10_668
.LBB10_664:                             ;   Parent Loop BB10_47 Depth=1
                                        ;     Parent Loop BB10_625 Depth=2
                                        ;       Parent Loop BB10_628 Depth=3
                                        ; =>      This Inner Loop Header: Depth=4
	s_add_i32 s38, s38, 1
	s_cmpk_lg_i32 s38, 0x2710
	s_cselect_b64 s[34:35], -1, 0
	s_and_b64 vcc, exec, s[34:35]
	s_cbranch_vccz .LBB10_666
; %bb.665:                              ;   in Loop: Header=BB10_664 Depth=4
	s_mov_b64 vcc, -1
	s_or_b64 s[30:31], s[30:31], exec
	s_and_saveexec_b64 s[36:37], s[34:35]
	s_cbranch_execz .LBB10_663
	s_branch .LBB10_667
.LBB10_666:                             ;   in Loop: Header=BB10_664 Depth=4
	s_trap 2
	ds_read_b64 v[0:1], v0
	s_andn2_b64 s[34:35], s[34:35], exec
	s_mov_b32 s38, 0
	s_waitcnt vmcnt(0) lgkmcnt(0)
	flat_load_dword v0, v[0:1] glc
	s_waitcnt vmcnt(0) lgkmcnt(0)
	buffer_wbinvl1_vol
	v_cmp_eq_u32_e32 vcc, 0, v0
	s_and_b64 vcc, vcc, exec
	s_or_b64 s[34:35], s[34:35], vcc
	s_mov_b64 vcc, -1
	s_or_b64 s[30:31], s[30:31], exec
	s_and_saveexec_b64 s[36:37], s[34:35]
	s_cbranch_execz .LBB10_663
.LBB10_667:                             ;   in Loop: Header=BB10_664 Depth=4
	s_sleep 1
	s_trap 2
	ds_read_b64 v[0:1], v0
	s_waitcnt lgkmcnt(0)
	buffer_load_dword v3, off, s[0:3], s33 offset:72 ; 4-byte Folded Reload
	buffer_load_dword v4, off, s[0:3], s33 offset:76 ; 4-byte Folded Reload
	s_andn2_b64 s[30:31], s[30:31], exec
	s_waitcnt vmcnt(0)
	v_cmp_ge_u64_e32 vcc, v[0:1], v[3:4]
	s_orn2_b64 vcc, vcc, exec
	s_branch .LBB10_663
.LBB10_668:                             ;   in Loop: Header=BB10_628 Depth=3
	s_or_b64 exec, exec, s[92:93]
	s_and_saveexec_b64 s[92:93], s[94:95]
	s_xor_b64 s[92:93], exec, s[92:93]
	s_cbranch_execz .LBB10_670
; %bb.669:                              ;   in Loop: Header=BB10_628 Depth=3
	v_mov_b32_e32 v0, 1
	ds_write_b32 v0, v0
	s_trap 2
.LBB10_670:                             ;   in Loop: Header=BB10_628 Depth=3
	s_or_b64 exec, exec, s[90:91]
	;;#ASMSTART
	s_wakeup
	;;#ASMEND
.LBB10_671:                             ;   in Loop: Header=BB10_628 Depth=3
	s_or_b64 exec, exec, s[88:89]
.LBB10_672:                             ;   in Loop: Header=BB10_628 Depth=3
	s_andn2_saveexec_b64 s[78:79], s[78:79]
	s_cbranch_execz .LBB10_674
; %bb.673:                              ;   in Loop: Header=BB10_628 Depth=3
	s_waitcnt vmcnt(0) lgkmcnt(0)
	buffer_wbinvl1_vol
	s_barrier
.LBB10_674:                             ;   in Loop: Header=BB10_628 Depth=3
	s_or_b64 exec, exec, s[78:79]
.LBB10_675:                             ;   in Loop: Header=BB10_628 Depth=3
	s_or_b64 exec, exec, s[28:29]
	s_trap 2
	buffer_load_dword v1, off, s[0:3], s33 offset:68 ; 4-byte Folded Reload
	ds_read_b32 v0, v0
	s_xor_b64 s[28:29], s[6:7], -1
	s_waitcnt vmcnt(0)
	v_and_b32_e32 v1, 0x4000, v1
	v_cmp_ne_u32_e32 vcc, 0, v1
	s_and_b64 s[78:79], s[28:29], vcc
	s_and_saveexec_b64 s[28:29], s[78:79]
	s_cbranch_execz .LBB10_694
; %bb.676:                              ;   in Loop: Header=BB10_628 Depth=3
	s_and_saveexec_b64 s[78:79], s[56:57]
	s_xor_b64 s[78:79], exec, s[78:79]
	s_cbranch_execz .LBB10_691
; %bb.677:                              ;   in Loop: Header=BB10_628 Depth=3
	s_and_saveexec_b64 s[88:89], s[16:17]
	s_cbranch_execz .LBB10_690
; %bb.678:                              ;   in Loop: Header=BB10_628 Depth=3
	s_mov_b64 s[92:93], exec
	v_mbcnt_lo_u32_b32 v1, s92, 0
	v_mbcnt_hi_u32_b32 v1, s93, v1
	v_cmp_eq_u32_e32 vcc, 0, v1
	s_waitcnt lgkmcnt(0)
	buffer_wbinvl1_vol
	s_and_saveexec_b64 s[90:91], vcc
	s_cbranch_execz .LBB10_680
; %bb.679:                              ;   in Loop: Header=BB10_628 Depth=3
	s_bcnt1_i32_b64 s92, s[92:93]
	v_mov_b32_e32 v3, s92
	v_mov_b32_e32 v4, v2
	ds_add_u64 v0, v[3:4]
	s_trap 2
.LBB10_680:                             ;   in Loop: Header=BB10_628 Depth=3
	s_or_b64 exec, exec, s[90:91]
	s_trap 2
	ds_read_b64 v[3:4], v0
	s_waitcnt lgkmcnt(0)
	buffer_load_dword v5, off, s[0:3], s33 offset:72 ; 4-byte Folded Reload
	buffer_load_dword v6, off, s[0:3], s33 offset:76 ; 4-byte Folded Reload
	;; [unrolled: 1-line block ×3, first 2 shown]
	s_waitcnt vmcnt(0)
	v_add_co_u32_e32 v5, vcc, v5, v1
	v_addc_co_u32_e32 v6, vcc, 0, v6, vcc
	buffer_store_dword v5, off, s[0:3], s33 offset:72 ; 4-byte Folded Spill
	s_nop 0
	buffer_store_dword v6, off, s[0:3], s33 offset:76 ; 4-byte Folded Spill
	v_cmp_lt_u64_e32 vcc, v[3:4], v[5:6]
	s_and_saveexec_b64 s[90:91], vcc
	s_cbranch_execz .LBB10_689
; %bb.681:                              ;   in Loop: Header=BB10_628 Depth=3
	s_mov_b32 s38, 0
	s_mov_b64 s[92:93], 0
                                        ; implicit-def: $sgpr94_sgpr95
                                        ; implicit-def: $sgpr30_sgpr31
	s_branch .LBB10_683
.LBB10_682:                             ;   in Loop: Header=BB10_683 Depth=4
	s_or_b64 exec, exec, s[36:37]
	s_and_b64 vcc, exec, vcc
	s_or_b64 s[92:93], vcc, s[92:93]
	s_andn2_b64 s[94:95], s[94:95], exec
	s_and_b64 vcc, s[30:31], exec
	s_or_b64 s[94:95], s[94:95], vcc
	s_andn2_b64 exec, exec, s[92:93]
	s_cbranch_execz .LBB10_687
.LBB10_683:                             ;   Parent Loop BB10_47 Depth=1
                                        ;     Parent Loop BB10_625 Depth=2
                                        ;       Parent Loop BB10_628 Depth=3
                                        ; =>      This Inner Loop Header: Depth=4
	s_add_i32 s38, s38, 1
	s_cmpk_lg_i32 s38, 0x2710
	s_cselect_b64 s[34:35], -1, 0
	s_and_b64 vcc, exec, s[34:35]
	s_cbranch_vccz .LBB10_685
; %bb.684:                              ;   in Loop: Header=BB10_683 Depth=4
	s_mov_b64 vcc, -1
	s_or_b64 s[30:31], s[30:31], exec
	s_and_saveexec_b64 s[36:37], s[34:35]
	s_cbranch_execz .LBB10_682
	s_branch .LBB10_686
.LBB10_685:                             ;   in Loop: Header=BB10_683 Depth=4
	s_trap 2
	ds_read_b64 v[3:4], v0
	s_andn2_b64 s[34:35], s[34:35], exec
	s_mov_b32 s38, 0
	s_waitcnt vmcnt(0) lgkmcnt(0)
	flat_load_dword v1, v[3:4] glc
	s_waitcnt vmcnt(0) lgkmcnt(0)
	buffer_wbinvl1_vol
	v_cmp_eq_u32_e32 vcc, 0, v1
	s_and_b64 vcc, vcc, exec
	s_or_b64 s[34:35], s[34:35], vcc
	s_mov_b64 vcc, -1
	s_or_b64 s[30:31], s[30:31], exec
	s_and_saveexec_b64 s[36:37], s[34:35]
	s_cbranch_execz .LBB10_682
.LBB10_686:                             ;   in Loop: Header=BB10_683 Depth=4
	s_sleep 1
	s_trap 2
	ds_read_b64 v[3:4], v0
	s_waitcnt lgkmcnt(0)
	buffer_load_dword v5, off, s[0:3], s33 offset:72 ; 4-byte Folded Reload
	buffer_load_dword v6, off, s[0:3], s33 offset:76 ; 4-byte Folded Reload
	s_andn2_b64 s[30:31], s[30:31], exec
	s_waitcnt vmcnt(0)
	v_cmp_ge_u64_e32 vcc, v[3:4], v[5:6]
	s_orn2_b64 vcc, vcc, exec
	s_branch .LBB10_682
.LBB10_687:                             ;   in Loop: Header=BB10_628 Depth=3
	s_or_b64 exec, exec, s[92:93]
	s_and_saveexec_b64 s[92:93], s[94:95]
	s_xor_b64 s[92:93], exec, s[92:93]
	s_cbranch_execz .LBB10_689
; %bb.688:                              ;   in Loop: Header=BB10_628 Depth=3
	v_mov_b32_e32 v1, 1
	ds_write_b32 v0, v1
	s_trap 2
.LBB10_689:                             ;   in Loop: Header=BB10_628 Depth=3
	s_or_b64 exec, exec, s[90:91]
	;;#ASMSTART
	s_wakeup
	;;#ASMEND
.LBB10_690:                             ;   in Loop: Header=BB10_628 Depth=3
	s_or_b64 exec, exec, s[88:89]
.LBB10_691:                             ;   in Loop: Header=BB10_628 Depth=3
	s_andn2_saveexec_b64 s[78:79], s[78:79]
	s_cbranch_execz .LBB10_693
; %bb.692:                              ;   in Loop: Header=BB10_628 Depth=3
	s_waitcnt vmcnt(0) lgkmcnt(0)
	buffer_wbinvl1_vol
	s_barrier
.LBB10_693:                             ;   in Loop: Header=BB10_628 Depth=3
	s_or_b64 exec, exec, s[78:79]
.LBB10_694:                             ;   in Loop: Header=BB10_628 Depth=3
	s_or_b64 exec, exec, s[28:29]
	s_trap 2
	s_waitcnt lgkmcnt(0)
	ds_read_b64 v[56:57], v0
	s_waitcnt lgkmcnt(0)
	v_cmp_eq_u64_e32 vcc, 0, v[56:57]
	s_cbranch_vccnz .LBB10_702
; %bb.695:                              ;   in Loop: Header=BB10_628 Depth=3
	s_trap 2
	ds_read_b64 v[44:45], v0
	s_waitcnt lgkmcnt(0)
	v_cmp_eq_u64_e32 vcc, 0, v[44:45]
	s_cbranch_vccnz .LBB10_702
; %bb.696:                              ;   in Loop: Header=BB10_628 Depth=3
	s_mov_b64 s[28:29], -1
	s_and_saveexec_b64 s[78:79], s[22:23]
	s_cbranch_execz .LBB10_698
; %bb.697:                              ;   in Loop: Header=BB10_628 Depth=3
	ds_read_b32 v1, v0 offset:720
	s_waitcnt lgkmcnt(0)
	v_and_b32_e32 v1, 15, v1
	v_cmp_eq_u32_e32 vcc, 0, v1
	s_orn2_b64 s[28:29], vcc, exec
.LBB10_698:                             ;   in Loop: Header=BB10_628 Depth=3
	s_or_b64 exec, exec, s[78:79]
	s_and_saveexec_b64 s[78:79], s[20:21]
	s_cbranch_execz .LBB10_700
; %bb.699:                              ;   in Loop: Header=BB10_628 Depth=3
	ds_read_b32 v1, v0 offset:784
	s_waitcnt lgkmcnt(0)
	v_and_b32_e32 v1, 15, v1
	v_cmp_eq_u32_e32 vcc, 0, v1
	s_and_b64 s[88:89], s[28:29], vcc
	s_andn2_b64 s[28:29], s[28:29], exec
	s_and_b64 s[88:89], s[88:89], exec
	s_or_b64 s[28:29], s[28:29], s[88:89]
.LBB10_700:                             ;   in Loop: Header=BB10_628 Depth=3
	s_or_b64 exec, exec, s[78:79]
	v_cmp_eq_u32_e32 vcc, 0, v0
	s_xor_b64 s[28:29], s[28:29], -1
	v_cndmask_b32_e32 v43, 0, v26, vcc
	v_cndmask_b32_e64 v0, 0, 1, s[28:29]
	v_lshlrev_b32_e32 v47, 1, v43
	s_mov_b64 s[88:89], -1
	v_cmp_ne_u32_e32 vcc, 0, v0
	v_mov_b32_e32 v0, 0
	s_cbranch_vccz .LBB10_707
; %bb.701:                              ;   in Loop: Header=BB10_628 Depth=3
	buffer_load_dword v1, off, s[0:3], s33 offset:180 ; 4-byte Folded Reload
	s_and_saveexec_b64 s[28:29], s[88:89]
	s_cbranch_execnz .LBB10_1038
	s_branch .LBB10_1182
.LBB10_702:                             ;   in Loop: Header=BB10_628 Depth=3
	s_mov_b64 s[28:29], 0
	s_and_saveexec_b64 s[78:79], s[10:11]
	s_cbranch_execnz .LBB10_1183
.LBB10_703:                             ;   in Loop: Header=BB10_628 Depth=3
	s_or_b64 exec, exec, s[78:79]
                                        ; implicit-def: $vgpr0
	s_and_saveexec_b64 s[78:79], s[24:25]
	s_xor_b64 s[78:79], exec, s[78:79]
	s_cbranch_execz .LBB10_1201
.LBB10_704:                             ;   in Loop: Header=BB10_628 Depth=3
	buffer_load_dword v1, off, s[0:3], s33 offset:68 ; 4-byte Folded Reload
	s_waitcnt vmcnt(0)
	v_and_b32_e32 v0, 16, v1
	v_and_b32_e32 v1, 16, v1
	v_cmp_ne_u32_e32 vcc, 0, v1
	s_and_b64 s[88:89], vcc, s[28:29]
	s_and_saveexec_b64 s[28:29], s[88:89]
	s_cbranch_execz .LBB10_706
; %bb.705:                              ;   in Loop: Header=BB10_628 Depth=3
	v_mov_b32_e32 v0, 1
	s_waitcnt lgkmcnt(0)
	buffer_wbinvl1_vol
.LBB10_706:                             ;   in Loop: Header=BB10_628 Depth=3
	s_or_b64 exec, exec, s[28:29]
	s_andn2_saveexec_b64 s[28:29], s[78:79]
	s_cbranch_execz .LBB10_1220
	s_branch .LBB10_1202
.LBB10_707:                             ;   in Loop: Header=BB10_628 Depth=3
	v_ashrrev_i32_e32 v0, 31, v47
	v_lshrrev_b32_e32 v0, 20, v0
	buffer_store_dword v56, off, s[0:3], s33 offset:208 ; 4-byte Folded Spill
	s_nop 0
	buffer_store_dword v57, off, s[0:3], s33 offset:212 ; 4-byte Folded Spill
	buffer_store_dword v44, off, s[0:3], s33 offset:200 ; 4-byte Folded Spill
	s_nop 0
	buffer_store_dword v45, off, s[0:3], s33 offset:204 ; 4-byte Folded Spill
	buffer_store_dword v43, off, s[0:3], s33 offset:220 ; 4-byte Folded Spill
	v_add_u32_e32 v0, v47, v0
	v_ashrrev_i32_e32 v1, 12, v0
	buffer_load_dword v0, off, s[0:3], s33 offset:216 ; 4-byte Folded Reload
	s_waitcnt vmcnt(0)
	v_sub_u32_e32 v60, v1, v0
	v_cmp_lt_i32_e32 vcc, 0, v60
	buffer_store_dword v47, off, s[0:3], s33 offset:184 ; 4-byte Folded Spill
	s_and_saveexec_b64 s[28:29], vcc
	s_cbranch_execz .LBB10_967
; %bb.708:                              ;   in Loop: Header=BB10_628 Depth=3
	buffer_store_dword v1, off, s[0:3], s33 offset:240 ; 4-byte Folded Spill
	s_trap 2
	ds_read_b64 v[0:1], v0
	buffer_load_dword v6, off, s[0:3], s33 offset:316 ; 4-byte Folded Reload
	buffer_load_dword v3, off, s[0:3], s33 offset:208 ; 4-byte Folded Reload
	;; [unrolled: 1-line block ×3, first 2 shown]
	s_mov_b64 s[78:79], 0
	s_waitcnt lgkmcnt(0)
	ds_read_b32 v5, v0
	s_waitcnt vmcnt(1)
	v_add_co_u32_e32 v3, vcc, v3, v6
	s_waitcnt vmcnt(0)
	v_addc_co_u32_e32 v4, vcc, 0, v4, vcc
	v_add_co_u32_e32 v24, vcc, v0, v6
	v_addc_co_u32_e32 v25, vcc, 0, v1, vcc
	buffer_load_dword v0, off, s[0:3], s33 offset:200 ; 4-byte Folded Reload
	buffer_load_dword v1, off, s[0:3], s33 offset:204 ; 4-byte Folded Reload
	s_waitcnt vmcnt(1)
	v_add_co_u32_e32 v29, vcc, v0, v6
	s_waitcnt vmcnt(0)
	v_addc_co_u32_e32 v30, vcc, 0, v1, vcc
	s_waitcnt lgkmcnt(0)
	v_lshlrev_b32_e32 v0, 16, v5
	s_branch .LBB10_710
.LBB10_709:                             ;   in Loop: Header=BB10_710 Depth=4
	s_or_b64 exec, exec, s[88:89]
	v_lshrrev_b32_e32 v11, 16, v51
	v_and_or_b32 v13, v13, s66, v11
	v_lshrrev_b32_e32 v11, 16, v31
	v_and_or_b32 v12, v12, s66, v11
	;; [unrolled: 2-line block ×3, first 2 shown]
	v_lshrrev_b32_e32 v11, 16, v34
	v_lshrrev_b32_e32 v1, 16, v1
	v_and_or_b32 v15, v15, s66, v11
	v_lshrrev_b32_e32 v11, 16, v28
	v_and_or_b32 v20, v20, s66, v1
	v_lshrrev_b32_e32 v1, 16, v38
	v_and_or_b32 v17, v17, s66, v11
	v_lshrrev_b32_e32 v11, 16, v23
	v_and_or_b32 v22, v22, s66, v1
	v_lshrrev_b32_e32 v1, 16, v40
	v_and_or_b32 v16, v16, s66, v11
	v_lshrrev_b32_e32 v11, 16, v27
	v_and_or_b32 v23, v5, s66, v1
	v_lshrrev_b32_e32 v1, 16, v53
	v_and_or_b32 v18, v18, s66, v11
	v_lshrrev_b32_e32 v11, 16, v50
	v_and_or_b32 v32, v9, s66, v1
	v_lshrrev_b32_e32 v1, 16, v55
	v_and_or_b32 v19, v19, s66, v11
	v_lshrrev_b32_e32 v11, 16, v39
	v_and_or_b32 v31, v8, s66, v1
	v_lshrrev_b32_e32 v1, 16, v37
	v_and_or_b32 v21, v21, s66, v11
	v_and_or_b32 v33, v7, s66, v1
	v_lshrrev_b32_e32 v1, 16, v10
	v_and_or_b32 v34, v6, s66, v1
	global_store_dwordx4 v[29:30], v[20:23], off glc slc
	global_store_dwordx4 v[29:30], v[16:19], off offset:1024 glc slc
	global_store_dwordx4 v[29:30], v[12:15], off offset:2048 glc slc
	;; [unrolled: 1-line block ×3, first 2 shown]
	buffer_load_dword v5, off, s[0:3], s33 offset:100 ; 4-byte Folded Reload
	buffer_load_dword v1, off, s[0:3], s33 offset:88 ; 4-byte Folded Reload
	s_waitcnt vmcnt(1)
	v_add_co_u32_e32 v3, vcc, v3, v5
	v_addc_co_u32_e32 v4, vcc, 0, v4, vcc
	v_add_co_u32_e32 v24, vcc, v24, v5
	v_addc_co_u32_e32 v25, vcc, 0, v25, vcc
	s_waitcnt vmcnt(0)
	v_sub_u32_e32 v60, v60, v1
	v_cmp_gt_i32_e32 vcc, 1, v60
	s_or_b64 s[78:79], vcc, s[78:79]
	v_add_co_u32_e32 v29, vcc, v29, v5
	v_addc_co_u32_e32 v30, vcc, 0, v30, vcc
	s_andn2_b64 exec, exec, s[78:79]
	s_cbranch_execz .LBB10_966
.LBB10_710:                             ;   Parent Loop BB10_47 Depth=1
                                        ;     Parent Loop BB10_625 Depth=2
                                        ;       Parent Loop BB10_628 Depth=3
                                        ; =>      This Inner Loop Header: Depth=4
	global_load_dwordx4 v[8:11], v[3:4], off glc slc
	s_waitcnt vmcnt(0)
	v_lshlrev_b32_e32 v1, 16, v8
	v_mul_f32_e32 v5, v0, v1
	v_and_b32_e32 v1, 0x7f800000, v5
	v_cmp_ne_u32_e32 vcc, s64, v1
                                        ; implicit-def: $vgpr1
	s_and_saveexec_b64 s[88:89], vcc
	s_xor_b64 s[88:89], exec, s[88:89]
; %bb.711:                              ;   in Loop: Header=BB10_710 Depth=4
	v_bfe_u32 v1, v5, 16, 1
	v_add3_u32 v1, v5, v1, s65
                                        ; implicit-def: $vgpr5
; %bb.712:                              ;   in Loop: Header=BB10_710 Depth=4
	s_andn2_saveexec_b64 s[88:89], s[88:89]
; %bb.713:                              ;   in Loop: Header=BB10_710 Depth=4
	v_or_b32_e32 v1, 0x10000, v5
	v_cmp_eq_u32_sdwa vcc, v5, v2 src0_sel:WORD_0 src1_sel:DWORD
	v_cndmask_b32_e32 v1, v1, v5, vcc
; %bb.714:                              ;   in Loop: Header=BB10_710 Depth=4
	s_or_b64 exec, exec, s[88:89]
	v_and_b32_e32 v5, 0xffff0000, v8
	v_mul_f32_e32 v5, v0, v5
	v_and_b32_e32 v6, 0x7f800000, v5
	v_cmp_ne_u32_e32 vcc, s64, v6
                                        ; implicit-def: $vgpr39
	s_and_saveexec_b64 s[88:89], vcc
	s_xor_b64 s[88:89], exec, s[88:89]
; %bb.715:                              ;   in Loop: Header=BB10_710 Depth=4
	v_bfe_u32 v6, v5, 16, 1
	v_add3_u32 v39, v5, v6, s65
                                        ; implicit-def: $vgpr5
; %bb.716:                              ;   in Loop: Header=BB10_710 Depth=4
	s_andn2_saveexec_b64 s[88:89], s[88:89]
; %bb.717:                              ;   in Loop: Header=BB10_710 Depth=4
	v_or_b32_e32 v6, 0x10000, v5
	v_cmp_eq_u32_sdwa vcc, v5, v2 src0_sel:WORD_0 src1_sel:DWORD
	v_cndmask_b32_e32 v39, v6, v5, vcc
; %bb.718:                              ;   in Loop: Header=BB10_710 Depth=4
	s_or_b64 exec, exec, s[88:89]
	v_lshlrev_b32_e32 v5, 16, v9
	v_mul_f32_e32 v5, v0, v5
	v_and_b32_e32 v6, 0x7f800000, v5
	v_cmp_ne_u32_e32 vcc, s64, v6
                                        ; implicit-def: $vgpr62
	s_and_saveexec_b64 s[88:89], vcc
	s_xor_b64 s[88:89], exec, s[88:89]
; %bb.719:                              ;   in Loop: Header=BB10_710 Depth=4
	v_bfe_u32 v6, v5, 16, 1
	v_add3_u32 v62, v5, v6, s65
                                        ; implicit-def: $vgpr5
; %bb.720:                              ;   in Loop: Header=BB10_710 Depth=4
	s_andn2_saveexec_b64 s[88:89], s[88:89]
; %bb.721:                              ;   in Loop: Header=BB10_710 Depth=4
	v_or_b32_e32 v6, 0x10000, v5
	v_cmp_eq_u32_sdwa vcc, v5, v2 src0_sel:WORD_0 src1_sel:DWORD
	v_cndmask_b32_e32 v62, v6, v5, vcc
; %bb.722:                              ;   in Loop: Header=BB10_710 Depth=4
	s_or_b64 exec, exec, s[88:89]
	v_and_b32_e32 v5, 0xffff0000, v9
	v_mul_f32_e32 v5, v0, v5
	v_and_b32_e32 v6, 0x7f800000, v5
	v_cmp_ne_u32_e32 vcc, s64, v6
                                        ; implicit-def: $vgpr41
	s_and_saveexec_b64 s[88:89], vcc
	s_xor_b64 s[88:89], exec, s[88:89]
; %bb.723:                              ;   in Loop: Header=BB10_710 Depth=4
	v_bfe_u32 v6, v5, 16, 1
	v_add3_u32 v41, v5, v6, s65
                                        ; implicit-def: $vgpr5
; %bb.724:                              ;   in Loop: Header=BB10_710 Depth=4
	s_andn2_saveexec_b64 s[88:89], s[88:89]
; %bb.725:                              ;   in Loop: Header=BB10_710 Depth=4
	v_or_b32_e32 v6, 0x10000, v5
	v_cmp_eq_u32_sdwa vcc, v5, v2 src0_sel:WORD_0 src1_sel:DWORD
	v_cndmask_b32_e32 v41, v6, v5, vcc
; %bb.726:                              ;   in Loop: Header=BB10_710 Depth=4
	s_or_b64 exec, exec, s[88:89]
	v_lshlrev_b32_e32 v5, 16, v10
	v_mul_f32_e32 v5, v0, v5
	v_and_b32_e32 v6, 0x7f800000, v5
	v_cmp_ne_u32_e32 vcc, s64, v6
                                        ; implicit-def: $vgpr38
	s_and_saveexec_b64 s[88:89], vcc
	s_xor_b64 s[88:89], exec, s[88:89]
; %bb.727:                              ;   in Loop: Header=BB10_710 Depth=4
	v_bfe_u32 v6, v5, 16, 1
	v_add3_u32 v38, v5, v6, s65
                                        ; implicit-def: $vgpr5
; %bb.728:                              ;   in Loop: Header=BB10_710 Depth=4
	s_andn2_saveexec_b64 s[88:89], s[88:89]
; %bb.729:                              ;   in Loop: Header=BB10_710 Depth=4
	v_or_b32_e32 v6, 0x10000, v5
	v_cmp_eq_u32_sdwa vcc, v5, v2 src0_sel:WORD_0 src1_sel:DWORD
	v_cndmask_b32_e32 v38, v6, v5, vcc
; %bb.730:                              ;   in Loop: Header=BB10_710 Depth=4
	s_or_b64 exec, exec, s[88:89]
	v_and_b32_e32 v5, 0xffff0000, v10
	v_mul_f32_e32 v5, v0, v5
	v_and_b32_e32 v6, 0x7f800000, v5
	v_cmp_ne_u32_e32 vcc, s64, v6
                                        ; implicit-def: $vgpr59
	s_and_saveexec_b64 s[88:89], vcc
	s_xor_b64 s[88:89], exec, s[88:89]
; %bb.731:                              ;   in Loop: Header=BB10_710 Depth=4
	v_bfe_u32 v6, v5, 16, 1
	v_add3_u32 v59, v5, v6, s65
                                        ; implicit-def: $vgpr5
; %bb.732:                              ;   in Loop: Header=BB10_710 Depth=4
	s_andn2_saveexec_b64 s[88:89], s[88:89]
; %bb.733:                              ;   in Loop: Header=BB10_710 Depth=4
	v_or_b32_e32 v6, 0x10000, v5
	v_cmp_eq_u32_sdwa vcc, v5, v2 src0_sel:WORD_0 src1_sel:DWORD
	v_cndmask_b32_e32 v59, v6, v5, vcc
; %bb.734:                              ;   in Loop: Header=BB10_710 Depth=4
	s_or_b64 exec, exec, s[88:89]
	v_lshlrev_b32_e32 v5, 16, v11
	v_mul_f32_e32 v5, v0, v5
	v_and_b32_e32 v6, 0x7f800000, v5
	v_cmp_ne_u32_e32 vcc, s64, v6
                                        ; implicit-def: $vgpr40
	s_and_saveexec_b64 s[88:89], vcc
	s_xor_b64 s[88:89], exec, s[88:89]
; %bb.735:                              ;   in Loop: Header=BB10_710 Depth=4
	v_bfe_u32 v6, v5, 16, 1
	v_add3_u32 v40, v5, v6, s65
                                        ; implicit-def: $vgpr5
; %bb.736:                              ;   in Loop: Header=BB10_710 Depth=4
	s_andn2_saveexec_b64 s[88:89], s[88:89]
; %bb.737:                              ;   in Loop: Header=BB10_710 Depth=4
	v_or_b32_e32 v6, 0x10000, v5
	v_cmp_eq_u32_sdwa vcc, v5, v2 src0_sel:WORD_0 src1_sel:DWORD
	v_cndmask_b32_e32 v40, v6, v5, vcc
; %bb.738:                              ;   in Loop: Header=BB10_710 Depth=4
	s_or_b64 exec, exec, s[88:89]
	v_and_b32_e32 v5, 0xffff0000, v11
	v_mul_f32_e32 v6, v0, v5
	v_and_b32_e32 v5, 0x7f800000, v6
	v_cmp_ne_u32_e32 vcc, s64, v5
                                        ; implicit-def: $vgpr5
	s_and_saveexec_b64 s[88:89], vcc
	s_xor_b64 s[88:89], exec, s[88:89]
; %bb.739:                              ;   in Loop: Header=BB10_710 Depth=4
	v_bfe_u32 v5, v6, 16, 1
	v_add3_u32 v5, v6, v5, s65
                                        ; implicit-def: $vgpr6
; %bb.740:                              ;   in Loop: Header=BB10_710 Depth=4
	s_andn2_saveexec_b64 s[88:89], s[88:89]
; %bb.741:                              ;   in Loop: Header=BB10_710 Depth=4
	v_or_b32_e32 v5, 0x10000, v6
	v_cmp_eq_u32_sdwa vcc, v6, v2 src0_sel:WORD_0 src1_sel:DWORD
	v_cndmask_b32_e32 v5, v5, v6, vcc
; %bb.742:                              ;   in Loop: Header=BB10_710 Depth=4
	s_or_b64 exec, exec, s[88:89]
	global_load_dwordx4 v[8:11], v[3:4], off offset:1024 glc slc
                                        ; implicit-def: $vgpr58
	s_waitcnt vmcnt(0)
	v_lshlrev_b32_e32 v6, 16, v8
	v_mul_f32_e32 v6, v0, v6
	v_and_b32_e32 v7, 0x7f800000, v6
	v_cmp_ne_u32_e32 vcc, s64, v7
	s_and_saveexec_b64 s[88:89], vcc
	s_xor_b64 s[88:89], exec, s[88:89]
; %bb.743:                              ;   in Loop: Header=BB10_710 Depth=4
	v_bfe_u32 v7, v6, 16, 1
	v_add3_u32 v58, v6, v7, s65
                                        ; implicit-def: $vgpr6
; %bb.744:                              ;   in Loop: Header=BB10_710 Depth=4
	s_andn2_saveexec_b64 s[88:89], s[88:89]
; %bb.745:                              ;   in Loop: Header=BB10_710 Depth=4
	v_or_b32_e32 v7, 0x10000, v6
	v_cmp_eq_u32_sdwa vcc, v6, v2 src0_sel:WORD_0 src1_sel:DWORD
	v_cndmask_b32_e32 v58, v7, v6, vcc
; %bb.746:                              ;   in Loop: Header=BB10_710 Depth=4
	s_or_b64 exec, exec, s[88:89]
	v_and_b32_e32 v6, 0xffff0000, v8
	v_mul_f32_e32 v6, v0, v6
	v_and_b32_e32 v7, 0x7f800000, v6
	v_cmp_ne_u32_e32 vcc, s64, v7
                                        ; implicit-def: $vgpr28
	s_and_saveexec_b64 s[88:89], vcc
	s_xor_b64 s[88:89], exec, s[88:89]
; %bb.747:                              ;   in Loop: Header=BB10_710 Depth=4
	v_bfe_u32 v7, v6, 16, 1
	v_add3_u32 v28, v6, v7, s65
                                        ; implicit-def: $vgpr6
; %bb.748:                              ;   in Loop: Header=BB10_710 Depth=4
	s_andn2_saveexec_b64 s[88:89], s[88:89]
; %bb.749:                              ;   in Loop: Header=BB10_710 Depth=4
	v_or_b32_e32 v7, 0x10000, v6
	v_cmp_eq_u32_sdwa vcc, v6, v2 src0_sel:WORD_0 src1_sel:DWORD
	v_cndmask_b32_e32 v28, v7, v6, vcc
; %bb.750:                              ;   in Loop: Header=BB10_710 Depth=4
	s_or_b64 exec, exec, s[88:89]
	v_lshlrev_b32_e32 v6, 16, v9
	v_mul_f32_e32 v6, v0, v6
	v_and_b32_e32 v7, 0x7f800000, v6
	v_cmp_ne_u32_e32 vcc, s64, v7
                                        ; implicit-def: $vgpr47
	s_and_saveexec_b64 s[88:89], vcc
	s_xor_b64 s[88:89], exec, s[88:89]
; %bb.751:                              ;   in Loop: Header=BB10_710 Depth=4
	v_bfe_u32 v7, v6, 16, 1
	v_add3_u32 v47, v6, v7, s65
                                        ; implicit-def: $vgpr6
; %bb.752:                              ;   in Loop: Header=BB10_710 Depth=4
	s_andn2_saveexec_b64 s[88:89], s[88:89]
; %bb.753:                              ;   in Loop: Header=BB10_710 Depth=4
	v_or_b32_e32 v7, 0x10000, v6
	v_cmp_eq_u32_sdwa vcc, v6, v2 src0_sel:WORD_0 src1_sel:DWORD
	v_cndmask_b32_e32 v47, v7, v6, vcc
; %bb.754:                              ;   in Loop: Header=BB10_710 Depth=4
	s_or_b64 exec, exec, s[88:89]
	v_and_b32_e32 v6, 0xffff0000, v9
	v_mul_f32_e32 v6, v0, v6
	v_and_b32_e32 v7, 0x7f800000, v6
	v_cmp_ne_u32_e32 vcc, s64, v7
                                        ; implicit-def: $vgpr50
	s_and_saveexec_b64 s[88:89], vcc
	s_xor_b64 s[88:89], exec, s[88:89]
; %bb.755:                              ;   in Loop: Header=BB10_710 Depth=4
	v_bfe_u32 v7, v6, 16, 1
	v_add3_u32 v50, v6, v7, s65
                                        ; implicit-def: $vgpr6
; %bb.756:                              ;   in Loop: Header=BB10_710 Depth=4
	s_andn2_saveexec_b64 s[88:89], s[88:89]
; %bb.757:                              ;   in Loop: Header=BB10_710 Depth=4
	v_or_b32_e32 v7, 0x10000, v6
	v_cmp_eq_u32_sdwa vcc, v6, v2 src0_sel:WORD_0 src1_sel:DWORD
	v_cndmask_b32_e32 v50, v7, v6, vcc
; %bb.758:                              ;   in Loop: Header=BB10_710 Depth=4
	s_or_b64 exec, exec, s[88:89]
	v_lshlrev_b32_e32 v6, 16, v10
	v_mul_f32_e32 v6, v0, v6
	v_and_b32_e32 v7, 0x7f800000, v6
	v_cmp_ne_u32_e32 vcc, s64, v7
                                        ; implicit-def: $vgpr27
	s_and_saveexec_b64 s[88:89], vcc
	s_xor_b64 s[88:89], exec, s[88:89]
; %bb.759:                              ;   in Loop: Header=BB10_710 Depth=4
	v_bfe_u32 v7, v6, 16, 1
	v_add3_u32 v27, v6, v7, s65
                                        ; implicit-def: $vgpr6
; %bb.760:                              ;   in Loop: Header=BB10_710 Depth=4
	s_andn2_saveexec_b64 s[88:89], s[88:89]
; %bb.761:                              ;   in Loop: Header=BB10_710 Depth=4
	v_or_b32_e32 v7, 0x10000, v6
	v_cmp_eq_u32_sdwa vcc, v6, v2 src0_sel:WORD_0 src1_sel:DWORD
	v_cndmask_b32_e32 v27, v7, v6, vcc
; %bb.762:                              ;   in Loop: Header=BB10_710 Depth=4
	s_or_b64 exec, exec, s[88:89]
	v_and_b32_e32 v6, 0xffff0000, v10
	v_mul_f32_e32 v6, v0, v6
	v_and_b32_e32 v7, 0x7f800000, v6
	v_cmp_ne_u32_e32 vcc, s64, v7
                                        ; implicit-def: $vgpr42
	s_and_saveexec_b64 s[88:89], vcc
	s_xor_b64 s[88:89], exec, s[88:89]
; %bb.763:                              ;   in Loop: Header=BB10_710 Depth=4
	v_bfe_u32 v7, v6, 16, 1
	v_add3_u32 v42, v6, v7, s65
                                        ; implicit-def: $vgpr6
; %bb.764:                              ;   in Loop: Header=BB10_710 Depth=4
	s_andn2_saveexec_b64 s[88:89], s[88:89]
; %bb.765:                              ;   in Loop: Header=BB10_710 Depth=4
	v_or_b32_e32 v7, 0x10000, v6
	v_cmp_eq_u32_sdwa vcc, v6, v2 src0_sel:WORD_0 src1_sel:DWORD
	v_cndmask_b32_e32 v42, v7, v6, vcc
; %bb.766:                              ;   in Loop: Header=BB10_710 Depth=4
	s_or_b64 exec, exec, s[88:89]
	v_lshlrev_b32_e32 v6, 16, v11
	v_mul_f32_e32 v6, v0, v6
	v_and_b32_e32 v7, 0x7f800000, v6
	v_cmp_ne_u32_e32 vcc, s64, v7
                                        ; implicit-def: $vgpr51
	s_and_saveexec_b64 s[88:89], vcc
	s_xor_b64 s[88:89], exec, s[88:89]
; %bb.767:                              ;   in Loop: Header=BB10_710 Depth=4
	v_bfe_u32 v7, v6, 16, 1
	v_add3_u32 v51, v6, v7, s65
                                        ; implicit-def: $vgpr6
; %bb.768:                              ;   in Loop: Header=BB10_710 Depth=4
	s_andn2_saveexec_b64 s[88:89], s[88:89]
; %bb.769:                              ;   in Loop: Header=BB10_710 Depth=4
	v_or_b32_e32 v7, 0x10000, v6
	v_cmp_eq_u32_sdwa vcc, v6, v2 src0_sel:WORD_0 src1_sel:DWORD
	v_cndmask_b32_e32 v51, v7, v6, vcc
; %bb.770:                              ;   in Loop: Header=BB10_710 Depth=4
	s_or_b64 exec, exec, s[88:89]
	v_and_b32_e32 v6, 0xffff0000, v11
	v_mul_f32_e32 v6, v0, v6
	v_and_b32_e32 v7, 0x7f800000, v6
	v_cmp_ne_u32_e32 vcc, s64, v7
                                        ; implicit-def: $vgpr44
	s_and_saveexec_b64 s[88:89], vcc
	s_xor_b64 s[88:89], exec, s[88:89]
; %bb.771:                              ;   in Loop: Header=BB10_710 Depth=4
	v_bfe_u32 v7, v6, 16, 1
	v_add3_u32 v44, v6, v7, s65
                                        ; implicit-def: $vgpr6
; %bb.772:                              ;   in Loop: Header=BB10_710 Depth=4
	s_andn2_saveexec_b64 s[88:89], s[88:89]
; %bb.773:                              ;   in Loop: Header=BB10_710 Depth=4
	v_or_b32_e32 v7, 0x10000, v6
	v_cmp_eq_u32_sdwa vcc, v6, v2 src0_sel:WORD_0 src1_sel:DWORD
	v_cndmask_b32_e32 v44, v7, v6, vcc
; %bb.774:                              ;   in Loop: Header=BB10_710 Depth=4
	s_or_b64 exec, exec, s[88:89]
	global_load_dwordx4 v[8:11], v[3:4], off offset:2048 glc slc
                                        ; implicit-def: $vgpr31
	s_waitcnt vmcnt(0)
	v_lshlrev_b32_e32 v6, 16, v8
	v_mul_f32_e32 v6, v0, v6
	v_and_b32_e32 v7, 0x7f800000, v6
	v_cmp_ne_u32_e32 vcc, s64, v7
	s_and_saveexec_b64 s[88:89], vcc
	s_xor_b64 s[88:89], exec, s[88:89]
; %bb.775:                              ;   in Loop: Header=BB10_710 Depth=4
	v_bfe_u32 v7, v6, 16, 1
	v_add3_u32 v31, v6, v7, s65
                                        ; implicit-def: $vgpr6
; %bb.776:                              ;   in Loop: Header=BB10_710 Depth=4
	s_andn2_saveexec_b64 s[88:89], s[88:89]
; %bb.777:                              ;   in Loop: Header=BB10_710 Depth=4
	v_or_b32_e32 v7, 0x10000, v6
	v_cmp_eq_u32_sdwa vcc, v6, v2 src0_sel:WORD_0 src1_sel:DWORD
	v_cndmask_b32_e32 v31, v7, v6, vcc
; %bb.778:                              ;   in Loop: Header=BB10_710 Depth=4
	s_or_b64 exec, exec, s[88:89]
	v_and_b32_e32 v6, 0xffff0000, v8
	v_mul_f32_e32 v6, v0, v6
	v_and_b32_e32 v7, 0x7f800000, v6
	v_cmp_ne_u32_e32 vcc, s64, v7
                                        ; implicit-def: $vgpr57
	s_and_saveexec_b64 s[88:89], vcc
	s_xor_b64 s[88:89], exec, s[88:89]
; %bb.779:                              ;   in Loop: Header=BB10_710 Depth=4
	v_bfe_u32 v7, v6, 16, 1
	v_add3_u32 v57, v6, v7, s65
                                        ; implicit-def: $vgpr6
; %bb.780:                              ;   in Loop: Header=BB10_710 Depth=4
	s_andn2_saveexec_b64 s[88:89], s[88:89]
; %bb.781:                              ;   in Loop: Header=BB10_710 Depth=4
	v_or_b32_e32 v7, 0x10000, v6
	v_cmp_eq_u32_sdwa vcc, v6, v2 src0_sel:WORD_0 src1_sel:DWORD
	v_cndmask_b32_e32 v57, v7, v6, vcc
; %bb.782:                              ;   in Loop: Header=BB10_710 Depth=4
	s_or_b64 exec, exec, s[88:89]
	v_lshlrev_b32_e32 v6, 16, v9
	v_mul_f32_e32 v6, v0, v6
	v_and_b32_e32 v7, 0x7f800000, v6
	v_cmp_ne_u32_e32 vcc, s64, v7
                                        ; implicit-def: $vgpr61
	s_and_saveexec_b64 s[88:89], vcc
	s_xor_b64 s[88:89], exec, s[88:89]
; %bb.783:                              ;   in Loop: Header=BB10_710 Depth=4
	v_bfe_u32 v7, v6, 16, 1
	v_add3_u32 v61, v6, v7, s65
                                        ; implicit-def: $vgpr6
; %bb.784:                              ;   in Loop: Header=BB10_710 Depth=4
	s_andn2_saveexec_b64 s[88:89], s[88:89]
; %bb.785:                              ;   in Loop: Header=BB10_710 Depth=4
	v_or_b32_e32 v7, 0x10000, v6
	v_cmp_eq_u32_sdwa vcc, v6, v2 src0_sel:WORD_0 src1_sel:DWORD
	v_cndmask_b32_e32 v61, v7, v6, vcc
; %bb.786:                              ;   in Loop: Header=BB10_710 Depth=4
	s_or_b64 exec, exec, s[88:89]
	v_and_b32_e32 v6, 0xffff0000, v9
	v_mul_f32_e32 v6, v0, v6
	v_and_b32_e32 v7, 0x7f800000, v6
	v_cmp_ne_u32_e32 vcc, s64, v7
                                        ; implicit-def: $vgpr35
	s_and_saveexec_b64 s[88:89], vcc
	s_xor_b64 s[88:89], exec, s[88:89]
; %bb.787:                              ;   in Loop: Header=BB10_710 Depth=4
	v_bfe_u32 v7, v6, 16, 1
	v_add3_u32 v35, v6, v7, s65
                                        ; implicit-def: $vgpr6
; %bb.788:                              ;   in Loop: Header=BB10_710 Depth=4
	s_andn2_saveexec_b64 s[88:89], s[88:89]
; %bb.789:                              ;   in Loop: Header=BB10_710 Depth=4
	v_or_b32_e32 v7, 0x10000, v6
	v_cmp_eq_u32_sdwa vcc, v6, v2 src0_sel:WORD_0 src1_sel:DWORD
	v_cndmask_b32_e32 v35, v7, v6, vcc
; %bb.790:                              ;   in Loop: Header=BB10_710 Depth=4
	s_or_b64 exec, exec, s[88:89]
	v_lshlrev_b32_e32 v6, 16, v10
	v_mul_f32_e32 v6, v0, v6
	v_and_b32_e32 v7, 0x7f800000, v6
	v_cmp_ne_u32_e32 vcc, s64, v7
                                        ; implicit-def: $vgpr56
	s_and_saveexec_b64 s[88:89], vcc
	s_xor_b64 s[88:89], exec, s[88:89]
; %bb.791:                              ;   in Loop: Header=BB10_710 Depth=4
	v_bfe_u32 v7, v6, 16, 1
	v_add3_u32 v56, v6, v7, s65
                                        ; implicit-def: $vgpr6
; %bb.792:                              ;   in Loop: Header=BB10_710 Depth=4
	s_andn2_saveexec_b64 s[88:89], s[88:89]
; %bb.793:                              ;   in Loop: Header=BB10_710 Depth=4
	v_or_b32_e32 v7, 0x10000, v6
	v_cmp_eq_u32_sdwa vcc, v6, v2 src0_sel:WORD_0 src1_sel:DWORD
	v_cndmask_b32_e32 v56, v7, v6, vcc
; %bb.794:                              ;   in Loop: Header=BB10_710 Depth=4
	s_or_b64 exec, exec, s[88:89]
	v_and_b32_e32 v6, 0xffff0000, v10
	v_mul_f32_e32 v6, v0, v6
	v_and_b32_e32 v7, 0x7f800000, v6
	v_cmp_ne_u32_e32 vcc, s64, v7
                                        ; implicit-def: $vgpr45
	s_and_saveexec_b64 s[88:89], vcc
	s_xor_b64 s[88:89], exec, s[88:89]
; %bb.795:                              ;   in Loop: Header=BB10_710 Depth=4
	v_bfe_u32 v7, v6, 16, 1
	v_add3_u32 v45, v6, v7, s65
                                        ; implicit-def: $vgpr6
; %bb.796:                              ;   in Loop: Header=BB10_710 Depth=4
	s_andn2_saveexec_b64 s[88:89], s[88:89]
; %bb.797:                              ;   in Loop: Header=BB10_710 Depth=4
	v_or_b32_e32 v7, 0x10000, v6
	v_cmp_eq_u32_sdwa vcc, v6, v2 src0_sel:WORD_0 src1_sel:DWORD
	v_cndmask_b32_e32 v45, v7, v6, vcc
; %bb.798:                              ;   in Loop: Header=BB10_710 Depth=4
	s_or_b64 exec, exec, s[88:89]
	v_lshlrev_b32_e32 v6, 16, v11
	v_mul_f32_e32 v6, v0, v6
	v_and_b32_e32 v7, 0x7f800000, v6
	v_cmp_ne_u32_e32 vcc, s64, v7
                                        ; implicit-def: $vgpr34
	s_and_saveexec_b64 s[88:89], vcc
	s_xor_b64 s[88:89], exec, s[88:89]
; %bb.799:                              ;   in Loop: Header=BB10_710 Depth=4
	v_bfe_u32 v7, v6, 16, 1
	v_add3_u32 v34, v6, v7, s65
                                        ; implicit-def: $vgpr6
; %bb.800:                              ;   in Loop: Header=BB10_710 Depth=4
	s_andn2_saveexec_b64 s[88:89], s[88:89]
; %bb.801:                              ;   in Loop: Header=BB10_710 Depth=4
	v_or_b32_e32 v7, 0x10000, v6
	v_cmp_eq_u32_sdwa vcc, v6, v2 src0_sel:WORD_0 src1_sel:DWORD
	v_cndmask_b32_e32 v34, v7, v6, vcc
; %bb.802:                              ;   in Loop: Header=BB10_710 Depth=4
	s_or_b64 exec, exec, s[88:89]
	v_and_b32_e32 v6, 0xffff0000, v11
	v_mul_f32_e32 v6, v0, v6
	v_and_b32_e32 v7, 0x7f800000, v6
	v_cmp_ne_u32_e32 vcc, s64, v7
                                        ; implicit-def: $vgpr55
	s_and_saveexec_b64 s[88:89], vcc
	s_xor_b64 s[88:89], exec, s[88:89]
; %bb.803:                              ;   in Loop: Header=BB10_710 Depth=4
	v_bfe_u32 v7, v6, 16, 1
	v_add3_u32 v55, v6, v7, s65
                                        ; implicit-def: $vgpr6
; %bb.804:                              ;   in Loop: Header=BB10_710 Depth=4
	s_andn2_saveexec_b64 s[88:89], s[88:89]
; %bb.805:                              ;   in Loop: Header=BB10_710 Depth=4
	v_or_b32_e32 v7, 0x10000, v6
	v_cmp_eq_u32_sdwa vcc, v6, v2 src0_sel:WORD_0 src1_sel:DWORD
	v_cndmask_b32_e32 v55, v7, v6, vcc
; %bb.806:                              ;   in Loop: Header=BB10_710 Depth=4
	s_or_b64 exec, exec, s[88:89]
	global_load_dwordx4 v[8:11], v[3:4], off offset:3072 glc slc
                                        ; implicit-def: $vgpr43
	s_waitcnt vmcnt(0)
	v_lshlrev_b32_e32 v6, 16, v8
	v_mul_f32_e32 v6, v0, v6
	v_and_b32_e32 v7, 0x7f800000, v6
	v_cmp_ne_u32_e32 vcc, s64, v7
	s_and_saveexec_b64 s[88:89], vcc
	s_xor_b64 s[88:89], exec, s[88:89]
; %bb.807:                              ;   in Loop: Header=BB10_710 Depth=4
	v_bfe_u32 v7, v6, 16, 1
	v_add3_u32 v43, v6, v7, s65
                                        ; implicit-def: $vgpr6
; %bb.808:                              ;   in Loop: Header=BB10_710 Depth=4
	s_andn2_saveexec_b64 s[88:89], s[88:89]
; %bb.809:                              ;   in Loop: Header=BB10_710 Depth=4
	v_or_b32_e32 v7, 0x10000, v6
	v_cmp_eq_u32_sdwa vcc, v6, v2 src0_sel:WORD_0 src1_sel:DWORD
	v_cndmask_b32_e32 v43, v7, v6, vcc
; %bb.810:                              ;   in Loop: Header=BB10_710 Depth=4
	s_or_b64 exec, exec, s[88:89]
	v_and_b32_e32 v6, 0xffff0000, v8
	v_mul_f32_e32 v6, v0, v6
	v_and_b32_e32 v7, 0x7f800000, v6
	v_cmp_ne_u32_e32 vcc, s64, v7
                                        ; implicit-def: $vgpr53
	s_and_saveexec_b64 s[88:89], vcc
	s_xor_b64 s[88:89], exec, s[88:89]
; %bb.811:                              ;   in Loop: Header=BB10_710 Depth=4
	v_bfe_u32 v7, v6, 16, 1
	v_add3_u32 v53, v6, v7, s65
                                        ; implicit-def: $vgpr6
; %bb.812:                              ;   in Loop: Header=BB10_710 Depth=4
	s_andn2_saveexec_b64 s[88:89], s[88:89]
; %bb.813:                              ;   in Loop: Header=BB10_710 Depth=4
	v_or_b32_e32 v7, 0x10000, v6
	v_cmp_eq_u32_sdwa vcc, v6, v2 src0_sel:WORD_0 src1_sel:DWORD
	v_cndmask_b32_e32 v53, v7, v6, vcc
; %bb.814:                              ;   in Loop: Header=BB10_710 Depth=4
	s_or_b64 exec, exec, s[88:89]
	v_lshlrev_b32_e32 v6, 16, v9
	v_mul_f32_e32 v6, v0, v6
	v_and_b32_e32 v7, 0x7f800000, v6
	v_cmp_ne_u32_e32 vcc, s64, v7
                                        ; implicit-def: $vgpr54
	s_and_saveexec_b64 s[88:89], vcc
	s_xor_b64 s[88:89], exec, s[88:89]
; %bb.815:                              ;   in Loop: Header=BB10_710 Depth=4
	v_bfe_u32 v7, v6, 16, 1
	v_add3_u32 v54, v6, v7, s65
                                        ; implicit-def: $vgpr6
; %bb.816:                              ;   in Loop: Header=BB10_710 Depth=4
	s_andn2_saveexec_b64 s[88:89], s[88:89]
; %bb.817:                              ;   in Loop: Header=BB10_710 Depth=4
	v_or_b32_e32 v7, 0x10000, v6
	v_cmp_eq_u32_sdwa vcc, v6, v2 src0_sel:WORD_0 src1_sel:DWORD
	v_cndmask_b32_e32 v54, v7, v6, vcc
; %bb.818:                              ;   in Loop: Header=BB10_710 Depth=4
	s_or_b64 exec, exec, s[88:89]
	v_and_b32_e32 v6, 0xffff0000, v9
	v_mul_f32_e32 v6, v0, v6
	v_and_b32_e32 v7, 0x7f800000, v6
	v_cmp_ne_u32_e32 vcc, s64, v7
                                        ; implicit-def: $vgpr37
	s_and_saveexec_b64 s[88:89], vcc
	s_xor_b64 s[88:89], exec, s[88:89]
; %bb.819:                              ;   in Loop: Header=BB10_710 Depth=4
	v_bfe_u32 v7, v6, 16, 1
	v_add3_u32 v37, v6, v7, s65
                                        ; implicit-def: $vgpr6
; %bb.820:                              ;   in Loop: Header=BB10_710 Depth=4
	s_andn2_saveexec_b64 s[88:89], s[88:89]
; %bb.821:                              ;   in Loop: Header=BB10_710 Depth=4
	v_or_b32_e32 v7, 0x10000, v6
	v_cmp_eq_u32_sdwa vcc, v6, v2 src0_sel:WORD_0 src1_sel:DWORD
	v_cndmask_b32_e32 v37, v7, v6, vcc
; %bb.822:                              ;   in Loop: Header=BB10_710 Depth=4
	s_or_b64 exec, exec, s[88:89]
	v_lshlrev_b32_e32 v6, 16, v10
	v_mul_f32_e32 v6, v0, v6
	v_and_b32_e32 v7, 0x7f800000, v6
	v_cmp_ne_u32_e32 vcc, s64, v7
                                        ; implicit-def: $vgpr52
	s_and_saveexec_b64 s[88:89], vcc
	s_xor_b64 s[88:89], exec, s[88:89]
; %bb.823:                              ;   in Loop: Header=BB10_710 Depth=4
	v_bfe_u32 v7, v6, 16, 1
	v_add3_u32 v52, v6, v7, s65
                                        ; implicit-def: $vgpr6
; %bb.824:                              ;   in Loop: Header=BB10_710 Depth=4
	s_andn2_saveexec_b64 s[88:89], s[88:89]
; %bb.825:                              ;   in Loop: Header=BB10_710 Depth=4
	v_or_b32_e32 v7, 0x10000, v6
	v_cmp_eq_u32_sdwa vcc, v6, v2 src0_sel:WORD_0 src1_sel:DWORD
	v_cndmask_b32_e32 v52, v7, v6, vcc
; %bb.826:                              ;   in Loop: Header=BB10_710 Depth=4
	s_or_b64 exec, exec, s[88:89]
	v_and_b32_e32 v6, 0xffff0000, v10
	v_mul_f32_e32 v6, v0, v6
	v_and_b32_e32 v7, 0x7f800000, v6
	v_cmp_ne_u32_e32 vcc, s64, v7
                                        ; implicit-def: $vgpr7
	s_and_saveexec_b64 s[88:89], vcc
	s_xor_b64 s[88:89], exec, s[88:89]
; %bb.827:                              ;   in Loop: Header=BB10_710 Depth=4
	v_bfe_u32 v7, v6, 16, 1
	v_add3_u32 v7, v6, v7, s65
                                        ; implicit-def: $vgpr6
; %bb.828:                              ;   in Loop: Header=BB10_710 Depth=4
	s_andn2_saveexec_b64 s[88:89], s[88:89]
; %bb.829:                              ;   in Loop: Header=BB10_710 Depth=4
	v_or_b32_e32 v7, 0x10000, v6
	v_cmp_eq_u32_sdwa vcc, v6, v2 src0_sel:WORD_0 src1_sel:DWORD
	v_cndmask_b32_e32 v7, v7, v6, vcc
; %bb.830:                              ;   in Loop: Header=BB10_710 Depth=4
	s_or_b64 exec, exec, s[88:89]
	v_lshlrev_b32_e32 v6, 16, v11
	v_mul_f32_e32 v6, v0, v6
	v_and_b32_e32 v8, 0x7f800000, v6
	v_cmp_ne_u32_e32 vcc, s64, v8
                                        ; implicit-def: $vgpr36
	s_and_saveexec_b64 s[88:89], vcc
	s_xor_b64 s[88:89], exec, s[88:89]
; %bb.831:                              ;   in Loop: Header=BB10_710 Depth=4
	v_bfe_u32 v8, v6, 16, 1
	v_add3_u32 v36, v6, v8, s65
                                        ; implicit-def: $vgpr6
; %bb.832:                              ;   in Loop: Header=BB10_710 Depth=4
	s_andn2_saveexec_b64 s[88:89], s[88:89]
; %bb.833:                              ;   in Loop: Header=BB10_710 Depth=4
	v_or_b32_e32 v8, 0x10000, v6
	v_cmp_eq_u32_sdwa vcc, v6, v2 src0_sel:WORD_0 src1_sel:DWORD
	v_cndmask_b32_e32 v36, v8, v6, vcc
; %bb.834:                              ;   in Loop: Header=BB10_710 Depth=4
	s_or_b64 exec, exec, s[88:89]
	v_and_b32_e32 v6, 0xffff0000, v11
	v_mul_f32_e32 v8, v0, v6
	v_and_b32_e32 v6, 0x7f800000, v8
	v_cmp_ne_u32_e32 vcc, s64, v6
                                        ; implicit-def: $vgpr6
	s_and_saveexec_b64 s[88:89], vcc
	s_xor_b64 s[88:89], exec, s[88:89]
; %bb.835:                              ;   in Loop: Header=BB10_710 Depth=4
	v_bfe_u32 v6, v8, 16, 1
	v_add3_u32 v6, v8, v6, s65
                                        ; implicit-def: $vgpr8
; %bb.836:                              ;   in Loop: Header=BB10_710 Depth=4
	s_andn2_saveexec_b64 s[88:89], s[88:89]
; %bb.837:                              ;   in Loop: Header=BB10_710 Depth=4
	v_or_b32_e32 v6, 0x10000, v8
	v_cmp_eq_u32_sdwa vcc, v8, v2 src0_sel:WORD_0 src1_sel:DWORD
	v_cndmask_b32_e32 v6, v6, v8, vcc
; %bb.838:                              ;   in Loop: Header=BB10_710 Depth=4
	s_or_b64 exec, exec, s[88:89]
	global_load_dwordx4 v[20:23], v[24:25], off glc slc
	global_load_dwordx4 v[16:19], v[24:25], off offset:1024 glc slc
	global_load_dwordx4 v[12:15], v[24:25], off offset:2048 glc slc
	;; [unrolled: 1-line block ×3, first 2 shown]
	v_and_b32_e32 v1, 0xffff0000, v1
	s_waitcnt vmcnt(3)
	v_lshlrev_b32_e32 v32, 16, v20
	v_add_f32_e32 v32, v1, v32
	v_and_b32_e32 v1, 0x7f800000, v32
	v_cmp_ne_u32_e32 vcc, s64, v1
                                        ; implicit-def: $vgpr1
	s_and_saveexec_b64 s[88:89], vcc
	s_xor_b64 s[88:89], exec, s[88:89]
; %bb.839:                              ;   in Loop: Header=BB10_710 Depth=4
	v_bfe_u32 v1, v32, 16, 1
	v_add3_u32 v1, v32, v1, s65
                                        ; implicit-def: $vgpr32
; %bb.840:                              ;   in Loop: Header=BB10_710 Depth=4
	s_andn2_saveexec_b64 s[88:89], s[88:89]
; %bb.841:                              ;   in Loop: Header=BB10_710 Depth=4
	v_or_b32_e32 v1, 0x10000, v32
	v_cmp_eq_u32_sdwa vcc, v32, v2 src0_sel:WORD_0 src1_sel:DWORD
	v_cndmask_b32_e32 v1, v1, v32, vcc
; %bb.842:                              ;   in Loop: Header=BB10_710 Depth=4
	s_or_b64 exec, exec, s[88:89]
	v_and_b32_e32 v20, 0xffff0000, v20
	v_and_b32_e32 v32, 0xffff0000, v39
	v_add_f32_e32 v32, v32, v20
	v_and_b32_e32 v20, 0x7f800000, v32
	v_cmp_ne_u32_e32 vcc, s64, v20
                                        ; implicit-def: $vgpr20
	s_and_saveexec_b64 s[88:89], vcc
	s_xor_b64 s[88:89], exec, s[88:89]
; %bb.843:                              ;   in Loop: Header=BB10_710 Depth=4
	v_bfe_u32 v20, v32, 16, 1
	v_add3_u32 v20, v32, v20, s65
                                        ; implicit-def: $vgpr32
; %bb.844:                              ;   in Loop: Header=BB10_710 Depth=4
	s_andn2_saveexec_b64 s[88:89], s[88:89]
; %bb.845:                              ;   in Loop: Header=BB10_710 Depth=4
	v_or_b32_e32 v20, 0x10000, v32
	v_cmp_eq_u32_sdwa vcc, v32, v2 src0_sel:WORD_0 src1_sel:DWORD
	v_cndmask_b32_e32 v20, v20, v32, vcc
; %bb.846:                              ;   in Loop: Header=BB10_710 Depth=4
	s_or_b64 exec, exec, s[88:89]
	v_and_b32_e32 v32, 0xffff0000, v62
	v_lshlrev_b32_e32 v33, 16, v21
	v_add_f32_e32 v32, v32, v33
	v_and_b32_e32 v33, 0x7f800000, v32
	v_cmp_ne_u32_e32 vcc, s64, v33
                                        ; implicit-def: $vgpr39
	s_and_saveexec_b64 s[88:89], vcc
	s_xor_b64 s[88:89], exec, s[88:89]
; %bb.847:                              ;   in Loop: Header=BB10_710 Depth=4
	v_bfe_u32 v33, v32, 16, 1
	v_add3_u32 v39, v32, v33, s65
                                        ; implicit-def: $vgpr32
; %bb.848:                              ;   in Loop: Header=BB10_710 Depth=4
	s_andn2_saveexec_b64 s[88:89], s[88:89]
; %bb.849:                              ;   in Loop: Header=BB10_710 Depth=4
	v_or_b32_e32 v33, 0x10000, v32
	v_cmp_eq_u32_sdwa vcc, v32, v2 src0_sel:WORD_0 src1_sel:DWORD
	v_cndmask_b32_e32 v39, v33, v32, vcc
; %bb.850:                              ;   in Loop: Header=BB10_710 Depth=4
	s_or_b64 exec, exec, s[88:89]
	v_and_b32_e32 v21, 0xffff0000, v21
	v_and_b32_e32 v32, 0xffff0000, v41
	v_add_f32_e32 v32, v32, v21
	v_and_b32_e32 v21, 0x7f800000, v32
	v_cmp_ne_u32_e32 vcc, s64, v21
                                        ; implicit-def: $vgpr21
	s_and_saveexec_b64 s[88:89], vcc
	s_xor_b64 s[88:89], exec, s[88:89]
; %bb.851:                              ;   in Loop: Header=BB10_710 Depth=4
	v_bfe_u32 v21, v32, 16, 1
	v_add3_u32 v21, v32, v21, s65
                                        ; implicit-def: $vgpr32
; %bb.852:                              ;   in Loop: Header=BB10_710 Depth=4
	s_andn2_saveexec_b64 s[88:89], s[88:89]
; %bb.853:                              ;   in Loop: Header=BB10_710 Depth=4
	v_or_b32_e32 v21, 0x10000, v32
	v_cmp_eq_u32_sdwa vcc, v32, v2 src0_sel:WORD_0 src1_sel:DWORD
	v_cndmask_b32_e32 v21, v21, v32, vcc
; %bb.854:                              ;   in Loop: Header=BB10_710 Depth=4
	s_or_b64 exec, exec, s[88:89]
	v_and_b32_e32 v32, 0xffff0000, v38
	v_lshlrev_b32_e32 v33, 16, v22
	v_add_f32_e32 v32, v32, v33
	v_and_b32_e32 v33, 0x7f800000, v32
	v_cmp_ne_u32_e32 vcc, s64, v33
                                        ; implicit-def: $vgpr38
	s_and_saveexec_b64 s[88:89], vcc
	s_xor_b64 s[88:89], exec, s[88:89]
; %bb.855:                              ;   in Loop: Header=BB10_710 Depth=4
	v_bfe_u32 v33, v32, 16, 1
	v_add3_u32 v38, v32, v33, s65
                                        ; implicit-def: $vgpr32
; %bb.856:                              ;   in Loop: Header=BB10_710 Depth=4
	s_andn2_saveexec_b64 s[88:89], s[88:89]
; %bb.857:                              ;   in Loop: Header=BB10_710 Depth=4
	v_or_b32_e32 v33, 0x10000, v32
	v_cmp_eq_u32_sdwa vcc, v32, v2 src0_sel:WORD_0 src1_sel:DWORD
	v_cndmask_b32_e32 v38, v33, v32, vcc
; %bb.858:                              ;   in Loop: Header=BB10_710 Depth=4
	s_or_b64 exec, exec, s[88:89]
	v_and_b32_e32 v22, 0xffff0000, v22
	v_and_b32_e32 v32, 0xffff0000, v59
	v_add_f32_e32 v32, v32, v22
	v_and_b32_e32 v22, 0x7f800000, v32
	v_cmp_ne_u32_e32 vcc, s64, v22
                                        ; implicit-def: $vgpr22
	s_and_saveexec_b64 s[88:89], vcc
	s_xor_b64 s[88:89], exec, s[88:89]
; %bb.859:                              ;   in Loop: Header=BB10_710 Depth=4
	v_bfe_u32 v22, v32, 16, 1
	v_add3_u32 v22, v32, v22, s65
                                        ; implicit-def: $vgpr32
; %bb.860:                              ;   in Loop: Header=BB10_710 Depth=4
	s_andn2_saveexec_b64 s[88:89], s[88:89]
; %bb.861:                              ;   in Loop: Header=BB10_710 Depth=4
	v_or_b32_e32 v22, 0x10000, v32
	v_cmp_eq_u32_sdwa vcc, v32, v2 src0_sel:WORD_0 src1_sel:DWORD
	v_cndmask_b32_e32 v22, v22, v32, vcc
; %bb.862:                              ;   in Loop: Header=BB10_710 Depth=4
	s_or_b64 exec, exec, s[88:89]
	v_and_b32_e32 v32, 0xffff0000, v40
	v_lshlrev_b32_e32 v33, 16, v23
	v_add_f32_e32 v32, v32, v33
	v_and_b32_e32 v33, 0x7f800000, v32
	v_cmp_ne_u32_e32 vcc, s64, v33
                                        ; implicit-def: $vgpr40
	s_and_saveexec_b64 s[88:89], vcc
	s_xor_b64 s[88:89], exec, s[88:89]
; %bb.863:                              ;   in Loop: Header=BB10_710 Depth=4
	v_bfe_u32 v33, v32, 16, 1
	v_add3_u32 v40, v32, v33, s65
                                        ; implicit-def: $vgpr32
; %bb.864:                              ;   in Loop: Header=BB10_710 Depth=4
	s_andn2_saveexec_b64 s[88:89], s[88:89]
; %bb.865:                              ;   in Loop: Header=BB10_710 Depth=4
	v_or_b32_e32 v33, 0x10000, v32
	v_cmp_eq_u32_sdwa vcc, v32, v2 src0_sel:WORD_0 src1_sel:DWORD
	v_cndmask_b32_e32 v40, v33, v32, vcc
; %bb.866:                              ;   in Loop: Header=BB10_710 Depth=4
	s_or_b64 exec, exec, s[88:89]
	v_and_b32_e32 v23, 0xffff0000, v23
	v_and_b32_e32 v5, 0xffff0000, v5
	v_add_f32_e32 v23, v5, v23
	v_and_b32_e32 v5, 0x7f800000, v23
	v_cmp_ne_u32_e32 vcc, s64, v5
                                        ; implicit-def: $vgpr5
	s_and_saveexec_b64 s[88:89], vcc
	s_xor_b64 s[88:89], exec, s[88:89]
; %bb.867:                              ;   in Loop: Header=BB10_710 Depth=4
	v_bfe_u32 v5, v23, 16, 1
	v_add3_u32 v5, v23, v5, s65
                                        ; implicit-def: $vgpr23
; %bb.868:                              ;   in Loop: Header=BB10_710 Depth=4
	s_andn2_saveexec_b64 s[88:89], s[88:89]
; %bb.869:                              ;   in Loop: Header=BB10_710 Depth=4
	v_or_b32_e32 v5, 0x10000, v23
	v_cmp_eq_u32_sdwa vcc, v23, v2 src0_sel:WORD_0 src1_sel:DWORD
	v_cndmask_b32_e32 v5, v5, v23, vcc
; %bb.870:                              ;   in Loop: Header=BB10_710 Depth=4
	s_or_b64 exec, exec, s[88:89]
	v_and_b32_e32 v23, 0xffff0000, v58
	s_waitcnt vmcnt(2)
	v_lshlrev_b32_e32 v32, 16, v16
	v_add_f32_e32 v32, v23, v32
	v_and_b32_e32 v23, 0x7f800000, v32
	v_cmp_ne_u32_e32 vcc, s64, v23
                                        ; implicit-def: $vgpr23
	s_and_saveexec_b64 s[88:89], vcc
	s_xor_b64 s[88:89], exec, s[88:89]
; %bb.871:                              ;   in Loop: Header=BB10_710 Depth=4
	v_bfe_u32 v23, v32, 16, 1
	v_add3_u32 v23, v32, v23, s65
                                        ; implicit-def: $vgpr32
; %bb.872:                              ;   in Loop: Header=BB10_710 Depth=4
	s_andn2_saveexec_b64 s[88:89], s[88:89]
; %bb.873:                              ;   in Loop: Header=BB10_710 Depth=4
	v_or_b32_e32 v23, 0x10000, v32
	v_cmp_eq_u32_sdwa vcc, v32, v2 src0_sel:WORD_0 src1_sel:DWORD
	v_cndmask_b32_e32 v23, v23, v32, vcc
; %bb.874:                              ;   in Loop: Header=BB10_710 Depth=4
	s_or_b64 exec, exec, s[88:89]
	v_and_b32_e32 v16, 0xffff0000, v16
	v_and_b32_e32 v28, 0xffff0000, v28
	v_add_f32_e32 v28, v28, v16
	v_and_b32_e32 v16, 0x7f800000, v28
	v_cmp_ne_u32_e32 vcc, s64, v16
                                        ; implicit-def: $vgpr16
	s_and_saveexec_b64 s[88:89], vcc
	s_xor_b64 s[88:89], exec, s[88:89]
; %bb.875:                              ;   in Loop: Header=BB10_710 Depth=4
	v_bfe_u32 v16, v28, 16, 1
	v_add3_u32 v16, v28, v16, s65
                                        ; implicit-def: $vgpr28
; %bb.876:                              ;   in Loop: Header=BB10_710 Depth=4
	s_andn2_saveexec_b64 s[88:89], s[88:89]
; %bb.877:                              ;   in Loop: Header=BB10_710 Depth=4
	v_or_b32_e32 v16, 0x10000, v28
	v_cmp_eq_u32_sdwa vcc, v28, v2 src0_sel:WORD_0 src1_sel:DWORD
	v_cndmask_b32_e32 v16, v16, v28, vcc
; %bb.878:                              ;   in Loop: Header=BB10_710 Depth=4
	s_or_b64 exec, exec, s[88:89]
	v_and_b32_e32 v28, 0xffff0000, v47
	v_lshlrev_b32_e32 v32, 16, v17
	v_add_f32_e32 v32, v28, v32
	v_and_b32_e32 v28, 0x7f800000, v32
	v_cmp_ne_u32_e32 vcc, s64, v28
                                        ; implicit-def: $vgpr28
	s_and_saveexec_b64 s[88:89], vcc
	s_xor_b64 s[88:89], exec, s[88:89]
; %bb.879:                              ;   in Loop: Header=BB10_710 Depth=4
	v_bfe_u32 v28, v32, 16, 1
	v_add3_u32 v28, v32, v28, s65
                                        ; implicit-def: $vgpr32
; %bb.880:                              ;   in Loop: Header=BB10_710 Depth=4
	s_andn2_saveexec_b64 s[88:89], s[88:89]
; %bb.881:                              ;   in Loop: Header=BB10_710 Depth=4
	v_or_b32_e32 v28, 0x10000, v32
	v_cmp_eq_u32_sdwa vcc, v32, v2 src0_sel:WORD_0 src1_sel:DWORD
	v_cndmask_b32_e32 v28, v28, v32, vcc
; %bb.882:                              ;   in Loop: Header=BB10_710 Depth=4
	s_or_b64 exec, exec, s[88:89]
	v_and_b32_e32 v17, 0xffff0000, v17
	v_and_b32_e32 v32, 0xffff0000, v50
	v_add_f32_e32 v32, v32, v17
	v_and_b32_e32 v17, 0x7f800000, v32
	v_cmp_ne_u32_e32 vcc, s64, v17
                                        ; implicit-def: $vgpr17
	s_and_saveexec_b64 s[88:89], vcc
	s_xor_b64 s[88:89], exec, s[88:89]
; %bb.883:                              ;   in Loop: Header=BB10_710 Depth=4
	v_bfe_u32 v17, v32, 16, 1
	v_add3_u32 v17, v32, v17, s65
                                        ; implicit-def: $vgpr32
; %bb.884:                              ;   in Loop: Header=BB10_710 Depth=4
	s_andn2_saveexec_b64 s[88:89], s[88:89]
; %bb.885:                              ;   in Loop: Header=BB10_710 Depth=4
	v_or_b32_e32 v17, 0x10000, v32
	v_cmp_eq_u32_sdwa vcc, v32, v2 src0_sel:WORD_0 src1_sel:DWORD
	v_cndmask_b32_e32 v17, v17, v32, vcc
; %bb.886:                              ;   in Loop: Header=BB10_710 Depth=4
	s_or_b64 exec, exec, s[88:89]
	v_and_b32_e32 v27, 0xffff0000, v27
	v_lshlrev_b32_e32 v32, 16, v18
	v_add_f32_e32 v32, v27, v32
	v_and_b32_e32 v27, 0x7f800000, v32
	v_cmp_ne_u32_e32 vcc, s64, v27
                                        ; implicit-def: $vgpr27
	s_and_saveexec_b64 s[88:89], vcc
	s_xor_b64 s[88:89], exec, s[88:89]
; %bb.887:                              ;   in Loop: Header=BB10_710 Depth=4
	v_bfe_u32 v27, v32, 16, 1
	v_add3_u32 v27, v32, v27, s65
                                        ; implicit-def: $vgpr32
; %bb.888:                              ;   in Loop: Header=BB10_710 Depth=4
	s_andn2_saveexec_b64 s[88:89], s[88:89]
; %bb.889:                              ;   in Loop: Header=BB10_710 Depth=4
	v_or_b32_e32 v27, 0x10000, v32
	v_cmp_eq_u32_sdwa vcc, v32, v2 src0_sel:WORD_0 src1_sel:DWORD
	v_cndmask_b32_e32 v27, v27, v32, vcc
; %bb.890:                              ;   in Loop: Header=BB10_710 Depth=4
	s_or_b64 exec, exec, s[88:89]
	v_and_b32_e32 v18, 0xffff0000, v18
	v_and_b32_e32 v32, 0xffff0000, v42
	v_add_f32_e32 v32, v32, v18
	v_and_b32_e32 v18, 0x7f800000, v32
	v_cmp_ne_u32_e32 vcc, s64, v18
                                        ; implicit-def: $vgpr18
	s_and_saveexec_b64 s[88:89], vcc
	s_xor_b64 s[88:89], exec, s[88:89]
; %bb.891:                              ;   in Loop: Header=BB10_710 Depth=4
	v_bfe_u32 v18, v32, 16, 1
	v_add3_u32 v18, v32, v18, s65
                                        ; implicit-def: $vgpr32
; %bb.892:                              ;   in Loop: Header=BB10_710 Depth=4
	s_andn2_saveexec_b64 s[88:89], s[88:89]
; %bb.893:                              ;   in Loop: Header=BB10_710 Depth=4
	v_or_b32_e32 v18, 0x10000, v32
	v_cmp_eq_u32_sdwa vcc, v32, v2 src0_sel:WORD_0 src1_sel:DWORD
	v_cndmask_b32_e32 v18, v18, v32, vcc
; %bb.894:                              ;   in Loop: Header=BB10_710 Depth=4
	s_or_b64 exec, exec, s[88:89]
	v_and_b32_e32 v32, 0xffff0000, v51
	v_lshlrev_b32_e32 v33, 16, v19
	v_add_f32_e32 v32, v32, v33
	v_and_b32_e32 v33, 0x7f800000, v32
	v_cmp_ne_u32_e32 vcc, s64, v33
                                        ; implicit-def: $vgpr50
	s_and_saveexec_b64 s[88:89], vcc
	s_xor_b64 s[88:89], exec, s[88:89]
; %bb.895:                              ;   in Loop: Header=BB10_710 Depth=4
	v_bfe_u32 v33, v32, 16, 1
	v_add3_u32 v50, v32, v33, s65
                                        ; implicit-def: $vgpr32
; %bb.896:                              ;   in Loop: Header=BB10_710 Depth=4
	s_andn2_saveexec_b64 s[88:89], s[88:89]
; %bb.897:                              ;   in Loop: Header=BB10_710 Depth=4
	v_or_b32_e32 v33, 0x10000, v32
	v_cmp_eq_u32_sdwa vcc, v32, v2 src0_sel:WORD_0 src1_sel:DWORD
	v_cndmask_b32_e32 v50, v33, v32, vcc
; %bb.898:                              ;   in Loop: Header=BB10_710 Depth=4
	s_or_b64 exec, exec, s[88:89]
	v_and_b32_e32 v19, 0xffff0000, v19
	v_and_b32_e32 v32, 0xffff0000, v44
	v_add_f32_e32 v32, v32, v19
	v_and_b32_e32 v19, 0x7f800000, v32
	v_cmp_ne_u32_e32 vcc, s64, v19
                                        ; implicit-def: $vgpr19
	s_and_saveexec_b64 s[88:89], vcc
	s_xor_b64 s[88:89], exec, s[88:89]
; %bb.899:                              ;   in Loop: Header=BB10_710 Depth=4
	v_bfe_u32 v19, v32, 16, 1
	v_add3_u32 v19, v32, v19, s65
                                        ; implicit-def: $vgpr32
; %bb.900:                              ;   in Loop: Header=BB10_710 Depth=4
	s_andn2_saveexec_b64 s[88:89], s[88:89]
; %bb.901:                              ;   in Loop: Header=BB10_710 Depth=4
	v_or_b32_e32 v19, 0x10000, v32
	v_cmp_eq_u32_sdwa vcc, v32, v2 src0_sel:WORD_0 src1_sel:DWORD
	v_cndmask_b32_e32 v19, v19, v32, vcc
; %bb.902:                              ;   in Loop: Header=BB10_710 Depth=4
	s_or_b64 exec, exec, s[88:89]
	v_and_b32_e32 v31, 0xffff0000, v31
	s_waitcnt vmcnt(1)
	v_lshlrev_b32_e32 v32, 16, v12
	v_add_f32_e32 v32, v31, v32
	v_and_b32_e32 v31, 0x7f800000, v32
	v_cmp_ne_u32_e32 vcc, s64, v31
                                        ; implicit-def: $vgpr31
	s_and_saveexec_b64 s[88:89], vcc
	s_xor_b64 s[88:89], exec, s[88:89]
; %bb.903:                              ;   in Loop: Header=BB10_710 Depth=4
	v_bfe_u32 v31, v32, 16, 1
	v_add3_u32 v31, v32, v31, s65
                                        ; implicit-def: $vgpr32
; %bb.904:                              ;   in Loop: Header=BB10_710 Depth=4
	s_andn2_saveexec_b64 s[88:89], s[88:89]
; %bb.905:                              ;   in Loop: Header=BB10_710 Depth=4
	v_or_b32_e32 v31, 0x10000, v32
	v_cmp_eq_u32_sdwa vcc, v32, v2 src0_sel:WORD_0 src1_sel:DWORD
	v_cndmask_b32_e32 v31, v31, v32, vcc
; %bb.906:                              ;   in Loop: Header=BB10_710 Depth=4
	s_or_b64 exec, exec, s[88:89]
	v_and_b32_e32 v12, 0xffff0000, v12
	v_and_b32_e32 v32, 0xffff0000, v57
	v_add_f32_e32 v32, v32, v12
	v_and_b32_e32 v12, 0x7f800000, v32
	v_cmp_ne_u32_e32 vcc, s64, v12
                                        ; implicit-def: $vgpr12
	s_and_saveexec_b64 s[88:89], vcc
	s_xor_b64 s[88:89], exec, s[88:89]
; %bb.907:                              ;   in Loop: Header=BB10_710 Depth=4
	v_bfe_u32 v12, v32, 16, 1
	v_add3_u32 v12, v32, v12, s65
                                        ; implicit-def: $vgpr32
; %bb.908:                              ;   in Loop: Header=BB10_710 Depth=4
	s_andn2_saveexec_b64 s[88:89], s[88:89]
; %bb.909:                              ;   in Loop: Header=BB10_710 Depth=4
	v_or_b32_e32 v12, 0x10000, v32
	v_cmp_eq_u32_sdwa vcc, v32, v2 src0_sel:WORD_0 src1_sel:DWORD
	v_cndmask_b32_e32 v12, v12, v32, vcc
; %bb.910:                              ;   in Loop: Header=BB10_710 Depth=4
	s_or_b64 exec, exec, s[88:89]
	v_and_b32_e32 v32, 0xffff0000, v61
	v_lshlrev_b32_e32 v33, 16, v13
	v_add_f32_e32 v32, v32, v33
	v_and_b32_e32 v33, 0x7f800000, v32
	v_cmp_ne_u32_e32 vcc, s64, v33
                                        ; implicit-def: $vgpr51
	s_and_saveexec_b64 s[88:89], vcc
	s_xor_b64 s[88:89], exec, s[88:89]
; %bb.911:                              ;   in Loop: Header=BB10_710 Depth=4
	v_bfe_u32 v33, v32, 16, 1
	v_add3_u32 v51, v32, v33, s65
                                        ; implicit-def: $vgpr32
; %bb.912:                              ;   in Loop: Header=BB10_710 Depth=4
	s_andn2_saveexec_b64 s[88:89], s[88:89]
; %bb.913:                              ;   in Loop: Header=BB10_710 Depth=4
	v_or_b32_e32 v33, 0x10000, v32
	v_cmp_eq_u32_sdwa vcc, v32, v2 src0_sel:WORD_0 src1_sel:DWORD
	v_cndmask_b32_e32 v51, v33, v32, vcc
; %bb.914:                              ;   in Loop: Header=BB10_710 Depth=4
	s_or_b64 exec, exec, s[88:89]
	v_and_b32_e32 v13, 0xffff0000, v13
	v_and_b32_e32 v32, 0xffff0000, v35
	v_add_f32_e32 v32, v32, v13
	v_and_b32_e32 v13, 0x7f800000, v32
	v_cmp_ne_u32_e32 vcc, s64, v13
                                        ; implicit-def: $vgpr13
	s_and_saveexec_b64 s[88:89], vcc
	s_xor_b64 s[88:89], exec, s[88:89]
; %bb.915:                              ;   in Loop: Header=BB10_710 Depth=4
	v_bfe_u32 v13, v32, 16, 1
	v_add3_u32 v13, v32, v13, s65
                                        ; implicit-def: $vgpr32
; %bb.916:                              ;   in Loop: Header=BB10_710 Depth=4
	s_andn2_saveexec_b64 s[88:89], s[88:89]
; %bb.917:                              ;   in Loop: Header=BB10_710 Depth=4
	v_or_b32_e32 v13, 0x10000, v32
	v_cmp_eq_u32_sdwa vcc, v32, v2 src0_sel:WORD_0 src1_sel:DWORD
	v_cndmask_b32_e32 v13, v13, v32, vcc
; %bb.918:                              ;   in Loop: Header=BB10_710 Depth=4
	s_or_b64 exec, exec, s[88:89]
	v_and_b32_e32 v32, 0xffff0000, v56
	v_lshlrev_b32_e32 v33, 16, v14
	v_add_f32_e32 v32, v32, v33
	v_and_b32_e32 v33, 0x7f800000, v32
	v_cmp_ne_u32_e32 vcc, s64, v33
                                        ; implicit-def: $vgpr35
	s_and_saveexec_b64 s[88:89], vcc
	s_xor_b64 s[88:89], exec, s[88:89]
; %bb.919:                              ;   in Loop: Header=BB10_710 Depth=4
	v_bfe_u32 v33, v32, 16, 1
	v_add3_u32 v35, v32, v33, s65
                                        ; implicit-def: $vgpr32
; %bb.920:                              ;   in Loop: Header=BB10_710 Depth=4
	s_andn2_saveexec_b64 s[88:89], s[88:89]
; %bb.921:                              ;   in Loop: Header=BB10_710 Depth=4
	v_or_b32_e32 v33, 0x10000, v32
	v_cmp_eq_u32_sdwa vcc, v32, v2 src0_sel:WORD_0 src1_sel:DWORD
	v_cndmask_b32_e32 v35, v33, v32, vcc
; %bb.922:                              ;   in Loop: Header=BB10_710 Depth=4
	s_or_b64 exec, exec, s[88:89]
	v_and_b32_e32 v14, 0xffff0000, v14
	v_and_b32_e32 v32, 0xffff0000, v45
	v_add_f32_e32 v32, v32, v14
	v_and_b32_e32 v14, 0x7f800000, v32
	v_cmp_ne_u32_e32 vcc, s64, v14
                                        ; implicit-def: $vgpr14
	s_and_saveexec_b64 s[88:89], vcc
	s_xor_b64 s[88:89], exec, s[88:89]
; %bb.923:                              ;   in Loop: Header=BB10_710 Depth=4
	v_bfe_u32 v14, v32, 16, 1
	v_add3_u32 v14, v32, v14, s65
                                        ; implicit-def: $vgpr32
; %bb.924:                              ;   in Loop: Header=BB10_710 Depth=4
	s_andn2_saveexec_b64 s[88:89], s[88:89]
; %bb.925:                              ;   in Loop: Header=BB10_710 Depth=4
	v_or_b32_e32 v14, 0x10000, v32
	v_cmp_eq_u32_sdwa vcc, v32, v2 src0_sel:WORD_0 src1_sel:DWORD
	v_cndmask_b32_e32 v14, v14, v32, vcc
; %bb.926:                              ;   in Loop: Header=BB10_710 Depth=4
	s_or_b64 exec, exec, s[88:89]
	v_and_b32_e32 v32, 0xffff0000, v34
	v_lshlrev_b32_e32 v33, 16, v15
	v_add_f32_e32 v32, v32, v33
	v_and_b32_e32 v33, 0x7f800000, v32
	v_cmp_ne_u32_e32 vcc, s64, v33
                                        ; implicit-def: $vgpr34
	s_and_saveexec_b64 s[88:89], vcc
	s_xor_b64 s[88:89], exec, s[88:89]
; %bb.927:                              ;   in Loop: Header=BB10_710 Depth=4
	v_bfe_u32 v33, v32, 16, 1
	v_add3_u32 v34, v32, v33, s65
                                        ; implicit-def: $vgpr32
; %bb.928:                              ;   in Loop: Header=BB10_710 Depth=4
	s_andn2_saveexec_b64 s[88:89], s[88:89]
; %bb.929:                              ;   in Loop: Header=BB10_710 Depth=4
	v_or_b32_e32 v33, 0x10000, v32
	v_cmp_eq_u32_sdwa vcc, v32, v2 src0_sel:WORD_0 src1_sel:DWORD
	v_cndmask_b32_e32 v34, v33, v32, vcc
; %bb.930:                              ;   in Loop: Header=BB10_710 Depth=4
	s_or_b64 exec, exec, s[88:89]
	v_and_b32_e32 v15, 0xffff0000, v15
	v_and_b32_e32 v32, 0xffff0000, v55
	v_add_f32_e32 v32, v32, v15
	v_and_b32_e32 v15, 0x7f800000, v32
	v_cmp_ne_u32_e32 vcc, s64, v15
                                        ; implicit-def: $vgpr15
	s_and_saveexec_b64 s[88:89], vcc
	s_xor_b64 s[88:89], exec, s[88:89]
; %bb.931:                              ;   in Loop: Header=BB10_710 Depth=4
	v_bfe_u32 v15, v32, 16, 1
	v_add3_u32 v15, v32, v15, s65
                                        ; implicit-def: $vgpr32
; %bb.932:                              ;   in Loop: Header=BB10_710 Depth=4
	s_andn2_saveexec_b64 s[88:89], s[88:89]
; %bb.933:                              ;   in Loop: Header=BB10_710 Depth=4
	v_or_b32_e32 v15, 0x10000, v32
	v_cmp_eq_u32_sdwa vcc, v32, v2 src0_sel:WORD_0 src1_sel:DWORD
	v_cndmask_b32_e32 v15, v15, v32, vcc
; %bb.934:                              ;   in Loop: Header=BB10_710 Depth=4
	s_or_b64 exec, exec, s[88:89]
	v_and_b32_e32 v32, 0xffff0000, v43
	s_waitcnt vmcnt(0)
	v_lshlrev_b32_e32 v33, 16, v8
	v_add_f32_e32 v32, v32, v33
	v_and_b32_e32 v33, 0x7f800000, v32
	v_cmp_ne_u32_e32 vcc, s64, v33
                                        ; implicit-def: $vgpr55
	s_and_saveexec_b64 s[88:89], vcc
	s_xor_b64 s[88:89], exec, s[88:89]
; %bb.935:                              ;   in Loop: Header=BB10_710 Depth=4
	v_bfe_u32 v33, v32, 16, 1
	v_add3_u32 v55, v32, v33, s65
                                        ; implicit-def: $vgpr32
; %bb.936:                              ;   in Loop: Header=BB10_710 Depth=4
	s_andn2_saveexec_b64 s[88:89], s[88:89]
; %bb.937:                              ;   in Loop: Header=BB10_710 Depth=4
	v_or_b32_e32 v33, 0x10000, v32
	v_cmp_eq_u32_sdwa vcc, v32, v2 src0_sel:WORD_0 src1_sel:DWORD
	v_cndmask_b32_e32 v55, v33, v32, vcc
; %bb.938:                              ;   in Loop: Header=BB10_710 Depth=4
	s_or_b64 exec, exec, s[88:89]
	v_and_b32_e32 v8, 0xffff0000, v8
	v_and_b32_e32 v32, 0xffff0000, v53
	v_add_f32_e32 v32, v32, v8
	v_and_b32_e32 v8, 0x7f800000, v32
	v_cmp_ne_u32_e32 vcc, s64, v8
                                        ; implicit-def: $vgpr8
	s_and_saveexec_b64 s[88:89], vcc
	s_xor_b64 s[88:89], exec, s[88:89]
; %bb.939:                              ;   in Loop: Header=BB10_710 Depth=4
	v_bfe_u32 v8, v32, 16, 1
	v_add3_u32 v8, v32, v8, s65
                                        ; implicit-def: $vgpr32
; %bb.940:                              ;   in Loop: Header=BB10_710 Depth=4
	s_andn2_saveexec_b64 s[88:89], s[88:89]
; %bb.941:                              ;   in Loop: Header=BB10_710 Depth=4
	v_or_b32_e32 v8, 0x10000, v32
	v_cmp_eq_u32_sdwa vcc, v32, v2 src0_sel:WORD_0 src1_sel:DWORD
	v_cndmask_b32_e32 v8, v8, v32, vcc
; %bb.942:                              ;   in Loop: Header=BB10_710 Depth=4
	s_or_b64 exec, exec, s[88:89]
	v_and_b32_e32 v32, 0xffff0000, v54
	v_lshlrev_b32_e32 v33, 16, v9
	v_add_f32_e32 v32, v32, v33
	v_and_b32_e32 v33, 0x7f800000, v32
	v_cmp_ne_u32_e32 vcc, s64, v33
                                        ; implicit-def: $vgpr53
	s_and_saveexec_b64 s[88:89], vcc
	s_xor_b64 s[88:89], exec, s[88:89]
; %bb.943:                              ;   in Loop: Header=BB10_710 Depth=4
	v_bfe_u32 v33, v32, 16, 1
	v_add3_u32 v53, v32, v33, s65
                                        ; implicit-def: $vgpr32
; %bb.944:                              ;   in Loop: Header=BB10_710 Depth=4
	s_andn2_saveexec_b64 s[88:89], s[88:89]
; %bb.945:                              ;   in Loop: Header=BB10_710 Depth=4
	v_or_b32_e32 v33, 0x10000, v32
	v_cmp_eq_u32_sdwa vcc, v32, v2 src0_sel:WORD_0 src1_sel:DWORD
	v_cndmask_b32_e32 v53, v33, v32, vcc
; %bb.946:                              ;   in Loop: Header=BB10_710 Depth=4
	s_or_b64 exec, exec, s[88:89]
	v_and_b32_e32 v9, 0xffff0000, v9
	v_and_b32_e32 v32, 0xffff0000, v37
	v_add_f32_e32 v32, v32, v9
	v_and_b32_e32 v9, 0x7f800000, v32
	v_cmp_ne_u32_e32 vcc, s64, v9
                                        ; implicit-def: $vgpr9
	s_and_saveexec_b64 s[88:89], vcc
	s_xor_b64 s[88:89], exec, s[88:89]
; %bb.947:                              ;   in Loop: Header=BB10_710 Depth=4
	v_bfe_u32 v9, v32, 16, 1
	v_add3_u32 v9, v32, v9, s65
                                        ; implicit-def: $vgpr32
; %bb.948:                              ;   in Loop: Header=BB10_710 Depth=4
	s_andn2_saveexec_b64 s[88:89], s[88:89]
; %bb.949:                              ;   in Loop: Header=BB10_710 Depth=4
	v_or_b32_e32 v9, 0x10000, v32
	v_cmp_eq_u32_sdwa vcc, v32, v2 src0_sel:WORD_0 src1_sel:DWORD
	v_cndmask_b32_e32 v9, v9, v32, vcc
; %bb.950:                              ;   in Loop: Header=BB10_710 Depth=4
	s_or_b64 exec, exec, s[88:89]
	v_and_b32_e32 v32, 0xffff0000, v52
	v_lshlrev_b32_e32 v33, 16, v10
	v_add_f32_e32 v32, v32, v33
	v_and_b32_e32 v33, 0x7f800000, v32
	v_cmp_ne_u32_e32 vcc, s64, v33
                                        ; implicit-def: $vgpr37
	s_and_saveexec_b64 s[88:89], vcc
	s_xor_b64 s[88:89], exec, s[88:89]
; %bb.951:                              ;   in Loop: Header=BB10_710 Depth=4
	v_bfe_u32 v33, v32, 16, 1
	v_add3_u32 v37, v32, v33, s65
                                        ; implicit-def: $vgpr32
; %bb.952:                              ;   in Loop: Header=BB10_710 Depth=4
	s_andn2_saveexec_b64 s[88:89], s[88:89]
; %bb.953:                              ;   in Loop: Header=BB10_710 Depth=4
	v_or_b32_e32 v33, 0x10000, v32
	v_cmp_eq_u32_sdwa vcc, v32, v2 src0_sel:WORD_0 src1_sel:DWORD
	v_cndmask_b32_e32 v37, v33, v32, vcc
; %bb.954:                              ;   in Loop: Header=BB10_710 Depth=4
	s_or_b64 exec, exec, s[88:89]
	v_and_b32_e32 v10, 0xffff0000, v10
	v_and_b32_e32 v7, 0xffff0000, v7
	v_add_f32_e32 v10, v7, v10
	v_and_b32_e32 v7, 0x7f800000, v10
	v_cmp_ne_u32_e32 vcc, s64, v7
                                        ; implicit-def: $vgpr7
	s_and_saveexec_b64 s[88:89], vcc
	s_xor_b64 s[88:89], exec, s[88:89]
; %bb.955:                              ;   in Loop: Header=BB10_710 Depth=4
	v_bfe_u32 v7, v10, 16, 1
	v_add3_u32 v7, v10, v7, s65
                                        ; implicit-def: $vgpr10
; %bb.956:                              ;   in Loop: Header=BB10_710 Depth=4
	s_andn2_saveexec_b64 s[88:89], s[88:89]
; %bb.957:                              ;   in Loop: Header=BB10_710 Depth=4
	v_or_b32_e32 v7, 0x10000, v10
	v_cmp_eq_u32_sdwa vcc, v10, v2 src0_sel:WORD_0 src1_sel:DWORD
	v_cndmask_b32_e32 v7, v7, v10, vcc
; %bb.958:                              ;   in Loop: Header=BB10_710 Depth=4
	s_or_b64 exec, exec, s[88:89]
	v_and_b32_e32 v10, 0xffff0000, v36
	v_lshlrev_b32_e32 v32, 16, v11
	v_add_f32_e32 v32, v10, v32
	v_and_b32_e32 v10, 0x7f800000, v32
	v_cmp_ne_u32_e32 vcc, s64, v10
                                        ; implicit-def: $vgpr10
	s_and_saveexec_b64 s[88:89], vcc
	s_xor_b64 s[88:89], exec, s[88:89]
; %bb.959:                              ;   in Loop: Header=BB10_710 Depth=4
	v_bfe_u32 v10, v32, 16, 1
	v_add3_u32 v10, v32, v10, s65
                                        ; implicit-def: $vgpr32
; %bb.960:                              ;   in Loop: Header=BB10_710 Depth=4
	s_andn2_saveexec_b64 s[88:89], s[88:89]
; %bb.961:                              ;   in Loop: Header=BB10_710 Depth=4
	v_or_b32_e32 v10, 0x10000, v32
	v_cmp_eq_u32_sdwa vcc, v32, v2 src0_sel:WORD_0 src1_sel:DWORD
	v_cndmask_b32_e32 v10, v10, v32, vcc
; %bb.962:                              ;   in Loop: Header=BB10_710 Depth=4
	s_or_b64 exec, exec, s[88:89]
	v_and_b32_e32 v11, 0xffff0000, v11
	v_and_b32_e32 v6, 0xffff0000, v6
	v_add_f32_e32 v11, v6, v11
	v_and_b32_e32 v6, 0x7f800000, v11
	v_cmp_ne_u32_e32 vcc, s64, v6
                                        ; implicit-def: $vgpr6
	s_and_saveexec_b64 s[88:89], vcc
	s_xor_b64 s[88:89], exec, s[88:89]
; %bb.963:                              ;   in Loop: Header=BB10_710 Depth=4
	v_bfe_u32 v6, v11, 16, 1
	v_add3_u32 v6, v11, v6, s65
                                        ; implicit-def: $vgpr11
; %bb.964:                              ;   in Loop: Header=BB10_710 Depth=4
	s_andn2_saveexec_b64 s[88:89], s[88:89]
	s_cbranch_execz .LBB10_709
; %bb.965:                              ;   in Loop: Header=BB10_710 Depth=4
	v_or_b32_e32 v6, 0x10000, v11
	v_cmp_eq_u32_sdwa vcc, v11, v2 src0_sel:WORD_0 src1_sel:DWORD
	v_cndmask_b32_e32 v6, v6, v11, vcc
	s_branch .LBB10_709
.LBB10_966:                             ;   in Loop: Header=BB10_628 Depth=3
	s_or_b64 exec, exec, s[78:79]
	buffer_load_dword v1, off, s[0:3], s33 offset:240 ; 4-byte Folded Reload
.LBB10_967:                             ;   in Loop: Header=BB10_628 Depth=3
	s_or_b64 exec, exec, s[28:29]
	buffer_load_dword v0, off, s[0:3], s33 offset:184 ; 4-byte Folded Reload
	s_waitcnt vmcnt(1)
	v_lshlrev_b32_e32 v5, 12, v1
	s_mov_b64 s[88:89], 0
                                        ; implicit-def: $vgpr1
	s_waitcnt vmcnt(0)
	v_cmp_ne_u32_e32 vcc, v0, v5
	v_mov_b32_e32 v0, 0
	s_and_saveexec_b64 s[78:79], vcc
	s_cbranch_execz .LBB10_1037
; %bb.968:                              ;   in Loop: Header=BB10_628 Depth=3
	buffer_load_dword v0, off, s[0:3], s33 offset:184 ; 4-byte Folded Reload
	buffer_load_dword v1, off, s[0:3], s33 offset:328 ; 4-byte Folded Reload
	s_waitcnt vmcnt(1)
	v_sub_u32_e32 v4, v0, v5
	v_lshlrev_b32_e32 v0, 6, v60
	s_waitcnt vmcnt(0)
	v_sub_u32_e32 v0, v1, v0
	v_ashrrev_i32_e32 v1, 31, v0
	v_lshrrev_b32_e32 v1, 26, v1
	v_add_u32_e32 v1, v0, v1
	v_ashrrev_i32_e32 v7, 6, v1
	v_and_b32_e32 v1, 0xffffffc0, v1
	v_sub_u32_e32 v1, v0, v1
	v_lshlrev_b32_e32 v0, 4, v1
	v_lshl_add_u32 v3, v7, 10, v0
	v_ashrrev_i32_e32 v0, 31, v4
	v_lshrrev_b32_e32 v0, 22, v0
	v_add_u32_e32 v0, v4, v0
	v_ashrrev_i32_e32 v8, 10, v0
	v_and_b32_e32 v0, 0xfffffc00, v0
	v_sub_u32_e32 v6, v4, v0
	v_cmp_lt_i32_e32 vcc, 15, v6
	v_sub_u32_e32 v16, v4, v3
	v_addc_co_u32_e64 v4, s[28:29], 0, v8, vcc
	v_sub_u32_e32 v7, v4, v7
	v_cmp_lt_i32_e64 s[28:29], 15, v16
	s_and_saveexec_b64 s[88:89], s[28:29]
	s_cbranch_execz .LBB10_1036
; %bb.969:                              ;   in Loop: Header=BB10_628 Depth=3
	v_add_u32_e32 v10, v3, v5
	s_trap 2
	ds_read_b64 v[8:9], v0
	buffer_load_dword v3, off, s[0:3], s33 offset:208 ; 4-byte Folded Reload
	buffer_load_dword v4, off, s[0:3], s33 offset:212 ; 4-byte Folded Reload
	v_ashrrev_i32_e32 v11, 31, v10
	ds_read_b32 v17, v0
	s_mov_b64 s[90:91], 0
	s_waitcnt lgkmcnt(0)
	v_lshlrev_b32_e32 v17, 16, v17
	s_waitcnt vmcnt(1)
	v_add_co_u32_e64 v3, s[28:29], v10, v3
	s_waitcnt vmcnt(0)
	v_addc_co_u32_e64 v4, s[28:29], v11, v4, s[28:29]
	v_add_co_u32_e64 v12, s[28:29], v8, v10
	v_addc_co_u32_e64 v13, s[28:29], v9, v11, s[28:29]
	buffer_load_dword v8, off, s[0:3], s33 offset:200 ; 4-byte Folded Reload
	buffer_load_dword v9, off, s[0:3], s33 offset:204 ; 4-byte Folded Reload
	s_waitcnt vmcnt(1)
	v_add_co_u32_e64 v14, s[28:29], v10, v8
	s_waitcnt vmcnt(0)
	v_addc_co_u32_e64 v15, s[28:29], v11, v9, s[28:29]
	s_branch .LBB10_971
.LBB10_970:                             ;   in Loop: Header=BB10_971 Depth=4
	s_or_b64 exec, exec, s[92:93]
	v_lshrrev_b32_e32 v18, 16, v24
	v_and_or_b32 v9, v9, s66, v18
	v_lshrrev_b32_e32 v18, 16, v19
	v_and_or_b32 v8, v8, s66, v18
	;; [unrolled: 2-line block ×4, first 2 shown]
	global_store_dwordx4 v[14:15], v[8:11], off glc slc
	buffer_load_dword v8, off, s[0:3], s33 offset:136 ; 4-byte Folded Reload
	s_waitcnt vmcnt(0)
	v_add_co_u32_e64 v3, s[28:29], v3, v8
	v_addc_co_u32_e64 v4, s[28:29], 0, v4, s[28:29]
	v_add_co_u32_e64 v12, s[28:29], v12, v8
	v_addc_co_u32_e64 v13, s[28:29], 0, v13, s[28:29]
	v_add_co_u32_e64 v14, s[28:29], v14, v8
	v_sub_u32_e32 v16, v16, v8
	buffer_load_dword v8, off, s[0:3], s33 offset:88 ; 4-byte Folded Reload
	v_addc_co_u32_e64 v15, s[28:29], 0, v15, s[28:29]
	v_cmp_gt_i32_e64 s[28:29], 16, v16
	s_or_b64 s[90:91], s[28:29], s[90:91]
	s_waitcnt vmcnt(0)
	v_sub_u32_e32 v7, v7, v8
	s_andn2_b64 exec, exec, s[90:91]
	s_cbranch_execz .LBB10_1035
.LBB10_971:                             ;   Parent Loop BB10_47 Depth=1
                                        ;     Parent Loop BB10_625 Depth=2
                                        ;       Parent Loop BB10_628 Depth=3
                                        ; =>      This Inner Loop Header: Depth=4
	global_load_dwordx4 v[8:11], v[3:4], off glc slc
	s_waitcnt vmcnt(0)
	v_lshlrev_b32_e32 v18, 16, v8
	v_mul_f32_e32 v18, v17, v18
	v_and_b32_e32 v19, 0x7f800000, v18
	v_cmp_ne_u32_e64 s[28:29], s64, v19
                                        ; implicit-def: $vgpr19
	s_and_saveexec_b64 s[92:93], s[28:29]
	s_xor_b64 s[28:29], exec, s[92:93]
; %bb.972:                              ;   in Loop: Header=BB10_971 Depth=4
	v_bfe_u32 v19, v18, 16, 1
	v_add3_u32 v19, v18, v19, s65
                                        ; implicit-def: $vgpr18
; %bb.973:                              ;   in Loop: Header=BB10_971 Depth=4
	s_andn2_saveexec_b64 s[92:93], s[28:29]
; %bb.974:                              ;   in Loop: Header=BB10_971 Depth=4
	v_or_b32_e32 v19, 0x10000, v18
	v_cmp_eq_u32_sdwa s[28:29], v18, v2 src0_sel:WORD_0 src1_sel:DWORD
	v_cndmask_b32_e64 v19, v19, v18, s[28:29]
; %bb.975:                              ;   in Loop: Header=BB10_971 Depth=4
	s_or_b64 exec, exec, s[92:93]
	v_and_b32_e32 v8, 0xffff0000, v8
	v_mul_f32_e32 v8, v17, v8
	v_and_b32_e32 v18, 0x7f800000, v8
	v_cmp_ne_u32_e64 s[28:29], s64, v18
                                        ; implicit-def: $vgpr25
	s_and_saveexec_b64 s[92:93], s[28:29]
	s_xor_b64 s[28:29], exec, s[92:93]
; %bb.976:                              ;   in Loop: Header=BB10_971 Depth=4
	v_bfe_u32 v18, v8, 16, 1
	v_add3_u32 v25, v8, v18, s65
                                        ; implicit-def: $vgpr8
; %bb.977:                              ;   in Loop: Header=BB10_971 Depth=4
	s_andn2_saveexec_b64 s[92:93], s[28:29]
; %bb.978:                              ;   in Loop: Header=BB10_971 Depth=4
	v_or_b32_e32 v18, 0x10000, v8
	v_cmp_eq_u32_sdwa s[28:29], v8, v2 src0_sel:WORD_0 src1_sel:DWORD
	v_cndmask_b32_e64 v25, v18, v8, s[28:29]
; %bb.979:                              ;   in Loop: Header=BB10_971 Depth=4
	s_or_b64 exec, exec, s[92:93]
	v_lshlrev_b32_e32 v8, 16, v9
	v_mul_f32_e32 v8, v17, v8
	v_and_b32_e32 v18, 0x7f800000, v8
	v_cmp_ne_u32_e64 s[28:29], s64, v18
                                        ; implicit-def: $vgpr24
	s_and_saveexec_b64 s[92:93], s[28:29]
	s_xor_b64 s[28:29], exec, s[92:93]
; %bb.980:                              ;   in Loop: Header=BB10_971 Depth=4
	v_bfe_u32 v18, v8, 16, 1
	v_add3_u32 v24, v8, v18, s65
                                        ; implicit-def: $vgpr8
; %bb.981:                              ;   in Loop: Header=BB10_971 Depth=4
	s_andn2_saveexec_b64 s[92:93], s[28:29]
; %bb.982:                              ;   in Loop: Header=BB10_971 Depth=4
	v_or_b32_e32 v18, 0x10000, v8
	v_cmp_eq_u32_sdwa s[28:29], v8, v2 src0_sel:WORD_0 src1_sel:DWORD
	v_cndmask_b32_e64 v24, v18, v8, s[28:29]
; %bb.983:                              ;   in Loop: Header=BB10_971 Depth=4
	s_or_b64 exec, exec, s[92:93]
	v_and_b32_e32 v8, 0xffff0000, v9
	v_mul_f32_e32 v8, v17, v8
	v_and_b32_e32 v9, 0x7f800000, v8
	v_cmp_ne_u32_e64 s[28:29], s64, v9
                                        ; implicit-def: $vgpr23
	s_and_saveexec_b64 s[92:93], s[28:29]
	s_xor_b64 s[28:29], exec, s[92:93]
; %bb.984:                              ;   in Loop: Header=BB10_971 Depth=4
	v_bfe_u32 v9, v8, 16, 1
	v_add3_u32 v23, v8, v9, s65
                                        ; implicit-def: $vgpr8
; %bb.985:                              ;   in Loop: Header=BB10_971 Depth=4
	s_andn2_saveexec_b64 s[92:93], s[28:29]
; %bb.986:                              ;   in Loop: Header=BB10_971 Depth=4
	v_or_b32_e32 v9, 0x10000, v8
	v_cmp_eq_u32_sdwa s[28:29], v8, v2 src0_sel:WORD_0 src1_sel:DWORD
	v_cndmask_b32_e64 v23, v9, v8, s[28:29]
; %bb.987:                              ;   in Loop: Header=BB10_971 Depth=4
	s_or_b64 exec, exec, s[92:93]
	v_lshlrev_b32_e32 v8, 16, v10
	v_mul_f32_e32 v8, v17, v8
	v_and_b32_e32 v9, 0x7f800000, v8
	v_cmp_ne_u32_e64 s[28:29], s64, v9
                                        ; implicit-def: $vgpr22
	s_and_saveexec_b64 s[92:93], s[28:29]
	s_xor_b64 s[28:29], exec, s[92:93]
; %bb.988:                              ;   in Loop: Header=BB10_971 Depth=4
	v_bfe_u32 v9, v8, 16, 1
	v_add3_u32 v22, v8, v9, s65
                                        ; implicit-def: $vgpr8
; %bb.989:                              ;   in Loop: Header=BB10_971 Depth=4
	s_andn2_saveexec_b64 s[92:93], s[28:29]
; %bb.990:                              ;   in Loop: Header=BB10_971 Depth=4
	v_or_b32_e32 v9, 0x10000, v8
	v_cmp_eq_u32_sdwa s[28:29], v8, v2 src0_sel:WORD_0 src1_sel:DWORD
	v_cndmask_b32_e64 v22, v9, v8, s[28:29]
; %bb.991:                              ;   in Loop: Header=BB10_971 Depth=4
	s_or_b64 exec, exec, s[92:93]
	v_and_b32_e32 v8, 0xffff0000, v10
	v_mul_f32_e32 v8, v17, v8
	v_and_b32_e32 v9, 0x7f800000, v8
	v_cmp_ne_u32_e64 s[28:29], s64, v9
                                        ; implicit-def: $vgpr21
	s_and_saveexec_b64 s[92:93], s[28:29]
	s_xor_b64 s[28:29], exec, s[92:93]
; %bb.992:                              ;   in Loop: Header=BB10_971 Depth=4
	v_bfe_u32 v9, v8, 16, 1
	v_add3_u32 v21, v8, v9, s65
                                        ; implicit-def: $vgpr8
; %bb.993:                              ;   in Loop: Header=BB10_971 Depth=4
	s_andn2_saveexec_b64 s[92:93], s[28:29]
; %bb.994:                              ;   in Loop: Header=BB10_971 Depth=4
	v_or_b32_e32 v9, 0x10000, v8
	v_cmp_eq_u32_sdwa s[28:29], v8, v2 src0_sel:WORD_0 src1_sel:DWORD
	v_cndmask_b32_e64 v21, v9, v8, s[28:29]
; %bb.995:                              ;   in Loop: Header=BB10_971 Depth=4
	s_or_b64 exec, exec, s[92:93]
	v_lshlrev_b32_e32 v8, 16, v11
	v_mul_f32_e32 v8, v17, v8
	v_and_b32_e32 v9, 0x7f800000, v8
	v_cmp_ne_u32_e64 s[28:29], s64, v9
                                        ; implicit-def: $vgpr20
	s_and_saveexec_b64 s[92:93], s[28:29]
	s_xor_b64 s[28:29], exec, s[92:93]
; %bb.996:                              ;   in Loop: Header=BB10_971 Depth=4
	v_bfe_u32 v9, v8, 16, 1
	v_add3_u32 v20, v8, v9, s65
                                        ; implicit-def: $vgpr8
; %bb.997:                              ;   in Loop: Header=BB10_971 Depth=4
	s_andn2_saveexec_b64 s[92:93], s[28:29]
; %bb.998:                              ;   in Loop: Header=BB10_971 Depth=4
	v_or_b32_e32 v9, 0x10000, v8
	v_cmp_eq_u32_sdwa s[28:29], v8, v2 src0_sel:WORD_0 src1_sel:DWORD
	v_cndmask_b32_e64 v20, v9, v8, s[28:29]
; %bb.999:                              ;   in Loop: Header=BB10_971 Depth=4
	s_or_b64 exec, exec, s[92:93]
	v_and_b32_e32 v8, 0xffff0000, v11
	v_mul_f32_e32 v8, v17, v8
	v_and_b32_e32 v9, 0x7f800000, v8
	v_cmp_ne_u32_e64 s[28:29], s64, v9
                                        ; implicit-def: $vgpr18
	s_and_saveexec_b64 s[92:93], s[28:29]
	s_xor_b64 s[28:29], exec, s[92:93]
; %bb.1000:                             ;   in Loop: Header=BB10_971 Depth=4
	v_bfe_u32 v9, v8, 16, 1
	v_add3_u32 v18, v8, v9, s65
                                        ; implicit-def: $vgpr8
; %bb.1001:                             ;   in Loop: Header=BB10_971 Depth=4
	s_andn2_saveexec_b64 s[92:93], s[28:29]
; %bb.1002:                             ;   in Loop: Header=BB10_971 Depth=4
	v_or_b32_e32 v9, 0x10000, v8
	v_cmp_eq_u32_sdwa s[28:29], v8, v2 src0_sel:WORD_0 src1_sel:DWORD
	v_cndmask_b32_e64 v18, v9, v8, s[28:29]
; %bb.1003:                             ;   in Loop: Header=BB10_971 Depth=4
	s_or_b64 exec, exec, s[92:93]
	global_load_dwordx4 v[8:11], v[12:13], off glc slc
	v_and_b32_e32 v19, 0xffff0000, v19
	s_waitcnt vmcnt(0)
	v_lshlrev_b32_e32 v27, 16, v8
	v_add_f32_e32 v27, v19, v27
	v_and_b32_e32 v19, 0x7f800000, v27
	v_cmp_ne_u32_e64 s[28:29], s64, v19
                                        ; implicit-def: $vgpr19
	s_and_saveexec_b64 s[92:93], s[28:29]
	s_xor_b64 s[28:29], exec, s[92:93]
; %bb.1004:                             ;   in Loop: Header=BB10_971 Depth=4
	v_bfe_u32 v19, v27, 16, 1
	v_add3_u32 v19, v27, v19, s65
                                        ; implicit-def: $vgpr27
; %bb.1005:                             ;   in Loop: Header=BB10_971 Depth=4
	s_andn2_saveexec_b64 s[92:93], s[28:29]
; %bb.1006:                             ;   in Loop: Header=BB10_971 Depth=4
	v_or_b32_e32 v19, 0x10000, v27
	v_cmp_eq_u32_sdwa s[28:29], v27, v2 src0_sel:WORD_0 src1_sel:DWORD
	v_cndmask_b32_e64 v19, v19, v27, s[28:29]
; %bb.1007:                             ;   in Loop: Header=BB10_971 Depth=4
	s_or_b64 exec, exec, s[92:93]
	v_and_b32_e32 v25, 0xffff0000, v25
	v_and_b32_e32 v8, 0xffff0000, v8
	v_add_f32_e32 v25, v25, v8
	v_and_b32_e32 v8, 0x7f800000, v25
	v_cmp_ne_u32_e64 s[28:29], s64, v8
                                        ; implicit-def: $vgpr8
	s_and_saveexec_b64 s[92:93], s[28:29]
	s_xor_b64 s[28:29], exec, s[92:93]
; %bb.1008:                             ;   in Loop: Header=BB10_971 Depth=4
	v_bfe_u32 v8, v25, 16, 1
	v_add3_u32 v8, v25, v8, s65
                                        ; implicit-def: $vgpr25
; %bb.1009:                             ;   in Loop: Header=BB10_971 Depth=4
	s_andn2_saveexec_b64 s[92:93], s[28:29]
; %bb.1010:                             ;   in Loop: Header=BB10_971 Depth=4
	v_or_b32_e32 v8, 0x10000, v25
	v_cmp_eq_u32_sdwa s[28:29], v25, v2 src0_sel:WORD_0 src1_sel:DWORD
	v_cndmask_b32_e64 v8, v8, v25, s[28:29]
; %bb.1011:                             ;   in Loop: Header=BB10_971 Depth=4
	s_or_b64 exec, exec, s[92:93]
	v_and_b32_e32 v24, 0xffff0000, v24
	v_lshlrev_b32_e32 v25, 16, v9
	v_add_f32_e32 v25, v24, v25
	v_and_b32_e32 v24, 0x7f800000, v25
	v_cmp_ne_u32_e64 s[28:29], s64, v24
                                        ; implicit-def: $vgpr24
	s_and_saveexec_b64 s[92:93], s[28:29]
	s_xor_b64 s[28:29], exec, s[92:93]
; %bb.1012:                             ;   in Loop: Header=BB10_971 Depth=4
	v_bfe_u32 v24, v25, 16, 1
	v_add3_u32 v24, v25, v24, s65
                                        ; implicit-def: $vgpr25
; %bb.1013:                             ;   in Loop: Header=BB10_971 Depth=4
	s_andn2_saveexec_b64 s[92:93], s[28:29]
; %bb.1014:                             ;   in Loop: Header=BB10_971 Depth=4
	v_or_b32_e32 v24, 0x10000, v25
	v_cmp_eq_u32_sdwa s[28:29], v25, v2 src0_sel:WORD_0 src1_sel:DWORD
	v_cndmask_b32_e64 v24, v24, v25, s[28:29]
; %bb.1015:                             ;   in Loop: Header=BB10_971 Depth=4
	s_or_b64 exec, exec, s[92:93]
	v_and_b32_e32 v23, 0xffff0000, v23
	v_and_b32_e32 v9, 0xffff0000, v9
	v_add_f32_e32 v23, v23, v9
	v_and_b32_e32 v9, 0x7f800000, v23
	v_cmp_ne_u32_e64 s[28:29], s64, v9
                                        ; implicit-def: $vgpr9
	s_and_saveexec_b64 s[92:93], s[28:29]
	s_xor_b64 s[28:29], exec, s[92:93]
; %bb.1016:                             ;   in Loop: Header=BB10_971 Depth=4
	v_bfe_u32 v9, v23, 16, 1
	v_add3_u32 v9, v23, v9, s65
                                        ; implicit-def: $vgpr23
; %bb.1017:                             ;   in Loop: Header=BB10_971 Depth=4
	s_andn2_saveexec_b64 s[92:93], s[28:29]
; %bb.1018:                             ;   in Loop: Header=BB10_971 Depth=4
	v_or_b32_e32 v9, 0x10000, v23
	v_cmp_eq_u32_sdwa s[28:29], v23, v2 src0_sel:WORD_0 src1_sel:DWORD
	v_cndmask_b32_e64 v9, v9, v23, s[28:29]
; %bb.1019:                             ;   in Loop: Header=BB10_971 Depth=4
	s_or_b64 exec, exec, s[92:93]
	v_and_b32_e32 v22, 0xffff0000, v22
	v_lshlrev_b32_e32 v23, 16, v10
	v_add_f32_e32 v23, v22, v23
	v_and_b32_e32 v22, 0x7f800000, v23
	v_cmp_ne_u32_e64 s[28:29], s64, v22
                                        ; implicit-def: $vgpr22
	s_and_saveexec_b64 s[92:93], s[28:29]
	s_xor_b64 s[28:29], exec, s[92:93]
; %bb.1020:                             ;   in Loop: Header=BB10_971 Depth=4
	v_bfe_u32 v22, v23, 16, 1
	v_add3_u32 v22, v23, v22, s65
                                        ; implicit-def: $vgpr23
; %bb.1021:                             ;   in Loop: Header=BB10_971 Depth=4
	s_andn2_saveexec_b64 s[92:93], s[28:29]
; %bb.1022:                             ;   in Loop: Header=BB10_971 Depth=4
	v_or_b32_e32 v22, 0x10000, v23
	v_cmp_eq_u32_sdwa s[28:29], v23, v2 src0_sel:WORD_0 src1_sel:DWORD
	v_cndmask_b32_e64 v22, v22, v23, s[28:29]
; %bb.1023:                             ;   in Loop: Header=BB10_971 Depth=4
	s_or_b64 exec, exec, s[92:93]
	v_and_b32_e32 v21, 0xffff0000, v21
	v_and_b32_e32 v10, 0xffff0000, v10
	v_add_f32_e32 v21, v21, v10
	v_and_b32_e32 v10, 0x7f800000, v21
	v_cmp_ne_u32_e64 s[28:29], s64, v10
                                        ; implicit-def: $vgpr10
	s_and_saveexec_b64 s[92:93], s[28:29]
	s_xor_b64 s[28:29], exec, s[92:93]
; %bb.1024:                             ;   in Loop: Header=BB10_971 Depth=4
	v_bfe_u32 v10, v21, 16, 1
	v_add3_u32 v10, v21, v10, s65
                                        ; implicit-def: $vgpr21
; %bb.1025:                             ;   in Loop: Header=BB10_971 Depth=4
	s_andn2_saveexec_b64 s[92:93], s[28:29]
; %bb.1026:                             ;   in Loop: Header=BB10_971 Depth=4
	v_or_b32_e32 v10, 0x10000, v21
	v_cmp_eq_u32_sdwa s[28:29], v21, v2 src0_sel:WORD_0 src1_sel:DWORD
	v_cndmask_b32_e64 v10, v10, v21, s[28:29]
; %bb.1027:                             ;   in Loop: Header=BB10_971 Depth=4
	s_or_b64 exec, exec, s[92:93]
	v_and_b32_e32 v20, 0xffff0000, v20
	v_lshlrev_b32_e32 v21, 16, v11
	v_add_f32_e32 v21, v20, v21
	v_and_b32_e32 v20, 0x7f800000, v21
	v_cmp_ne_u32_e64 s[28:29], s64, v20
                                        ; implicit-def: $vgpr20
	s_and_saveexec_b64 s[92:93], s[28:29]
	s_xor_b64 s[28:29], exec, s[92:93]
; %bb.1028:                             ;   in Loop: Header=BB10_971 Depth=4
	v_bfe_u32 v20, v21, 16, 1
	v_add3_u32 v20, v21, v20, s65
                                        ; implicit-def: $vgpr21
; %bb.1029:                             ;   in Loop: Header=BB10_971 Depth=4
	s_andn2_saveexec_b64 s[92:93], s[28:29]
; %bb.1030:                             ;   in Loop: Header=BB10_971 Depth=4
	v_or_b32_e32 v20, 0x10000, v21
	v_cmp_eq_u32_sdwa s[28:29], v21, v2 src0_sel:WORD_0 src1_sel:DWORD
	v_cndmask_b32_e64 v20, v20, v21, s[28:29]
; %bb.1031:                             ;   in Loop: Header=BB10_971 Depth=4
	s_or_b64 exec, exec, s[92:93]
	v_and_b32_e32 v18, 0xffff0000, v18
	v_and_b32_e32 v11, 0xffff0000, v11
	v_add_f32_e32 v18, v18, v11
	v_and_b32_e32 v11, 0x7f800000, v18
	v_cmp_ne_u32_e64 s[28:29], s64, v11
                                        ; implicit-def: $vgpr11
	s_and_saveexec_b64 s[92:93], s[28:29]
	s_xor_b64 s[28:29], exec, s[92:93]
; %bb.1032:                             ;   in Loop: Header=BB10_971 Depth=4
	v_bfe_u32 v11, v18, 16, 1
	v_add3_u32 v11, v18, v11, s65
                                        ; implicit-def: $vgpr18
; %bb.1033:                             ;   in Loop: Header=BB10_971 Depth=4
	s_andn2_saveexec_b64 s[92:93], s[28:29]
	s_cbranch_execz .LBB10_970
; %bb.1034:                             ;   in Loop: Header=BB10_971 Depth=4
	v_or_b32_e32 v11, 0x10000, v18
	v_cmp_eq_u32_sdwa s[28:29], v18, v2 src0_sel:WORD_0 src1_sel:DWORD
	v_cndmask_b32_e64 v11, v11, v18, s[28:29]
	s_branch .LBB10_970
.LBB10_1035:                            ;   in Loop: Header=BB10_628 Depth=3
	s_or_b64 exec, exec, s[90:91]
.LBB10_1036:                            ;   in Loop: Header=BB10_628 Depth=3
	s_or_b64 exec, exec, s[88:89]
	buffer_load_dword v3, off, s[0:3], s33 offset:184 ; 4-byte Folded Reload
	s_waitcnt vmcnt(0)
	v_and_b32_e32 v3, 14, v3
	v_sub_u32_e32 v4, v6, v3
	v_cndmask_b32_e32 v4, 0, v4, vcc
	v_add3_u32 v0, v0, v5, v4
	v_cndmask_b32_e32 v4, v6, v3, vcc
	buffer_load_dword v3, off, s[0:3], s33 offset:88 ; 4-byte Folded Reload
	v_cmp_lt_i32_e32 vcc, 0, v7
	buffer_store_dword v4, off, s[0:3], s33 offset:184 ; 4-byte Folded Spill
	s_waitcnt vmcnt(1)
	v_cndmask_b32_e32 v3, 0, v3, vcc
	v_sub_u32_e32 v3, v3, v7
	v_cmp_ne_u32_e32 vcc, 0, v4
	v_lshl_add_u32 v1, v3, 6, v1
	s_and_b64 s[88:89], vcc, exec
.LBB10_1037:                            ;   in Loop: Header=BB10_628 Depth=3
	s_or_b64 exec, exec, s[78:79]
	buffer_load_dword v33, off, s[0:3], s33 offset:224 ; 4-byte Folded Reload
	buffer_load_dword v41, off, s[0:3], s33 offset:232 ; 4-byte Folded Reload
	;; [unrolled: 1-line block ×9, first 2 shown]
	s_and_saveexec_b64 s[28:29], s[88:89]
	s_cbranch_execz .LBB10_1182
.LBB10_1038:                            ;   in Loop: Header=BB10_628 Depth=3
	s_waitcnt vmcnt(0)
	v_ashrrev_i32_e32 v3, 31, v1
	v_ashrrev_i32_e32 v4, 31, v47
	v_lshrrev_b32_e32 v3, 26, v3
	v_lshrrev_b32_e32 v4, 21, v4
	v_add_u32_e32 v3, v1, v3
	v_add_u32_e32 v4, v47, v4
	v_ashrrev_i32_e32 v6, 6, v3
	v_ashrrev_i32_e32 v12, 11, v4
	v_sub_u32_e32 v7, v12, v6
	v_cmp_lt_i32_e32 vcc, 0, v7
	s_and_saveexec_b64 s[78:79], vcc
	s_cbranch_execz .LBB10_1170
; %bb.1039:                             ;   in Loop: Header=BB10_628 Depth=3
	v_and_b32_e32 v3, 0x7fffffc0, v3
	v_sub_u32_e32 v3, v1, v3
	s_trap 2
	ds_read_b64 v[8:9], v0
	ds_read_b32 v10, v0
	v_lshlrev_b32_e32 v3, 1, v3
	v_lshlrev_b32_e32 v4, 11, v6
	v_add3_u32 v5, v3, v0, v4
	v_ashrrev_i32_e32 v11, 31, v5
	v_add_co_u32_e32 v3, vcc, v5, v56
	v_addc_co_u32_e32 v4, vcc, v11, v57, vcc
	s_waitcnt lgkmcnt(1)
	v_add_co_u32_e32 v8, vcc, v8, v5
	v_addc_co_u32_e32 v9, vcc, v9, v11, vcc
	s_waitcnt lgkmcnt(0)
	v_lshlrev_b32_e32 v13, 16, v10
	v_add_co_u32_e32 v10, vcc, 0x780, v44
	v_addc_co_u32_e32 v14, vcc, 0, v45, vcc
	v_add_co_u32_e32 v10, vcc, v10, v5
	v_addc_co_u32_e32 v11, vcc, v14, v11, vcc
	s_mov_b64 s[88:89], 0
	s_branch .LBB10_1041
.LBB10_1040:                            ;   in Loop: Header=BB10_1041 Depth=4
	s_or_b64 exec, exec, s[90:91]
	v_add_co_u32_e32 v30, vcc, 0xfffff880, v10
	v_addc_co_u32_e32 v31, vcc, -1, v11, vcc
	flat_store_short_d16_hi v[30:31], v5 glc slc
	v_add_co_u32_e32 v30, vcc, 0xfffff900, v10
	v_addc_co_u32_e32 v31, vcc, -1, v11, vcc
	flat_store_short_d16_hi v[30:31], v14 glc slc
	v_add_co_u32_e32 v30, vcc, 0xfffff980, v10
	v_addc_co_u32_e32 v31, vcc, -1, v11, vcc
	v_add_co_u32_e32 v14, vcc, 0xfffffa00, v10
	flat_store_short_d16_hi v[30:31], v15 glc slc
	v_addc_co_u32_e32 v15, vcc, -1, v11, vcc
	flat_store_short_d16_hi v[14:15], v16 glc slc
	v_add_co_u32_e32 v14, vcc, 0xfffffa80, v10
	v_addc_co_u32_e32 v15, vcc, -1, v11, vcc
	flat_store_short_d16_hi v[14:15], v17 glc slc
	v_add_co_u32_e32 v14, vcc, 0xfffffb00, v10
	;; [unrolled: 3-line block ×11, first 2 shown]
	v_addc_co_u32_e32 v15, vcc, -1, v11, vcc
	flat_store_short_d16_hi v[14:15], v28 glc slc
	flat_store_short_d16_hi v[10:11], v29 glc slc
	buffer_load_dword v14, off, s[0:3], s33 offset:92 ; 4-byte Folded Reload
	s_nop 0
	buffer_load_dword v5, off, s[0:3], s33 offset:88 ; 4-byte Folded Reload
	s_waitcnt vmcnt(0)
	v_add_co_u32_e32 v3, vcc, v3, v14
	v_addc_co_u32_e32 v4, vcc, 0, v4, vcc
	v_add_co_u32_e32 v8, vcc, v8, v14
	v_addc_co_u32_e32 v9, vcc, 0, v9, vcc
	v_sub_u32_e32 v7, v7, v5
	v_cmp_gt_i32_e32 vcc, 1, v7
	s_or_b64 s[88:89], vcc, s[88:89]
	v_add_co_u32_e32 v10, vcc, v10, v14
	v_addc_co_u32_e32 v11, vcc, 0, v11, vcc
	s_andn2_b64 exec, exec, s[88:89]
	s_cbranch_execz .LBB10_1169
.LBB10_1041:                            ;   Parent Loop BB10_47 Depth=1
                                        ;     Parent Loop BB10_625 Depth=2
                                        ;       Parent Loop BB10_628 Depth=3
                                        ; =>      This Inner Loop Header: Depth=4
	flat_load_ushort v5, v[3:4] glc slc
	s_waitcnt vmcnt(0) lgkmcnt(0)
	v_lshlrev_b32_e32 v5, 16, v5
	v_mul_f32_e32 v14, v13, v5
	v_and_b32_e32 v5, 0x7f800000, v14
	v_cmp_ne_u32_e32 vcc, s64, v5
                                        ; implicit-def: $vgpr5
	s_and_saveexec_b64 s[90:91], vcc
	s_xor_b64 s[90:91], exec, s[90:91]
; %bb.1042:                             ;   in Loop: Header=BB10_1041 Depth=4
	v_bfe_u32 v5, v14, 16, 1
	v_add3_u32 v5, v14, v5, s65
                                        ; implicit-def: $vgpr14
; %bb.1043:                             ;   in Loop: Header=BB10_1041 Depth=4
	s_andn2_saveexec_b64 s[90:91], s[90:91]
; %bb.1044:                             ;   in Loop: Header=BB10_1041 Depth=4
	v_or_b32_e32 v5, 0x10000, v14
	v_cmp_eq_u32_sdwa vcc, v14, v2 src0_sel:WORD_0 src1_sel:DWORD
	v_cndmask_b32_e32 v5, v5, v14, vcc
; %bb.1045:                             ;   in Loop: Header=BB10_1041 Depth=4
	s_or_b64 exec, exec, s[90:91]
	flat_load_ushort v14, v[3:4] offset:128 glc slc
	s_waitcnt vmcnt(0) lgkmcnt(0)
	v_lshlrev_b32_e32 v14, 16, v14
	v_mul_f32_e32 v15, v13, v14
	v_and_b32_e32 v14, 0x7f800000, v15
	v_cmp_ne_u32_e32 vcc, s64, v14
                                        ; implicit-def: $vgpr14
	s_and_saveexec_b64 s[90:91], vcc
	s_xor_b64 s[90:91], exec, s[90:91]
; %bb.1046:                             ;   in Loop: Header=BB10_1041 Depth=4
	v_bfe_u32 v14, v15, 16, 1
	v_add3_u32 v14, v15, v14, s65
                                        ; implicit-def: $vgpr15
; %bb.1047:                             ;   in Loop: Header=BB10_1041 Depth=4
	s_andn2_saveexec_b64 s[90:91], s[90:91]
; %bb.1048:                             ;   in Loop: Header=BB10_1041 Depth=4
	v_or_b32_e32 v14, 0x10000, v15
	v_cmp_eq_u32_sdwa vcc, v15, v2 src0_sel:WORD_0 src1_sel:DWORD
	v_cndmask_b32_e32 v14, v14, v15, vcc
; %bb.1049:                             ;   in Loop: Header=BB10_1041 Depth=4
	s_or_b64 exec, exec, s[90:91]
	flat_load_ushort v15, v[3:4] offset:256 glc slc
	s_waitcnt vmcnt(0) lgkmcnt(0)
	v_lshlrev_b32_e32 v15, 16, v15
	v_mul_f32_e32 v16, v13, v15
	v_and_b32_e32 v15, 0x7f800000, v16
	v_cmp_ne_u32_e32 vcc, s64, v15
                                        ; implicit-def: $vgpr15
	s_and_saveexec_b64 s[90:91], vcc
	s_xor_b64 s[90:91], exec, s[90:91]
; %bb.1050:                             ;   in Loop: Header=BB10_1041 Depth=4
	v_bfe_u32 v15, v16, 16, 1
	v_add3_u32 v15, v16, v15, s65
                                        ; implicit-def: $vgpr16
; %bb.1051:                             ;   in Loop: Header=BB10_1041 Depth=4
	s_andn2_saveexec_b64 s[90:91], s[90:91]
; %bb.1052:                             ;   in Loop: Header=BB10_1041 Depth=4
	v_or_b32_e32 v15, 0x10000, v16
	v_cmp_eq_u32_sdwa vcc, v16, v2 src0_sel:WORD_0 src1_sel:DWORD
	v_cndmask_b32_e32 v15, v15, v16, vcc
; %bb.1053:                             ;   in Loop: Header=BB10_1041 Depth=4
	s_or_b64 exec, exec, s[90:91]
	flat_load_ushort v16, v[3:4] offset:384 glc slc
	s_waitcnt vmcnt(0) lgkmcnt(0)
	v_lshlrev_b32_e32 v16, 16, v16
	v_mul_f32_e32 v17, v13, v16
	v_and_b32_e32 v16, 0x7f800000, v17
	v_cmp_ne_u32_e32 vcc, s64, v16
                                        ; implicit-def: $vgpr16
	s_and_saveexec_b64 s[90:91], vcc
	s_xor_b64 s[90:91], exec, s[90:91]
; %bb.1054:                             ;   in Loop: Header=BB10_1041 Depth=4
	v_bfe_u32 v16, v17, 16, 1
	v_add3_u32 v16, v17, v16, s65
                                        ; implicit-def: $vgpr17
; %bb.1055:                             ;   in Loop: Header=BB10_1041 Depth=4
	s_andn2_saveexec_b64 s[90:91], s[90:91]
; %bb.1056:                             ;   in Loop: Header=BB10_1041 Depth=4
	v_or_b32_e32 v16, 0x10000, v17
	v_cmp_eq_u32_sdwa vcc, v17, v2 src0_sel:WORD_0 src1_sel:DWORD
	v_cndmask_b32_e32 v16, v16, v17, vcc
; %bb.1057:                             ;   in Loop: Header=BB10_1041 Depth=4
	s_or_b64 exec, exec, s[90:91]
	flat_load_ushort v17, v[3:4] offset:512 glc slc
	s_waitcnt vmcnt(0) lgkmcnt(0)
	v_lshlrev_b32_e32 v17, 16, v17
	v_mul_f32_e32 v18, v13, v17
	v_and_b32_e32 v17, 0x7f800000, v18
	v_cmp_ne_u32_e32 vcc, s64, v17
                                        ; implicit-def: $vgpr17
	s_and_saveexec_b64 s[90:91], vcc
	s_xor_b64 s[90:91], exec, s[90:91]
; %bb.1058:                             ;   in Loop: Header=BB10_1041 Depth=4
	v_bfe_u32 v17, v18, 16, 1
	v_add3_u32 v17, v18, v17, s65
                                        ; implicit-def: $vgpr18
; %bb.1059:                             ;   in Loop: Header=BB10_1041 Depth=4
	s_andn2_saveexec_b64 s[90:91], s[90:91]
; %bb.1060:                             ;   in Loop: Header=BB10_1041 Depth=4
	v_or_b32_e32 v17, 0x10000, v18
	v_cmp_eq_u32_sdwa vcc, v18, v2 src0_sel:WORD_0 src1_sel:DWORD
	v_cndmask_b32_e32 v17, v17, v18, vcc
; %bb.1061:                             ;   in Loop: Header=BB10_1041 Depth=4
	s_or_b64 exec, exec, s[90:91]
	flat_load_ushort v18, v[3:4] offset:640 glc slc
	s_waitcnt vmcnt(0) lgkmcnt(0)
	v_lshlrev_b32_e32 v18, 16, v18
	v_mul_f32_e32 v19, v13, v18
	v_and_b32_e32 v18, 0x7f800000, v19
	v_cmp_ne_u32_e32 vcc, s64, v18
                                        ; implicit-def: $vgpr18
	s_and_saveexec_b64 s[90:91], vcc
	s_xor_b64 s[90:91], exec, s[90:91]
; %bb.1062:                             ;   in Loop: Header=BB10_1041 Depth=4
	v_bfe_u32 v18, v19, 16, 1
	v_add3_u32 v18, v19, v18, s65
                                        ; implicit-def: $vgpr19
; %bb.1063:                             ;   in Loop: Header=BB10_1041 Depth=4
	s_andn2_saveexec_b64 s[90:91], s[90:91]
; %bb.1064:                             ;   in Loop: Header=BB10_1041 Depth=4
	v_or_b32_e32 v18, 0x10000, v19
	v_cmp_eq_u32_sdwa vcc, v19, v2 src0_sel:WORD_0 src1_sel:DWORD
	v_cndmask_b32_e32 v18, v18, v19, vcc
; %bb.1065:                             ;   in Loop: Header=BB10_1041 Depth=4
	s_or_b64 exec, exec, s[90:91]
	flat_load_ushort v19, v[3:4] offset:768 glc slc
	s_waitcnt vmcnt(0) lgkmcnt(0)
	v_lshlrev_b32_e32 v19, 16, v19
	v_mul_f32_e32 v20, v13, v19
	v_and_b32_e32 v19, 0x7f800000, v20
	v_cmp_ne_u32_e32 vcc, s64, v19
                                        ; implicit-def: $vgpr19
	s_and_saveexec_b64 s[90:91], vcc
	s_xor_b64 s[90:91], exec, s[90:91]
; %bb.1066:                             ;   in Loop: Header=BB10_1041 Depth=4
	v_bfe_u32 v19, v20, 16, 1
	v_add3_u32 v19, v20, v19, s65
                                        ; implicit-def: $vgpr20
; %bb.1067:                             ;   in Loop: Header=BB10_1041 Depth=4
	s_andn2_saveexec_b64 s[90:91], s[90:91]
; %bb.1068:                             ;   in Loop: Header=BB10_1041 Depth=4
	v_or_b32_e32 v19, 0x10000, v20
	v_cmp_eq_u32_sdwa vcc, v20, v2 src0_sel:WORD_0 src1_sel:DWORD
	v_cndmask_b32_e32 v19, v19, v20, vcc
; %bb.1069:                             ;   in Loop: Header=BB10_1041 Depth=4
	s_or_b64 exec, exec, s[90:91]
	flat_load_ushort v20, v[3:4] offset:896 glc slc
	s_waitcnt vmcnt(0) lgkmcnt(0)
	v_lshlrev_b32_e32 v20, 16, v20
	v_mul_f32_e32 v21, v13, v20
	v_and_b32_e32 v20, 0x7f800000, v21
	v_cmp_ne_u32_e32 vcc, s64, v20
                                        ; implicit-def: $vgpr20
	s_and_saveexec_b64 s[90:91], vcc
	s_xor_b64 s[90:91], exec, s[90:91]
; %bb.1070:                             ;   in Loop: Header=BB10_1041 Depth=4
	v_bfe_u32 v20, v21, 16, 1
	v_add3_u32 v20, v21, v20, s65
                                        ; implicit-def: $vgpr21
; %bb.1071:                             ;   in Loop: Header=BB10_1041 Depth=4
	s_andn2_saveexec_b64 s[90:91], s[90:91]
; %bb.1072:                             ;   in Loop: Header=BB10_1041 Depth=4
	v_or_b32_e32 v20, 0x10000, v21
	v_cmp_eq_u32_sdwa vcc, v21, v2 src0_sel:WORD_0 src1_sel:DWORD
	v_cndmask_b32_e32 v20, v20, v21, vcc
; %bb.1073:                             ;   in Loop: Header=BB10_1041 Depth=4
	s_or_b64 exec, exec, s[90:91]
	flat_load_ushort v21, v[3:4] offset:1024 glc slc
	s_waitcnt vmcnt(0) lgkmcnt(0)
	v_lshlrev_b32_e32 v21, 16, v21
	v_mul_f32_e32 v22, v13, v21
	v_and_b32_e32 v21, 0x7f800000, v22
	v_cmp_ne_u32_e32 vcc, s64, v21
                                        ; implicit-def: $vgpr21
	s_and_saveexec_b64 s[90:91], vcc
	s_xor_b64 s[90:91], exec, s[90:91]
; %bb.1074:                             ;   in Loop: Header=BB10_1041 Depth=4
	v_bfe_u32 v21, v22, 16, 1
	v_add3_u32 v21, v22, v21, s65
                                        ; implicit-def: $vgpr22
; %bb.1075:                             ;   in Loop: Header=BB10_1041 Depth=4
	s_andn2_saveexec_b64 s[90:91], s[90:91]
; %bb.1076:                             ;   in Loop: Header=BB10_1041 Depth=4
	v_or_b32_e32 v21, 0x10000, v22
	v_cmp_eq_u32_sdwa vcc, v22, v2 src0_sel:WORD_0 src1_sel:DWORD
	v_cndmask_b32_e32 v21, v21, v22, vcc
; %bb.1077:                             ;   in Loop: Header=BB10_1041 Depth=4
	s_or_b64 exec, exec, s[90:91]
	flat_load_ushort v22, v[3:4] offset:1152 glc slc
	s_waitcnt vmcnt(0) lgkmcnt(0)
	v_lshlrev_b32_e32 v22, 16, v22
	v_mul_f32_e32 v23, v13, v22
	v_and_b32_e32 v22, 0x7f800000, v23
	v_cmp_ne_u32_e32 vcc, s64, v22
                                        ; implicit-def: $vgpr22
	s_and_saveexec_b64 s[90:91], vcc
	s_xor_b64 s[90:91], exec, s[90:91]
; %bb.1078:                             ;   in Loop: Header=BB10_1041 Depth=4
	v_bfe_u32 v22, v23, 16, 1
	v_add3_u32 v22, v23, v22, s65
                                        ; implicit-def: $vgpr23
; %bb.1079:                             ;   in Loop: Header=BB10_1041 Depth=4
	s_andn2_saveexec_b64 s[90:91], s[90:91]
; %bb.1080:                             ;   in Loop: Header=BB10_1041 Depth=4
	v_or_b32_e32 v22, 0x10000, v23
	v_cmp_eq_u32_sdwa vcc, v23, v2 src0_sel:WORD_0 src1_sel:DWORD
	v_cndmask_b32_e32 v22, v22, v23, vcc
; %bb.1081:                             ;   in Loop: Header=BB10_1041 Depth=4
	s_or_b64 exec, exec, s[90:91]
	flat_load_ushort v23, v[3:4] offset:1280 glc slc
	s_waitcnt vmcnt(0) lgkmcnt(0)
	v_lshlrev_b32_e32 v23, 16, v23
	v_mul_f32_e32 v24, v13, v23
	v_and_b32_e32 v23, 0x7f800000, v24
	v_cmp_ne_u32_e32 vcc, s64, v23
                                        ; implicit-def: $vgpr23
	s_and_saveexec_b64 s[90:91], vcc
	s_xor_b64 s[90:91], exec, s[90:91]
; %bb.1082:                             ;   in Loop: Header=BB10_1041 Depth=4
	v_bfe_u32 v23, v24, 16, 1
	v_add3_u32 v23, v24, v23, s65
                                        ; implicit-def: $vgpr24
; %bb.1083:                             ;   in Loop: Header=BB10_1041 Depth=4
	s_andn2_saveexec_b64 s[90:91], s[90:91]
; %bb.1084:                             ;   in Loop: Header=BB10_1041 Depth=4
	v_or_b32_e32 v23, 0x10000, v24
	v_cmp_eq_u32_sdwa vcc, v24, v2 src0_sel:WORD_0 src1_sel:DWORD
	v_cndmask_b32_e32 v23, v23, v24, vcc
; %bb.1085:                             ;   in Loop: Header=BB10_1041 Depth=4
	s_or_b64 exec, exec, s[90:91]
	flat_load_ushort v24, v[3:4] offset:1408 glc slc
	s_waitcnt vmcnt(0) lgkmcnt(0)
	v_lshlrev_b32_e32 v24, 16, v24
	v_mul_f32_e32 v25, v13, v24
	v_and_b32_e32 v24, 0x7f800000, v25
	v_cmp_ne_u32_e32 vcc, s64, v24
                                        ; implicit-def: $vgpr24
	s_and_saveexec_b64 s[90:91], vcc
	s_xor_b64 s[90:91], exec, s[90:91]
; %bb.1086:                             ;   in Loop: Header=BB10_1041 Depth=4
	v_bfe_u32 v24, v25, 16, 1
	v_add3_u32 v24, v25, v24, s65
                                        ; implicit-def: $vgpr25
; %bb.1087:                             ;   in Loop: Header=BB10_1041 Depth=4
	s_andn2_saveexec_b64 s[90:91], s[90:91]
; %bb.1088:                             ;   in Loop: Header=BB10_1041 Depth=4
	v_or_b32_e32 v24, 0x10000, v25
	v_cmp_eq_u32_sdwa vcc, v25, v2 src0_sel:WORD_0 src1_sel:DWORD
	v_cndmask_b32_e32 v24, v24, v25, vcc
; %bb.1089:                             ;   in Loop: Header=BB10_1041 Depth=4
	s_or_b64 exec, exec, s[90:91]
	flat_load_ushort v25, v[3:4] offset:1536 glc slc
	s_waitcnt vmcnt(0) lgkmcnt(0)
	v_lshlrev_b32_e32 v25, 16, v25
	v_mul_f32_e32 v27, v13, v25
	v_and_b32_e32 v25, 0x7f800000, v27
	v_cmp_ne_u32_e32 vcc, s64, v25
                                        ; implicit-def: $vgpr25
	s_and_saveexec_b64 s[90:91], vcc
	s_xor_b64 s[90:91], exec, s[90:91]
; %bb.1090:                             ;   in Loop: Header=BB10_1041 Depth=4
	v_bfe_u32 v25, v27, 16, 1
	v_add3_u32 v25, v27, v25, s65
                                        ; implicit-def: $vgpr27
; %bb.1091:                             ;   in Loop: Header=BB10_1041 Depth=4
	s_andn2_saveexec_b64 s[90:91], s[90:91]
; %bb.1092:                             ;   in Loop: Header=BB10_1041 Depth=4
	v_or_b32_e32 v25, 0x10000, v27
	v_cmp_eq_u32_sdwa vcc, v27, v2 src0_sel:WORD_0 src1_sel:DWORD
	v_cndmask_b32_e32 v25, v25, v27, vcc
; %bb.1093:                             ;   in Loop: Header=BB10_1041 Depth=4
	s_or_b64 exec, exec, s[90:91]
	flat_load_ushort v27, v[3:4] offset:1664 glc slc
	s_waitcnt vmcnt(0) lgkmcnt(0)
	v_lshlrev_b32_e32 v27, 16, v27
	v_mul_f32_e32 v28, v13, v27
	v_and_b32_e32 v27, 0x7f800000, v28
	v_cmp_ne_u32_e32 vcc, s64, v27
                                        ; implicit-def: $vgpr27
	s_and_saveexec_b64 s[90:91], vcc
	s_xor_b64 s[90:91], exec, s[90:91]
; %bb.1094:                             ;   in Loop: Header=BB10_1041 Depth=4
	v_bfe_u32 v27, v28, 16, 1
	v_add3_u32 v27, v28, v27, s65
                                        ; implicit-def: $vgpr28
; %bb.1095:                             ;   in Loop: Header=BB10_1041 Depth=4
	s_andn2_saveexec_b64 s[90:91], s[90:91]
; %bb.1096:                             ;   in Loop: Header=BB10_1041 Depth=4
	v_or_b32_e32 v27, 0x10000, v28
	v_cmp_eq_u32_sdwa vcc, v28, v2 src0_sel:WORD_0 src1_sel:DWORD
	v_cndmask_b32_e32 v27, v27, v28, vcc
; %bb.1097:                             ;   in Loop: Header=BB10_1041 Depth=4
	s_or_b64 exec, exec, s[90:91]
	flat_load_ushort v28, v[3:4] offset:1792 glc slc
	s_waitcnt vmcnt(0) lgkmcnt(0)
	v_lshlrev_b32_e32 v28, 16, v28
	v_mul_f32_e32 v29, v13, v28
	v_and_b32_e32 v28, 0x7f800000, v29
	v_cmp_ne_u32_e32 vcc, s64, v28
                                        ; implicit-def: $vgpr28
	s_and_saveexec_b64 s[90:91], vcc
	s_xor_b64 s[90:91], exec, s[90:91]
; %bb.1098:                             ;   in Loop: Header=BB10_1041 Depth=4
	v_bfe_u32 v28, v29, 16, 1
	v_add3_u32 v28, v29, v28, s65
                                        ; implicit-def: $vgpr29
; %bb.1099:                             ;   in Loop: Header=BB10_1041 Depth=4
	s_andn2_saveexec_b64 s[90:91], s[90:91]
; %bb.1100:                             ;   in Loop: Header=BB10_1041 Depth=4
	v_or_b32_e32 v28, 0x10000, v29
	v_cmp_eq_u32_sdwa vcc, v29, v2 src0_sel:WORD_0 src1_sel:DWORD
	v_cndmask_b32_e32 v28, v28, v29, vcc
; %bb.1101:                             ;   in Loop: Header=BB10_1041 Depth=4
	s_or_b64 exec, exec, s[90:91]
	flat_load_ushort v29, v[3:4] offset:1920 glc slc
	s_waitcnt vmcnt(0) lgkmcnt(0)
	v_lshlrev_b32_e32 v29, 16, v29
	v_mul_f32_e32 v30, v13, v29
	v_and_b32_e32 v29, 0x7f800000, v30
	v_cmp_ne_u32_e32 vcc, s64, v29
                                        ; implicit-def: $vgpr29
	s_and_saveexec_b64 s[90:91], vcc
	s_xor_b64 s[90:91], exec, s[90:91]
; %bb.1102:                             ;   in Loop: Header=BB10_1041 Depth=4
	v_bfe_u32 v29, v30, 16, 1
	v_add3_u32 v29, v30, v29, s65
                                        ; implicit-def: $vgpr30
; %bb.1103:                             ;   in Loop: Header=BB10_1041 Depth=4
	s_andn2_saveexec_b64 s[90:91], s[90:91]
; %bb.1104:                             ;   in Loop: Header=BB10_1041 Depth=4
	v_or_b32_e32 v29, 0x10000, v30
	v_cmp_eq_u32_sdwa vcc, v30, v2 src0_sel:WORD_0 src1_sel:DWORD
	v_cndmask_b32_e32 v29, v29, v30, vcc
; %bb.1105:                             ;   in Loop: Header=BB10_1041 Depth=4
	s_or_b64 exec, exec, s[90:91]
	flat_load_ushort v40, v[8:9] offset:128 glc slc
	flat_load_ushort v55, v[8:9] offset:256 glc slc
	;; [unrolled: 1-line block ×7, first 2 shown]
	flat_load_ushort v32, v[8:9] glc slc
	flat_load_ushort v39, v[8:9] offset:1024 glc slc
	flat_load_ushort v38, v[8:9] offset:1152 glc slc
	;; [unrolled: 1-line block ×8, first 2 shown]
	v_and_b32_e32 v5, 0xffff0000, v5
	s_waitcnt vmcnt(0) lgkmcnt(0)
	v_lshlrev_b32_e32 v32, 16, v32
	v_add_f32_e32 v32, v5, v32
	v_and_b32_e32 v5, 0x7f800000, v32
	v_cmp_ne_u32_e32 vcc, s64, v5
                                        ; implicit-def: $vgpr5
	s_and_saveexec_b64 s[90:91], vcc
	s_xor_b64 s[90:91], exec, s[90:91]
; %bb.1106:                             ;   in Loop: Header=BB10_1041 Depth=4
	v_bfe_u32 v5, v32, 16, 1
	v_add3_u32 v5, v32, v5, s65
                                        ; implicit-def: $vgpr32
; %bb.1107:                             ;   in Loop: Header=BB10_1041 Depth=4
	s_andn2_saveexec_b64 s[90:91], s[90:91]
; %bb.1108:                             ;   in Loop: Header=BB10_1041 Depth=4
	v_or_b32_e32 v5, 0x10000, v32
	v_cmp_eq_u32_sdwa vcc, v32, v2 src0_sel:WORD_0 src1_sel:DWORD
	v_cndmask_b32_e32 v5, v5, v32, vcc
; %bb.1109:                             ;   in Loop: Header=BB10_1041 Depth=4
	s_or_b64 exec, exec, s[90:91]
	v_and_b32_e32 v14, 0xffff0000, v14
	v_lshlrev_b32_e32 v32, 16, v40
	v_add_f32_e32 v32, v14, v32
	v_and_b32_e32 v14, 0x7f800000, v32
	v_cmp_ne_u32_e32 vcc, s64, v14
                                        ; implicit-def: $vgpr14
	s_and_saveexec_b64 s[90:91], vcc
	s_xor_b64 s[90:91], exec, s[90:91]
; %bb.1110:                             ;   in Loop: Header=BB10_1041 Depth=4
	v_bfe_u32 v14, v32, 16, 1
	v_add3_u32 v14, v32, v14, s65
                                        ; implicit-def: $vgpr32
; %bb.1111:                             ;   in Loop: Header=BB10_1041 Depth=4
	s_andn2_saveexec_b64 s[90:91], s[90:91]
; %bb.1112:                             ;   in Loop: Header=BB10_1041 Depth=4
	v_or_b32_e32 v14, 0x10000, v32
	v_cmp_eq_u32_sdwa vcc, v32, v2 src0_sel:WORD_0 src1_sel:DWORD
	v_cndmask_b32_e32 v14, v14, v32, vcc
; %bb.1113:                             ;   in Loop: Header=BB10_1041 Depth=4
	s_or_b64 exec, exec, s[90:91]
	v_and_b32_e32 v15, 0xffff0000, v15
	v_lshlrev_b32_e32 v32, 16, v55
	v_add_f32_e32 v32, v15, v32
	v_and_b32_e32 v15, 0x7f800000, v32
	v_cmp_ne_u32_e32 vcc, s64, v15
                                        ; implicit-def: $vgpr15
	s_and_saveexec_b64 s[90:91], vcc
	s_xor_b64 s[90:91], exec, s[90:91]
; %bb.1114:                             ;   in Loop: Header=BB10_1041 Depth=4
	v_bfe_u32 v15, v32, 16, 1
	v_add3_u32 v15, v32, v15, s65
                                        ; implicit-def: $vgpr32
; %bb.1115:                             ;   in Loop: Header=BB10_1041 Depth=4
	s_andn2_saveexec_b64 s[90:91], s[90:91]
; %bb.1116:                             ;   in Loop: Header=BB10_1041 Depth=4
	v_or_b32_e32 v15, 0x10000, v32
	v_cmp_eq_u32_sdwa vcc, v32, v2 src0_sel:WORD_0 src1_sel:DWORD
	v_cndmask_b32_e32 v15, v15, v32, vcc
; %bb.1117:                             ;   in Loop: Header=BB10_1041 Depth=4
	s_or_b64 exec, exec, s[90:91]
	v_and_b32_e32 v16, 0xffff0000, v16
	v_lshlrev_b32_e32 v32, 16, v54
	v_add_f32_e32 v32, v16, v32
	v_and_b32_e32 v16, 0x7f800000, v32
	v_cmp_ne_u32_e32 vcc, s64, v16
                                        ; implicit-def: $vgpr16
	s_and_saveexec_b64 s[90:91], vcc
	s_xor_b64 s[90:91], exec, s[90:91]
; %bb.1118:                             ;   in Loop: Header=BB10_1041 Depth=4
	v_bfe_u32 v16, v32, 16, 1
	v_add3_u32 v16, v32, v16, s65
                                        ; implicit-def: $vgpr32
; %bb.1119:                             ;   in Loop: Header=BB10_1041 Depth=4
	s_andn2_saveexec_b64 s[90:91], s[90:91]
; %bb.1120:                             ;   in Loop: Header=BB10_1041 Depth=4
	v_or_b32_e32 v16, 0x10000, v32
	v_cmp_eq_u32_sdwa vcc, v32, v2 src0_sel:WORD_0 src1_sel:DWORD
	v_cndmask_b32_e32 v16, v16, v32, vcc
; %bb.1121:                             ;   in Loop: Header=BB10_1041 Depth=4
	s_or_b64 exec, exec, s[90:91]
	v_and_b32_e32 v17, 0xffff0000, v17
	v_lshlrev_b32_e32 v32, 16, v53
	v_add_f32_e32 v32, v17, v32
	v_and_b32_e32 v17, 0x7f800000, v32
	v_cmp_ne_u32_e32 vcc, s64, v17
                                        ; implicit-def: $vgpr17
	s_and_saveexec_b64 s[90:91], vcc
	s_xor_b64 s[90:91], exec, s[90:91]
; %bb.1122:                             ;   in Loop: Header=BB10_1041 Depth=4
	v_bfe_u32 v17, v32, 16, 1
	v_add3_u32 v17, v32, v17, s65
                                        ; implicit-def: $vgpr32
; %bb.1123:                             ;   in Loop: Header=BB10_1041 Depth=4
	s_andn2_saveexec_b64 s[90:91], s[90:91]
; %bb.1124:                             ;   in Loop: Header=BB10_1041 Depth=4
	v_or_b32_e32 v17, 0x10000, v32
	v_cmp_eq_u32_sdwa vcc, v32, v2 src0_sel:WORD_0 src1_sel:DWORD
	v_cndmask_b32_e32 v17, v17, v32, vcc
; %bb.1125:                             ;   in Loop: Header=BB10_1041 Depth=4
	s_or_b64 exec, exec, s[90:91]
	v_and_b32_e32 v18, 0xffff0000, v18
	v_lshlrev_b32_e32 v32, 16, v52
	v_add_f32_e32 v32, v18, v32
	v_and_b32_e32 v18, 0x7f800000, v32
	v_cmp_ne_u32_e32 vcc, s64, v18
                                        ; implicit-def: $vgpr18
	s_and_saveexec_b64 s[90:91], vcc
	s_xor_b64 s[90:91], exec, s[90:91]
; %bb.1126:                             ;   in Loop: Header=BB10_1041 Depth=4
	v_bfe_u32 v18, v32, 16, 1
	v_add3_u32 v18, v32, v18, s65
                                        ; implicit-def: $vgpr32
; %bb.1127:                             ;   in Loop: Header=BB10_1041 Depth=4
	s_andn2_saveexec_b64 s[90:91], s[90:91]
; %bb.1128:                             ;   in Loop: Header=BB10_1041 Depth=4
	v_or_b32_e32 v18, 0x10000, v32
	v_cmp_eq_u32_sdwa vcc, v32, v2 src0_sel:WORD_0 src1_sel:DWORD
	v_cndmask_b32_e32 v18, v18, v32, vcc
; %bb.1129:                             ;   in Loop: Header=BB10_1041 Depth=4
	s_or_b64 exec, exec, s[90:91]
	v_and_b32_e32 v19, 0xffff0000, v19
	v_lshlrev_b32_e32 v32, 16, v51
	v_add_f32_e32 v32, v19, v32
	v_and_b32_e32 v19, 0x7f800000, v32
	v_cmp_ne_u32_e32 vcc, s64, v19
                                        ; implicit-def: $vgpr19
	s_and_saveexec_b64 s[90:91], vcc
	s_xor_b64 s[90:91], exec, s[90:91]
; %bb.1130:                             ;   in Loop: Header=BB10_1041 Depth=4
	v_bfe_u32 v19, v32, 16, 1
	v_add3_u32 v19, v32, v19, s65
                                        ; implicit-def: $vgpr32
; %bb.1131:                             ;   in Loop: Header=BB10_1041 Depth=4
	s_andn2_saveexec_b64 s[90:91], s[90:91]
; %bb.1132:                             ;   in Loop: Header=BB10_1041 Depth=4
	v_or_b32_e32 v19, 0x10000, v32
	v_cmp_eq_u32_sdwa vcc, v32, v2 src0_sel:WORD_0 src1_sel:DWORD
	v_cndmask_b32_e32 v19, v19, v32, vcc
; %bb.1133:                             ;   in Loop: Header=BB10_1041 Depth=4
	s_or_b64 exec, exec, s[90:91]
	v_and_b32_e32 v20, 0xffff0000, v20
	v_lshlrev_b32_e32 v32, 16, v50
	v_add_f32_e32 v32, v20, v32
	v_and_b32_e32 v20, 0x7f800000, v32
	v_cmp_ne_u32_e32 vcc, s64, v20
                                        ; implicit-def: $vgpr20
	s_and_saveexec_b64 s[90:91], vcc
	s_xor_b64 s[90:91], exec, s[90:91]
; %bb.1134:                             ;   in Loop: Header=BB10_1041 Depth=4
	v_bfe_u32 v20, v32, 16, 1
	v_add3_u32 v20, v32, v20, s65
                                        ; implicit-def: $vgpr32
; %bb.1135:                             ;   in Loop: Header=BB10_1041 Depth=4
	s_andn2_saveexec_b64 s[90:91], s[90:91]
; %bb.1136:                             ;   in Loop: Header=BB10_1041 Depth=4
	v_or_b32_e32 v20, 0x10000, v32
	v_cmp_eq_u32_sdwa vcc, v32, v2 src0_sel:WORD_0 src1_sel:DWORD
	v_cndmask_b32_e32 v20, v20, v32, vcc
; %bb.1137:                             ;   in Loop: Header=BB10_1041 Depth=4
	s_or_b64 exec, exec, s[90:91]
	v_and_b32_e32 v21, 0xffff0000, v21
	v_lshlrev_b32_e32 v32, 16, v39
	v_add_f32_e32 v32, v21, v32
	v_and_b32_e32 v21, 0x7f800000, v32
	v_cmp_ne_u32_e32 vcc, s64, v21
                                        ; implicit-def: $vgpr21
	s_and_saveexec_b64 s[90:91], vcc
	s_xor_b64 s[90:91], exec, s[90:91]
; %bb.1138:                             ;   in Loop: Header=BB10_1041 Depth=4
	v_bfe_u32 v21, v32, 16, 1
	v_add3_u32 v21, v32, v21, s65
                                        ; implicit-def: $vgpr32
; %bb.1139:                             ;   in Loop: Header=BB10_1041 Depth=4
	s_andn2_saveexec_b64 s[90:91], s[90:91]
; %bb.1140:                             ;   in Loop: Header=BB10_1041 Depth=4
	v_or_b32_e32 v21, 0x10000, v32
	v_cmp_eq_u32_sdwa vcc, v32, v2 src0_sel:WORD_0 src1_sel:DWORD
	v_cndmask_b32_e32 v21, v21, v32, vcc
; %bb.1141:                             ;   in Loop: Header=BB10_1041 Depth=4
	s_or_b64 exec, exec, s[90:91]
	v_and_b32_e32 v22, 0xffff0000, v22
	v_lshlrev_b32_e32 v32, 16, v38
	v_add_f32_e32 v32, v22, v32
	v_and_b32_e32 v22, 0x7f800000, v32
	v_cmp_ne_u32_e32 vcc, s64, v22
                                        ; implicit-def: $vgpr22
	s_and_saveexec_b64 s[90:91], vcc
	s_xor_b64 s[90:91], exec, s[90:91]
; %bb.1142:                             ;   in Loop: Header=BB10_1041 Depth=4
	v_bfe_u32 v22, v32, 16, 1
	v_add3_u32 v22, v32, v22, s65
                                        ; implicit-def: $vgpr32
; %bb.1143:                             ;   in Loop: Header=BB10_1041 Depth=4
	s_andn2_saveexec_b64 s[90:91], s[90:91]
; %bb.1144:                             ;   in Loop: Header=BB10_1041 Depth=4
	v_or_b32_e32 v22, 0x10000, v32
	v_cmp_eq_u32_sdwa vcc, v32, v2 src0_sel:WORD_0 src1_sel:DWORD
	v_cndmask_b32_e32 v22, v22, v32, vcc
; %bb.1145:                             ;   in Loop: Header=BB10_1041 Depth=4
	s_or_b64 exec, exec, s[90:91]
	v_and_b32_e32 v23, 0xffff0000, v23
	v_lshlrev_b32_e32 v32, 16, v37
	v_add_f32_e32 v32, v23, v32
	v_and_b32_e32 v23, 0x7f800000, v32
	v_cmp_ne_u32_e32 vcc, s64, v23
                                        ; implicit-def: $vgpr23
	s_and_saveexec_b64 s[90:91], vcc
	s_xor_b64 s[90:91], exec, s[90:91]
; %bb.1146:                             ;   in Loop: Header=BB10_1041 Depth=4
	v_bfe_u32 v23, v32, 16, 1
	v_add3_u32 v23, v32, v23, s65
                                        ; implicit-def: $vgpr32
; %bb.1147:                             ;   in Loop: Header=BB10_1041 Depth=4
	s_andn2_saveexec_b64 s[90:91], s[90:91]
; %bb.1148:                             ;   in Loop: Header=BB10_1041 Depth=4
	v_or_b32_e32 v23, 0x10000, v32
	v_cmp_eq_u32_sdwa vcc, v32, v2 src0_sel:WORD_0 src1_sel:DWORD
	v_cndmask_b32_e32 v23, v23, v32, vcc
; %bb.1149:                             ;   in Loop: Header=BB10_1041 Depth=4
	s_or_b64 exec, exec, s[90:91]
	v_and_b32_e32 v24, 0xffff0000, v24
	v_lshlrev_b32_e32 v32, 16, v36
	v_add_f32_e32 v32, v24, v32
	v_and_b32_e32 v24, 0x7f800000, v32
	v_cmp_ne_u32_e32 vcc, s64, v24
                                        ; implicit-def: $vgpr24
	s_and_saveexec_b64 s[90:91], vcc
	s_xor_b64 s[90:91], exec, s[90:91]
; %bb.1150:                             ;   in Loop: Header=BB10_1041 Depth=4
	v_bfe_u32 v24, v32, 16, 1
	v_add3_u32 v24, v32, v24, s65
                                        ; implicit-def: $vgpr32
; %bb.1151:                             ;   in Loop: Header=BB10_1041 Depth=4
	s_andn2_saveexec_b64 s[90:91], s[90:91]
; %bb.1152:                             ;   in Loop: Header=BB10_1041 Depth=4
	v_or_b32_e32 v24, 0x10000, v32
	v_cmp_eq_u32_sdwa vcc, v32, v2 src0_sel:WORD_0 src1_sel:DWORD
	v_cndmask_b32_e32 v24, v24, v32, vcc
; %bb.1153:                             ;   in Loop: Header=BB10_1041 Depth=4
	s_or_b64 exec, exec, s[90:91]
	v_and_b32_e32 v25, 0xffff0000, v25
	v_lshlrev_b32_e32 v32, 16, v35
	v_add_f32_e32 v32, v25, v32
	v_and_b32_e32 v25, 0x7f800000, v32
	v_cmp_ne_u32_e32 vcc, s64, v25
                                        ; implicit-def: $vgpr25
	s_and_saveexec_b64 s[90:91], vcc
	s_xor_b64 s[90:91], exec, s[90:91]
; %bb.1154:                             ;   in Loop: Header=BB10_1041 Depth=4
	v_bfe_u32 v25, v32, 16, 1
	v_add3_u32 v25, v32, v25, s65
                                        ; implicit-def: $vgpr32
; %bb.1155:                             ;   in Loop: Header=BB10_1041 Depth=4
	s_andn2_saveexec_b64 s[90:91], s[90:91]
; %bb.1156:                             ;   in Loop: Header=BB10_1041 Depth=4
	v_or_b32_e32 v25, 0x10000, v32
	v_cmp_eq_u32_sdwa vcc, v32, v2 src0_sel:WORD_0 src1_sel:DWORD
	v_cndmask_b32_e32 v25, v25, v32, vcc
; %bb.1157:                             ;   in Loop: Header=BB10_1041 Depth=4
	s_or_b64 exec, exec, s[90:91]
	v_and_b32_e32 v27, 0xffff0000, v27
	v_lshlrev_b32_e32 v32, 16, v34
	v_add_f32_e32 v32, v27, v32
	v_and_b32_e32 v27, 0x7f800000, v32
	v_cmp_ne_u32_e32 vcc, s64, v27
                                        ; implicit-def: $vgpr27
	s_and_saveexec_b64 s[90:91], vcc
	s_xor_b64 s[90:91], exec, s[90:91]
; %bb.1158:                             ;   in Loop: Header=BB10_1041 Depth=4
	v_bfe_u32 v27, v32, 16, 1
	v_add3_u32 v27, v32, v27, s65
                                        ; implicit-def: $vgpr32
; %bb.1159:                             ;   in Loop: Header=BB10_1041 Depth=4
	s_andn2_saveexec_b64 s[90:91], s[90:91]
; %bb.1160:                             ;   in Loop: Header=BB10_1041 Depth=4
	v_or_b32_e32 v27, 0x10000, v32
	v_cmp_eq_u32_sdwa vcc, v32, v2 src0_sel:WORD_0 src1_sel:DWORD
	v_cndmask_b32_e32 v27, v27, v32, vcc
; %bb.1161:                             ;   in Loop: Header=BB10_1041 Depth=4
	s_or_b64 exec, exec, s[90:91]
	v_and_b32_e32 v28, 0xffff0000, v28
	v_lshlrev_b32_e32 v31, 16, v31
	v_add_f32_e32 v31, v28, v31
	v_and_b32_e32 v28, 0x7f800000, v31
	v_cmp_ne_u32_e32 vcc, s64, v28
                                        ; implicit-def: $vgpr28
	s_and_saveexec_b64 s[90:91], vcc
	s_xor_b64 s[90:91], exec, s[90:91]
; %bb.1162:                             ;   in Loop: Header=BB10_1041 Depth=4
	v_bfe_u32 v28, v31, 16, 1
	v_add3_u32 v28, v31, v28, s65
                                        ; implicit-def: $vgpr31
; %bb.1163:                             ;   in Loop: Header=BB10_1041 Depth=4
	s_andn2_saveexec_b64 s[90:91], s[90:91]
; %bb.1164:                             ;   in Loop: Header=BB10_1041 Depth=4
	v_or_b32_e32 v28, 0x10000, v31
	v_cmp_eq_u32_sdwa vcc, v31, v2 src0_sel:WORD_0 src1_sel:DWORD
	v_cndmask_b32_e32 v28, v28, v31, vcc
; %bb.1165:                             ;   in Loop: Header=BB10_1041 Depth=4
	s_or_b64 exec, exec, s[90:91]
	v_and_b32_e32 v29, 0xffff0000, v29
	v_lshlrev_b32_e32 v30, 16, v30
	v_add_f32_e32 v30, v29, v30
	v_and_b32_e32 v29, 0x7f800000, v30
	v_cmp_ne_u32_e32 vcc, s64, v29
                                        ; implicit-def: $vgpr29
	s_and_saveexec_b64 s[90:91], vcc
	s_xor_b64 s[90:91], exec, s[90:91]
; %bb.1166:                             ;   in Loop: Header=BB10_1041 Depth=4
	v_bfe_u32 v29, v30, 16, 1
	v_add3_u32 v29, v30, v29, s65
                                        ; implicit-def: $vgpr30
; %bb.1167:                             ;   in Loop: Header=BB10_1041 Depth=4
	s_andn2_saveexec_b64 s[90:91], s[90:91]
	s_cbranch_execz .LBB10_1040
; %bb.1168:                             ;   in Loop: Header=BB10_1041 Depth=4
	v_or_b32_e32 v29, 0x10000, v30
	v_cmp_eq_u32_sdwa vcc, v30, v2 src0_sel:WORD_0 src1_sel:DWORD
	v_cndmask_b32_e32 v29, v29, v30, vcc
	s_branch .LBB10_1040
.LBB10_1169:                            ;   in Loop: Header=BB10_628 Depth=3
	s_or_b64 exec, exec, s[88:89]
.LBB10_1170:                            ;   in Loop: Header=BB10_628 Depth=3
	s_or_b64 exec, exec, s[78:79]
	v_lshlrev_b32_e32 v3, 11, v12
	v_cmp_ne_u32_e32 vcc, v47, v3
	s_and_b64 exec, exec, vcc
	s_cbranch_execz .LBB10_1182
; %bb.1171:                             ;   in Loop: Header=BB10_628 Depth=3
	v_lshlrev_b32_e32 v4, 6, v6
	v_sub_u32_e32 v1, v1, v4
	v_lshlrev_b32_e32 v4, 6, v7
	v_sub_u32_e32 v1, v1, v4
	v_ashrrev_i32_e32 v4, 31, v1
	v_lshrrev_b32_e32 v4, 26, v4
	v_add_u32_e32 v4, v1, v4
	v_and_b32_e32 v5, 0x7fffffc0, v4
	v_sub_u32_e32 v1, v1, v5
	v_lshlrev_b32_e32 v4, 1, v4
	v_and_b32_e32 v4, 0xffffff80, v4
	v_lshlrev_b32_e32 v1, 1, v1
	v_add3_u32 v3, v4, v1, v3
	v_sub_u32_e32 v1, v47, v3
	v_cmp_lt_i32_e32 vcc, 1, v1
	s_and_b64 exec, exec, vcc
	s_cbranch_execz .LBB10_1182
; %bb.1172:                             ;   in Loop: Header=BB10_628 Depth=3
	v_add_u32_e32 v0, v3, v0
	s_trap 2
	ds_read_b64 v[5:6], v0
	v_ashrrev_i32_e32 v7, 31, v0
	v_add_co_u32_e32 v3, vcc, v0, v56
	v_addc_co_u32_e32 v4, vcc, v7, v57, vcc
	s_waitcnt lgkmcnt(0)
	v_add_co_u32_e32 v8, vcc, v5, v0
	v_addc_co_u32_e32 v9, vcc, v6, v7, vcc
	v_add_co_u32_e32 v10, vcc, v0, v44
	ds_read_b32 v0, v0
	v_addc_co_u32_e32 v11, vcc, v7, v45, vcc
	s_mov_b64 s[78:79], 0
	s_waitcnt lgkmcnt(0)
	v_lshlrev_b32_e32 v0, 16, v0
	s_branch .LBB10_1174
.LBB10_1173:                            ;   in Loop: Header=BB10_1174 Depth=4
	s_or_b64 exec, exec, s[88:89]
	buffer_load_dword v5, off, s[0:3], s33 offset:96 ; 4-byte Folded Reload
	s_waitcnt vmcnt(0)
	v_add_co_u32_e32 v3, vcc, v3, v5
	v_addc_co_u32_e32 v4, vcc, 0, v4, vcc
	v_add_co_u32_e32 v8, vcc, v8, v5
	v_addc_co_u32_e32 v9, vcc, 0, v9, vcc
	v_sub_u32_e32 v1, v1, v5
	v_cmp_gt_i32_e32 vcc, 2, v1
	flat_store_short_d16_hi v[10:11], v6 glc slc
	s_or_b64 s[78:79], vcc, s[78:79]
	v_add_co_u32_e32 v10, vcc, v10, v5
	v_addc_co_u32_e32 v11, vcc, 0, v11, vcc
	s_andn2_b64 exec, exec, s[78:79]
	s_cbranch_execz .LBB10_1182
.LBB10_1174:                            ;   Parent Loop BB10_47 Depth=1
                                        ;     Parent Loop BB10_625 Depth=2
                                        ;       Parent Loop BB10_628 Depth=3
                                        ; =>      This Inner Loop Header: Depth=4
	flat_load_ushort v5, v[3:4] glc slc
	s_waitcnt vmcnt(0) lgkmcnt(0)
	v_lshlrev_b32_e32 v5, 16, v5
	v_mul_f32_e32 v5, v0, v5
	v_and_b32_e32 v6, 0x7f800000, v5
	v_cmp_ne_u32_e32 vcc, s64, v6
                                        ; implicit-def: $vgpr6
	s_and_saveexec_b64 s[88:89], vcc
	s_xor_b64 s[88:89], exec, s[88:89]
; %bb.1175:                             ;   in Loop: Header=BB10_1174 Depth=4
	v_bfe_u32 v6, v5, 16, 1
	v_add3_u32 v6, v5, v6, s65
                                        ; implicit-def: $vgpr5
; %bb.1176:                             ;   in Loop: Header=BB10_1174 Depth=4
	s_andn2_saveexec_b64 s[88:89], s[88:89]
; %bb.1177:                             ;   in Loop: Header=BB10_1174 Depth=4
	v_or_b32_e32 v6, 0x10000, v5
	v_cmp_eq_u32_sdwa vcc, v5, v2 src0_sel:WORD_0 src1_sel:DWORD
	v_cndmask_b32_e32 v6, v6, v5, vcc
; %bb.1178:                             ;   in Loop: Header=BB10_1174 Depth=4
	s_or_b64 exec, exec, s[88:89]
	flat_load_ushort v5, v[8:9] glc slc
	v_and_b32_e32 v6, 0xffff0000, v6
	s_waitcnt vmcnt(0) lgkmcnt(0)
	v_lshlrev_b32_e32 v5, 16, v5
	v_add_f32_e32 v5, v6, v5
	v_and_b32_e32 v6, 0x7f800000, v5
	v_cmp_ne_u32_e32 vcc, s64, v6
                                        ; implicit-def: $vgpr6
	s_and_saveexec_b64 s[88:89], vcc
	s_xor_b64 s[88:89], exec, s[88:89]
; %bb.1179:                             ;   in Loop: Header=BB10_1174 Depth=4
	v_bfe_u32 v6, v5, 16, 1
	v_add3_u32 v6, v5, v6, s65
                                        ; implicit-def: $vgpr5
; %bb.1180:                             ;   in Loop: Header=BB10_1174 Depth=4
	s_andn2_saveexec_b64 s[88:89], s[88:89]
	s_cbranch_execz .LBB10_1173
; %bb.1181:                             ;   in Loop: Header=BB10_1174 Depth=4
	v_or_b32_e32 v6, 0x10000, v5
	v_cmp_eq_u32_sdwa vcc, v5, v2 src0_sel:WORD_0 src1_sel:DWORD
	v_cndmask_b32_e32 v6, v6, v5, vcc
	s_branch .LBB10_1173
.LBB10_1182:                            ;   in Loop: Header=BB10_628 Depth=3
	s_or_b64 exec, exec, s[28:29]
	s_waitcnt vmcnt(0)
	v_cmp_lt_i32_e64 s[28:29], 0, v43
	s_and_saveexec_b64 s[78:79], s[10:11]
	s_cbranch_execz .LBB10_703
.LBB10_1183:                            ;   in Loop: Header=BB10_628 Depth=3
	s_and_saveexec_b64 s[88:89], s[56:57]
	s_xor_b64 s[88:89], exec, s[88:89]
	s_cbranch_execz .LBB10_1198
; %bb.1184:                             ;   in Loop: Header=BB10_628 Depth=3
	s_and_saveexec_b64 s[90:91], s[16:17]
	s_cbranch_execz .LBB10_1197
; %bb.1185:                             ;   in Loop: Header=BB10_628 Depth=3
	s_mov_b64 s[94:95], exec
	v_mbcnt_lo_u32_b32 v0, s94, 0
	v_mbcnt_hi_u32_b32 v0, s95, v0
	v_cmp_eq_u32_e32 vcc, 0, v0
	s_waitcnt vmcnt(0) lgkmcnt(0)
	buffer_wbinvl1_vol
	s_and_saveexec_b64 s[92:93], vcc
	s_cbranch_execz .LBB10_1187
; %bb.1186:                             ;   in Loop: Header=BB10_628 Depth=3
	s_bcnt1_i32_b64 s94, s[94:95]
	v_mov_b32_e32 v0, s94
	v_mov_b32_e32 v1, v2
	ds_add_u64 v0, v[0:1]
	s_trap 2
.LBB10_1187:                            ;   in Loop: Header=BB10_628 Depth=3
	s_or_b64 exec, exec, s[92:93]
	s_trap 2
	ds_read_b64 v[0:1], v0
	s_waitcnt lgkmcnt(0)
	buffer_load_dword v3, off, s[0:3], s33 offset:72 ; 4-byte Folded Reload
	buffer_load_dword v4, off, s[0:3], s33 offset:76 ; 4-byte Folded Reload
	;; [unrolled: 1-line block ×3, first 2 shown]
	s_waitcnt vmcnt(0)
	v_add_co_u32_e32 v3, vcc, v3, v5
	v_addc_co_u32_e32 v4, vcc, 0, v4, vcc
	buffer_store_dword v3, off, s[0:3], s33 offset:72 ; 4-byte Folded Spill
	s_nop 0
	buffer_store_dword v4, off, s[0:3], s33 offset:76 ; 4-byte Folded Spill
	v_cmp_lt_u64_e32 vcc, v[0:1], v[3:4]
	s_and_saveexec_b64 s[92:93], vcc
	s_cbranch_execz .LBB10_1196
; %bb.1188:                             ;   in Loop: Header=BB10_628 Depth=3
	s_mov_b32 s48, 0
	s_mov_b64 s[94:95], 0
                                        ; implicit-def: $sgpr30_sgpr31
                                        ; implicit-def: $sgpr34_sgpr35
	s_branch .LBB10_1190
.LBB10_1189:                            ;   in Loop: Header=BB10_1190 Depth=4
	s_or_b64 exec, exec, s[38:39]
	s_and_b64 vcc, exec, vcc
	s_or_b64 s[94:95], vcc, s[94:95]
	s_andn2_b64 vcc, s[30:31], exec
	s_and_b64 s[30:31], s[34:35], exec
	s_or_b64 s[30:31], vcc, s[30:31]
	s_andn2_b64 exec, exec, s[94:95]
	s_cbranch_execz .LBB10_1194
.LBB10_1190:                            ;   Parent Loop BB10_47 Depth=1
                                        ;     Parent Loop BB10_625 Depth=2
                                        ;       Parent Loop BB10_628 Depth=3
                                        ; =>      This Inner Loop Header: Depth=4
	s_add_i32 s48, s48, 1
	s_cmpk_lg_i32 s48, 0x2710
	s_cselect_b64 s[36:37], -1, 0
	s_and_b64 vcc, exec, s[36:37]
	s_cbranch_vccz .LBB10_1192
; %bb.1191:                             ;   in Loop: Header=BB10_1190 Depth=4
	s_mov_b64 vcc, -1
	s_or_b64 s[34:35], s[34:35], exec
	s_and_saveexec_b64 s[38:39], s[36:37]
	s_cbranch_execz .LBB10_1189
	s_branch .LBB10_1193
.LBB10_1192:                            ;   in Loop: Header=BB10_1190 Depth=4
	s_trap 2
	ds_read_b64 v[0:1], v0
	s_andn2_b64 s[36:37], s[36:37], exec
	s_mov_b32 s48, 0
	s_waitcnt vmcnt(0) lgkmcnt(0)
	flat_load_dword v0, v[0:1] glc
	s_waitcnt vmcnt(0) lgkmcnt(0)
	buffer_wbinvl1_vol
	v_cmp_eq_u32_e32 vcc, 0, v0
	s_and_b64 vcc, vcc, exec
	s_or_b64 s[36:37], s[36:37], vcc
	s_mov_b64 vcc, -1
	s_or_b64 s[34:35], s[34:35], exec
	s_and_saveexec_b64 s[38:39], s[36:37]
	s_cbranch_execz .LBB10_1189
.LBB10_1193:                            ;   in Loop: Header=BB10_1190 Depth=4
	s_sleep 1
	s_trap 2
	ds_read_b64 v[0:1], v0
	s_waitcnt lgkmcnt(0)
	buffer_load_dword v3, off, s[0:3], s33 offset:72 ; 4-byte Folded Reload
	buffer_load_dword v4, off, s[0:3], s33 offset:76 ; 4-byte Folded Reload
	s_andn2_b64 s[34:35], s[34:35], exec
	s_waitcnt vmcnt(0)
	v_cmp_ge_u64_e32 vcc, v[0:1], v[3:4]
	s_orn2_b64 vcc, vcc, exec
	s_branch .LBB10_1189
.LBB10_1194:                            ;   in Loop: Header=BB10_628 Depth=3
	s_or_b64 exec, exec, s[94:95]
	s_and_saveexec_b64 s[94:95], s[30:31]
	s_xor_b64 s[94:95], exec, s[94:95]
	s_cbranch_execz .LBB10_1196
; %bb.1195:                             ;   in Loop: Header=BB10_628 Depth=3
	v_mov_b32_e32 v0, 1
	ds_write_b32 v0, v0
	s_trap 2
.LBB10_1196:                            ;   in Loop: Header=BB10_628 Depth=3
	s_or_b64 exec, exec, s[92:93]
	;;#ASMSTART
	s_wakeup
	;;#ASMEND
.LBB10_1197:                            ;   in Loop: Header=BB10_628 Depth=3
	s_or_b64 exec, exec, s[90:91]
.LBB10_1198:                            ;   in Loop: Header=BB10_628 Depth=3
	s_andn2_saveexec_b64 s[88:89], s[88:89]
	s_cbranch_execz .LBB10_1200
; %bb.1199:                             ;   in Loop: Header=BB10_628 Depth=3
	s_waitcnt vmcnt(0) lgkmcnt(0)
	buffer_wbinvl1_vol
	s_barrier
.LBB10_1200:                            ;   in Loop: Header=BB10_628 Depth=3
	s_or_b64 exec, exec, s[88:89]
	s_or_b64 exec, exec, s[78:79]
                                        ; implicit-def: $vgpr0
	s_and_saveexec_b64 s[78:79], s[24:25]
	s_xor_b64 s[78:79], exec, s[78:79]
	s_cbranch_execnz .LBB10_704
.LBB10_1201:                            ;   in Loop: Header=BB10_628 Depth=3
	s_andn2_saveexec_b64 s[28:29], s[78:79]
	s_cbranch_execz .LBB10_1220
.LBB10_1202:                            ;   in Loop: Header=BB10_628 Depth=3
	s_and_saveexec_b64 s[78:79], s[56:57]
	s_xor_b64 s[78:79], exec, s[78:79]
	s_cbranch_execz .LBB10_1217
; %bb.1203:                             ;   in Loop: Header=BB10_628 Depth=3
	s_and_saveexec_b64 s[88:89], s[16:17]
	s_cbranch_execz .LBB10_1216
; %bb.1204:                             ;   in Loop: Header=BB10_628 Depth=3
	s_mov_b64 s[92:93], exec
	v_mbcnt_lo_u32_b32 v0, s92, 0
	v_mbcnt_hi_u32_b32 v0, s93, v0
	v_cmp_eq_u32_e32 vcc, 0, v0
	;;#ASMSTART
	s_waitcnt lgkmcnt(0) vmcnt(0)
	;;#ASMEND
	s_and_saveexec_b64 s[90:91], vcc
	s_cbranch_execz .LBB10_1206
; %bb.1205:                             ;   in Loop: Header=BB10_628 Depth=3
	s_bcnt1_i32_b64 s92, s[92:93]
	v_mov_b32_e32 v0, s92
	v_mov_b32_e32 v1, v2
	s_waitcnt lgkmcnt(0)
	ds_add_u64 v0, v[0:1]
	s_trap 2
.LBB10_1206:                            ;   in Loop: Header=BB10_628 Depth=3
	s_or_b64 exec, exec, s[90:91]
	s_trap 2
	ds_read_b64 v[0:1], v0
	s_waitcnt lgkmcnt(0)
	buffer_load_dword v3, off, s[0:3], s33 offset:72 ; 4-byte Folded Reload
	buffer_load_dword v4, off, s[0:3], s33 offset:76 ; 4-byte Folded Reload
	;; [unrolled: 1-line block ×3, first 2 shown]
	s_waitcnt vmcnt(0)
	v_add_co_u32_e32 v3, vcc, v3, v5
	v_addc_co_u32_e32 v4, vcc, 0, v4, vcc
	buffer_store_dword v3, off, s[0:3], s33 offset:72 ; 4-byte Folded Spill
	s_nop 0
	buffer_store_dword v4, off, s[0:3], s33 offset:76 ; 4-byte Folded Spill
	v_cmp_lt_u64_e32 vcc, v[0:1], v[3:4]
	s_and_saveexec_b64 s[90:91], vcc
	s_cbranch_execz .LBB10_1215
; %bb.1207:                             ;   in Loop: Header=BB10_628 Depth=3
	s_mov_b32 s38, 0
	s_mov_b64 s[92:93], 0
                                        ; implicit-def: $sgpr94_sgpr95
                                        ; implicit-def: $sgpr30_sgpr31
	s_branch .LBB10_1209
.LBB10_1208:                            ;   in Loop: Header=BB10_1209 Depth=4
	s_or_b64 exec, exec, s[36:37]
	s_and_b64 vcc, exec, vcc
	s_or_b64 s[92:93], vcc, s[92:93]
	s_andn2_b64 s[94:95], s[94:95], exec
	s_and_b64 vcc, s[30:31], exec
	s_or_b64 s[94:95], s[94:95], vcc
	s_andn2_b64 exec, exec, s[92:93]
	s_cbranch_execz .LBB10_1213
.LBB10_1209:                            ;   Parent Loop BB10_47 Depth=1
                                        ;     Parent Loop BB10_625 Depth=2
                                        ;       Parent Loop BB10_628 Depth=3
                                        ; =>      This Inner Loop Header: Depth=4
	s_add_i32 s38, s38, 1
	s_cmpk_lg_i32 s38, 0x2710
	s_cselect_b64 s[34:35], -1, 0
	s_and_b64 vcc, exec, s[34:35]
	s_cbranch_vccz .LBB10_1211
; %bb.1210:                             ;   in Loop: Header=BB10_1209 Depth=4
	s_mov_b64 vcc, -1
	s_or_b64 s[30:31], s[30:31], exec
	s_and_saveexec_b64 s[36:37], s[34:35]
	s_cbranch_execz .LBB10_1208
	s_branch .LBB10_1212
.LBB10_1211:                            ;   in Loop: Header=BB10_1209 Depth=4
	s_trap 2
	ds_read_b64 v[0:1], v0
	s_andn2_b64 s[34:35], s[34:35], exec
	s_mov_b32 s38, 0
	s_waitcnt vmcnt(0) lgkmcnt(0)
	flat_load_dword v0, v[0:1] glc
	s_waitcnt vmcnt(0) lgkmcnt(0)
	buffer_wbinvl1_vol
	v_cmp_eq_u32_e32 vcc, 0, v0
	s_and_b64 vcc, vcc, exec
	s_or_b64 s[34:35], s[34:35], vcc
	s_mov_b64 vcc, -1
	s_or_b64 s[30:31], s[30:31], exec
	s_and_saveexec_b64 s[36:37], s[34:35]
	s_cbranch_execz .LBB10_1208
.LBB10_1212:                            ;   in Loop: Header=BB10_1209 Depth=4
	s_sleep 1
	s_trap 2
	ds_read_b64 v[0:1], v0
	s_waitcnt lgkmcnt(0)
	buffer_load_dword v3, off, s[0:3], s33 offset:72 ; 4-byte Folded Reload
	buffer_load_dword v4, off, s[0:3], s33 offset:76 ; 4-byte Folded Reload
	s_andn2_b64 s[30:31], s[30:31], exec
	s_waitcnt vmcnt(0)
	v_cmp_ge_u64_e32 vcc, v[0:1], v[3:4]
	s_orn2_b64 vcc, vcc, exec
	s_branch .LBB10_1208
.LBB10_1213:                            ;   in Loop: Header=BB10_628 Depth=3
	s_or_b64 exec, exec, s[92:93]
	s_and_saveexec_b64 s[92:93], s[94:95]
	s_xor_b64 s[92:93], exec, s[92:93]
	s_cbranch_execz .LBB10_1215
; %bb.1214:                             ;   in Loop: Header=BB10_628 Depth=3
	v_mov_b32_e32 v0, 1
	ds_write_b32 v0, v0
	s_trap 2
.LBB10_1215:                            ;   in Loop: Header=BB10_628 Depth=3
	s_or_b64 exec, exec, s[90:91]
	;;#ASMSTART
	s_wakeup
	;;#ASMEND
.LBB10_1216:                            ;   in Loop: Header=BB10_628 Depth=3
	s_or_b64 exec, exec, s[88:89]
.LBB10_1217:                            ;   in Loop: Header=BB10_628 Depth=3
	s_andn2_saveexec_b64 s[78:79], s[78:79]
	s_cbranch_execz .LBB10_1219
; %bb.1218:                             ;   in Loop: Header=BB10_628 Depth=3
	;;#ASMSTART
	s_waitcnt lgkmcnt(0) vmcnt(0)
	;;#ASMEND
	s_waitcnt vmcnt(0) lgkmcnt(0)
	s_barrier
.LBB10_1219:                            ;   in Loop: Header=BB10_628 Depth=3
	s_or_b64 exec, exec, s[78:79]
	buffer_load_dword v0, off, s[0:3], s33 offset:68 ; 4-byte Folded Reload
	s_waitcnt vmcnt(0)
	v_and_b32_e32 v0, 16, v0
.LBB10_1220:                            ;   in Loop: Header=BB10_628 Depth=3
	s_or_b64 exec, exec, s[28:29]
	v_cmp_ne_u32_e32 vcc, 0, v0
	s_xor_b64 s[28:29], s[12:13], -1
	s_and_b64 s[78:79], vcc, s[28:29]
	s_and_saveexec_b64 s[28:29], s[78:79]
	s_cbranch_execz .LBB10_1222
; %bb.1221:                             ;   in Loop: Header=BB10_628 Depth=3
	buffer_load_dword v0, off, s[0:3], s33 offset:128 ; 4-byte Folded Reload
	buffer_load_dword v1, off, s[0:3], s33 offset:132 ; 4-byte Folded Reload
	v_mov_b32_e32 v3, 1
	s_waitcnt vmcnt(0)
	flat_store_dword v[0:1], v3
.LBB10_1222:                            ;   in Loop: Header=BB10_628 Depth=3
	s_or_b64 exec, exec, s[28:29]
	buffer_load_dword v0, off, s[0:3], s33 offset:68 ; 4-byte Folded Reload
	s_waitcnt vmcnt(0)
	v_and_b32_e32 v0, 48, v0
	v_cmp_ne_u32_e32 vcc, 0, v0
	s_and_saveexec_b64 s[28:29], vcc
	s_cbranch_execz .LBB10_627
; %bb.1223:                             ;   in Loop: Header=BB10_628 Depth=3
	buffer_load_dword v3, off, s[0:3], s33 offset:80 ; 4-byte Folded Reload
	buffer_load_dword v4, off, s[0:3], s33 offset:84 ; 4-byte Folded Reload
	;; [unrolled: 1-line block ×4, first 2 shown]
	s_waitcnt vmcnt(0)
	v_add_co_u32_e32 v3, vcc, 2, v3
	v_addc_co_u32_e32 v4, vcc, 0, v4, vcc
	buffer_store_dword v3, off, s[0:3], s33 offset:80 ; 4-byte Folded Spill
	s_nop 0
	buffer_store_dword v4, off, s[0:3], s33 offset:84 ; 4-byte Folded Spill
	flat_store_dwordx2 v[0:1], v[3:4]
	s_branch .LBB10_627
.LBB10_1224:                            ;   in Loop: Header=BB10_625 Depth=2
	s_or_b64 exec, exec, s[42:43]
.LBB10_1225:                            ;   in Loop: Header=BB10_625 Depth=2
	s_or_b64 exec, exec, s[40:41]
	v_cmp_gt_i32_e32 vcc, 2, v0
	s_and_saveexec_b64 s[40:41], vcc
	s_cbranch_execz .LBB10_624
; %bb.1226:                             ;   in Loop: Header=BB10_625 Depth=2
	v_cmp_eq_u32_e64 s[76:77], 0, v0
	s_mov_b64 s[42:43], 0
	s_branch .LBB10_1228
.LBB10_1227:                            ;   in Loop: Header=BB10_1228 Depth=3
	s_or_b64 exec, exec, s[28:29]
	v_add_u32_e32 v46, v26, v46
	s_mov_b64 s[76:77], 0
	s_andn2_b64 exec, exec, s[42:43]
	s_cbranch_execz .LBB10_623
.LBB10_1228:                            ;   Parent Loop BB10_47 Depth=1
                                        ;     Parent Loop BB10_625 Depth=2
                                        ; =>    This Loop Header: Depth=3
                                        ;         Child Loop BB10_1234 Depth 4
                                        ;         Child Loop BB10_1262 Depth 4
	;; [unrolled: 1-line block ×3, first 2 shown]
	v_sub_u32_e32 v0, v33, v46
	v_min_i32_e32 v26, v26, v0
	buffer_load_dword v0, off, s[0:3], s33 offset:68 ; 4-byte Folded Reload
	s_waitcnt vmcnt(0)
	v_and_b32_e32 v0, 12, v0
	v_cmp_ne_u32_e32 vcc, 0, v0
	s_and_saveexec_b64 s[78:79], vcc
	s_cbranch_execz .LBB10_1254
; %bb.1229:                             ;   in Loop: Header=BB10_1228 Depth=3
	buffer_load_dword v0, off, s[0:3], s33 offset:68 ; 4-byte Folded Reload
	buffer_load_dword v3, off, s[0:3], s33 offset:80 ; 4-byte Folded Reload
	;; [unrolled: 1-line block ×3, first 2 shown]
	s_waitcnt vmcnt(0)
	v_and_b32_e32 v0, 8, v0
	s_waitcnt lgkmcnt(0)
	v_add_co_u32_e32 v5, vcc, v48, v0
	v_addc_co_u32_e32 v6, vcc, 0, v49, vcc
	v_add_co_u32_e32 v3, vcc, 2, v3
	v_addc_co_u32_e32 v4, vcc, 0, v4, vcc
	v_cmp_lt_u64_e32 vcc, v[5:6], v[3:4]
	s_and_saveexec_b64 s[88:89], vcc
	s_cbranch_execz .LBB10_1241
; %bb.1230:                             ;   in Loop: Header=BB10_1228 Depth=3
	buffer_load_dword v1, off, s[0:3], s33 offset:68 ; 4-byte Folded Reload
	s_mov_b32 s86, 0
	s_mov_b64 s[90:91], 0
                                        ; implicit-def: $sgpr92_sgpr93
                                        ; implicit-def: $sgpr94_sgpr95
                                        ; implicit-def: $sgpr30_sgpr31
	s_waitcnt vmcnt(0)
	v_and_b32_e32 v1, 64, v1
	v_cmp_eq_u32_e32 vcc, 0, v1
	s_branch .LBB10_1234
.LBB10_1231:                            ;   in Loop: Header=BB10_1234 Depth=4
	s_waitcnt vmcnt(0) lgkmcnt(0)
	v_add_co_u32_e64 v5, s[28:29], v48, v0
	v_addc_co_u32_e64 v6, s[28:29], 0, v49, s[28:29]
	v_cmp_ge_u64_e64 s[28:29], v[5:6], v[3:4]
	s_or_b64 s[38:39], s[38:39], exec
	s_orn2_b64 s[36:37], s[28:29], exec
.LBB10_1232:                            ;   in Loop: Header=BB10_1234 Depth=4
	s_or_b64 exec, exec, s[50:51]
	s_andn2_b64 s[28:29], s[30:31], exec
	s_and_b64 s[30:31], s[38:39], exec
	s_or_b64 s[30:31], s[28:29], s[30:31]
	s_andn2_b64 s[28:29], s[94:95], exec
	s_and_b64 s[94:95], s[36:37], exec
	s_or_b64 s[94:95], s[28:29], s[94:95]
.LBB10_1233:                            ;   in Loop: Header=BB10_1234 Depth=4
	s_or_b64 exec, exec, s[34:35]
	s_and_b64 s[28:29], exec, s[94:95]
	s_or_b64 s[90:91], s[28:29], s[90:91]
	s_andn2_b64 s[28:29], s[92:93], exec
	s_and_b64 s[92:93], s[30:31], exec
	s_or_b64 s[92:93], s[28:29], s[92:93]
	s_andn2_b64 exec, exec, s[90:91]
	s_cbranch_execz .LBB10_1238
.LBB10_1234:                            ;   Parent Loop BB10_47 Depth=1
                                        ;     Parent Loop BB10_625 Depth=2
                                        ;       Parent Loop BB10_1228 Depth=3
                                        ; =>      This Inner Loop Header: Depth=4
	s_sleep 1
	buffer_load_dword v5, off, s[0:3], s33 offset:60 ; 4-byte Folded Reload
	buffer_load_dword v6, off, s[0:3], s33 offset:64 ; 4-byte Folded Reload
	s_or_b64 s[30:31], s[30:31], exec
	s_or_b64 s[94:95], s[94:95], exec
                                        ; implicit-def: $vgpr1
	s_waitcnt vmcnt(0) lgkmcnt(0)
	flat_load_dwordx2 v[48:49], v[5:6] glc
	s_and_saveexec_b64 s[34:35], vcc
	s_cbranch_execz .LBB10_1233
; %bb.1235:                             ;   in Loop: Header=BB10_1234 Depth=4
	s_cmpk_lt_i32 s86, 0x270f
	s_cselect_b64 s[48:49], -1, 0
	s_cmpk_gt_i32 s86, 0x270e
	s_mov_b64 s[36:37], -1
	s_cbranch_scc0 .LBB10_1237
; %bb.1236:                             ;   in Loop: Header=BB10_1234 Depth=4
	s_trap 2
	ds_read_b64 v[5:6], v0
	s_andn2_b64 s[48:49], s[48:49], exec
	s_mov_b32 s86, 0
	s_mov_b64 s[38:39], 0
	s_waitcnt vmcnt(0) lgkmcnt(0)
	flat_load_dword v1, v[5:6] glc
	s_waitcnt vmcnt(0) lgkmcnt(0)
	buffer_wbinvl1_vol
	v_cmp_eq_u32_e64 s[28:29], 0, v1
	s_and_b64 s[28:29], s[28:29], exec
	s_or_b64 s[48:49], s[48:49], s[28:29]
	s_and_saveexec_b64 s[50:51], s[48:49]
	s_cbranch_execz .LBB10_1232
	s_branch .LBB10_1231
.LBB10_1237:                            ;   in Loop: Header=BB10_1234 Depth=4
	s_add_i32 s86, s86, 1
	s_mov_b64 s[38:39], -1
                                        ; implicit-def: $vgpr1
	s_and_saveexec_b64 s[50:51], s[48:49]
	s_cbranch_execz .LBB10_1232
	s_branch .LBB10_1231
.LBB10_1238:                            ;   in Loop: Header=BB10_1228 Depth=3
	s_or_b64 exec, exec, s[90:91]
	s_xor_b64 s[28:29], s[92:93], -1
	s_and_saveexec_b64 s[90:91], s[28:29]
	s_xor_b64 s[28:29], exec, s[90:91]
	s_cbranch_execz .LBB10_1240
; %bb.1239:                             ;   in Loop: Header=BB10_1228 Depth=3
	s_waitcnt lgkmcnt(0)
	ds_write_b32 v0, v1
	s_trap 2
	buffer_load_dword v1, off, s[0:3], s33 offset:68 ; 4-byte Folded Reload
	s_waitcnt vmcnt(0)
	v_or_b32_e32 v1, 64, v1
	buffer_store_dword v1, off, s[0:3], s33 offset:68 ; 4-byte Folded Spill
.LBB10_1240:                            ;   in Loop: Header=BB10_1228 Depth=3
	s_or_b64 exec, exec, s[28:29]
.LBB10_1241:                            ;   in Loop: Header=BB10_1228 Depth=3
	s_or_b64 exec, exec, s[88:89]
	;;#ASMSTART
	s_wakeup
	;;#ASMEND
	buffer_load_dword v1, off, s[0:3], s33 offset:68 ; 4-byte Folded Reload
                                        ; implicit-def: $vgpr8_vgpr9
	s_waitcnt vmcnt(0)
	v_and_b32_e32 v1, 0x108, v1
	v_cmp_ne_u32_e32 vcc, s68, v1
	s_and_saveexec_b64 s[28:29], vcc
	s_xor_b64 s[28:29], exec, s[28:29]
	s_cbranch_execz .LBB10_1243
; %bb.1242:                             ;   in Loop: Header=BB10_1228 Depth=3
	buffer_load_dword v5, off, s[0:3], s33 offset:80 ; 4-byte Folded Reload
	buffer_load_dword v6, off, s[0:3], s33 offset:84 ; 4-byte Folded Reload
	v_mov_b32_e32 v9, v2
	s_waitcnt vmcnt(0)
	v_and_b32_e32 v8, 7, v5
                                        ; implicit-def: $vgpr5_vgpr6
                                        ; kill: killed $vgpr5_vgpr6
.LBB10_1243:                            ;   in Loop: Header=BB10_1228 Depth=3
	s_andn2_saveexec_b64 s[28:29], s[28:29]
	s_cbranch_execz .LBB10_1245
; %bb.1244:                             ;   in Loop: Header=BB10_1228 Depth=3
	buffer_load_dword v5, off, s[0:3], s33 offset:80 ; 4-byte Folded Reload
	buffer_load_dword v6, off, s[0:3], s33 offset:84 ; 4-byte Folded Reload
	;; [unrolled: 1-line block ×6, first 2 shown]
	v_ashrrev_i32_e32 v27, 31, v26
	s_waitcnt vmcnt(0)
	v_and_b32_e32 v8, 7, v5
	v_mad_u64_u32 v[5:6], s[88:89], v8, 24, v[9:10]
	v_lshlrev_b64 v[10:11], 1, v[26:27]
	v_mov_b32_e32 v9, v2
	flat_store_dwordx2 v[5:6], v[10:11] offset:8
.LBB10_1245:                            ;   in Loop: Header=BB10_1228 Depth=3
	s_or_b64 exec, exec, s[28:29]
	buffer_load_dword v1, off, s[0:3], s33 offset:68 ; 4-byte Folded Reload
	s_mov_b64 s[28:29], -1
                                        ; implicit-def: $vgpr10_vgpr11
	s_waitcnt vmcnt(0)
	v_and_b32_e32 v1, 0x100, v1
	v_cmp_ne_u32_e32 vcc, 0, v1
	s_and_saveexec_b64 s[88:89], vcc
	s_cbranch_execz .LBB10_1249
; %bb.1246:                             ;   in Loop: Header=BB10_1228 Depth=3
	buffer_load_dword v10, off, s[0:3], s33 offset:112 ; 4-byte Folded Reload
	buffer_load_dword v11, off, s[0:3], s33 offset:116 ; 4-byte Folded Reload
	;; [unrolled: 1-line block ×4, first 2 shown]
	s_waitcnt vmcnt(0)
	v_mad_u64_u32 v[12:13], s[28:29], v8, 24, v[10:11]
                                        ; implicit-def: $vgpr10_vgpr11
	v_mov_b32_e32 v1, v13
	v_mad_u64_u32 v[5:6], s[28:29], v9, 24, v[1:2]
	v_mov_b32_e32 v13, v5
	flat_load_dword v1, v[12:13]
	s_waitcnt vmcnt(0) lgkmcnt(0)
	v_cmp_ne_u32_e32 vcc, 1, v1
	v_cmp_eq_u32_e64 s[28:29], 1, v1
	s_and_saveexec_b64 s[90:91], s[28:29]
	s_cbranch_execz .LBB10_1248
; %bb.1247:                             ;   in Loop: Header=BB10_1228 Depth=3
	flat_load_dword v5, v[12:13] offset:4 glc
	s_waitcnt vmcnt(0) lgkmcnt(0)
	v_ashrrev_i32_e32 v6, 31, v5
	v_lshrrev_b64 v[10:11], 1, v[5:6]
.LBB10_1248:                            ;   in Loop: Header=BB10_1228 Depth=3
	s_or_b64 exec, exec, s[90:91]
	s_orn2_b64 s[28:29], vcc, exec
.LBB10_1249:                            ;   in Loop: Header=BB10_1228 Depth=3
	s_or_b64 exec, exec, s[88:89]
	s_and_saveexec_b64 s[88:89], s[28:29]
	s_cbranch_execz .LBB10_1251
; %bb.1250:                             ;   in Loop: Header=BB10_1228 Depth=3
	buffer_load_dword v6, off, s[0:3], s33 offset:140 ; 4-byte Folded Reload
	buffer_load_dword v5, off, s[0:3], s33 offset:160 ; 4-byte Folded Reload
	s_waitcnt vmcnt(0)
	v_mul_lo_u32 v1, v9, v6
	v_mul_lo_u32 v5, v8, v5
	v_mad_u64_u32 v[10:11], s[28:29], v8, v6, 0
	v_add3_u32 v11, v11, v5, v1
.LBB10_1251:                            ;   in Loop: Header=BB10_1228 Depth=3
	s_or_b64 exec, exec, s[88:89]
	buffer_load_dword v6, off, s[0:3], s33 offset:104 ; 4-byte Folded Reload
	buffer_load_dword v7, off, s[0:3], s33 offset:108 ; 4-byte Folded Reload
	v_cmp_eq_u32_e32 vcc, 0, v0
	v_mov_b32_e32 v0, 0xc8
	v_mov_b32_e32 v1, 0x90
	v_cndmask_b32_e32 v5, v0, v1, vcc
	v_lshlrev_b64 v[0:1], 1, v[10:11]
	s_waitcnt vmcnt(0)
	v_add_co_u32_e32 v0, vcc, v6, v0
	v_addc_co_u32_e32 v1, vcc, v7, v1, vcc
	v_add_u32_e32 v5, v0, v5
	ds_write_b64 v5, v[0:1] offset:584
	buffer_load_dword v0, off, s[0:3], s33 offset:68 ; 4-byte Folded Reload
	s_waitcnt vmcnt(0)
	v_and_b32_e32 v0, 0x2000, v0
	v_cmp_ne_u32_e32 vcc, 0, v0
	s_and_saveexec_b64 s[28:29], vcc
	s_cbranch_execz .LBB10_1253
; %bb.1252:                             ;   in Loop: Header=BB10_1228 Depth=3
	ds_read_b64 v[0:1], v0 offset:872
	s_waitcnt lgkmcnt(0)
	v_add_co_u32_e32 v0, vcc, 1, v0
	v_addc_co_u32_e32 v1, vcc, 0, v1, vcc
	ds_write_b64 v0, v[0:1] offset:872
.LBB10_1253:                            ;   in Loop: Header=BB10_1228 Depth=3
	s_or_b64 exec, exec, s[28:29]
	buffer_store_dword v3, off, s[0:3], s33 offset:80 ; 4-byte Folded Spill
	s_nop 0
	buffer_store_dword v4, off, s[0:3], s33 offset:84 ; 4-byte Folded Spill
.LBB10_1254:                            ;   in Loop: Header=BB10_1228 Depth=3
	s_or_b64 exec, exec, s[78:79]
	s_xor_b64 s[28:29], s[76:77], -1
	s_and_b64 s[28:29], exec, s[28:29]
	s_or_b64 s[42:43], s[28:29], s[42:43]
	s_and_saveexec_b64 s[28:29], s[10:11]
	s_cbranch_execz .LBB10_1273
; %bb.1255:                             ;   in Loop: Header=BB10_1228 Depth=3
	s_and_saveexec_b64 s[76:77], s[56:57]
	s_xor_b64 s[76:77], exec, s[76:77]
	s_cbranch_execz .LBB10_1270
; %bb.1256:                             ;   in Loop: Header=BB10_1228 Depth=3
	s_and_saveexec_b64 s[78:79], s[16:17]
	s_cbranch_execz .LBB10_1269
; %bb.1257:                             ;   in Loop: Header=BB10_1228 Depth=3
	s_mov_b64 s[90:91], exec
	v_mbcnt_lo_u32_b32 v0, s90, 0
	v_mbcnt_hi_u32_b32 v0, s91, v0
	v_cmp_eq_u32_e32 vcc, 0, v0
	s_waitcnt vmcnt(0) lgkmcnt(0)
	buffer_wbinvl1_vol
	s_and_saveexec_b64 s[88:89], vcc
	s_cbranch_execz .LBB10_1259
; %bb.1258:                             ;   in Loop: Header=BB10_1228 Depth=3
	s_bcnt1_i32_b64 s90, s[90:91]
	v_mov_b32_e32 v0, s90
	v_mov_b32_e32 v1, v2
	ds_add_u64 v0, v[0:1]
	s_trap 2
.LBB10_1259:                            ;   in Loop: Header=BB10_1228 Depth=3
	s_or_b64 exec, exec, s[88:89]
	s_trap 2
	ds_read_b64 v[0:1], v0
	s_waitcnt lgkmcnt(0)
	buffer_load_dword v3, off, s[0:3], s33 offset:72 ; 4-byte Folded Reload
	buffer_load_dword v4, off, s[0:3], s33 offset:76 ; 4-byte Folded Reload
	;; [unrolled: 1-line block ×3, first 2 shown]
	s_waitcnt vmcnt(0)
	v_add_co_u32_e32 v3, vcc, v3, v5
	v_addc_co_u32_e32 v4, vcc, 0, v4, vcc
	buffer_store_dword v3, off, s[0:3], s33 offset:72 ; 4-byte Folded Spill
	s_nop 0
	buffer_store_dword v4, off, s[0:3], s33 offset:76 ; 4-byte Folded Spill
	v_cmp_lt_u64_e32 vcc, v[0:1], v[3:4]
	s_and_saveexec_b64 s[88:89], vcc
	s_cbranch_execz .LBB10_1268
; %bb.1260:                             ;   in Loop: Header=BB10_1228 Depth=3
	s_mov_b32 s36, 0
	s_mov_b64 s[90:91], 0
                                        ; implicit-def: $sgpr92_sgpr93
                                        ; implicit-def: $sgpr94_sgpr95
	s_branch .LBB10_1262
.LBB10_1261:                            ;   in Loop: Header=BB10_1262 Depth=4
	s_or_b64 exec, exec, s[34:35]
	s_and_b64 vcc, exec, vcc
	s_or_b64 s[90:91], vcc, s[90:91]
	s_andn2_b64 s[92:93], s[92:93], exec
	s_and_b64 vcc, s[94:95], exec
	s_or_b64 s[92:93], s[92:93], vcc
	s_andn2_b64 exec, exec, s[90:91]
	s_cbranch_execz .LBB10_1266
.LBB10_1262:                            ;   Parent Loop BB10_47 Depth=1
                                        ;     Parent Loop BB10_625 Depth=2
                                        ;       Parent Loop BB10_1228 Depth=3
                                        ; =>      This Inner Loop Header: Depth=4
	s_add_i32 s36, s36, 1
	s_cmpk_lg_i32 s36, 0x2710
	s_cselect_b64 s[30:31], -1, 0
	s_and_b64 vcc, exec, s[30:31]
	s_cbranch_vccz .LBB10_1264
; %bb.1263:                             ;   in Loop: Header=BB10_1262 Depth=4
	s_mov_b64 vcc, -1
	s_or_b64 s[94:95], s[94:95], exec
	s_and_saveexec_b64 s[34:35], s[30:31]
	s_cbranch_execz .LBB10_1261
	s_branch .LBB10_1265
.LBB10_1264:                            ;   in Loop: Header=BB10_1262 Depth=4
	s_trap 2
	ds_read_b64 v[0:1], v0
	s_andn2_b64 s[30:31], s[30:31], exec
	s_mov_b32 s36, 0
	s_waitcnt vmcnt(0) lgkmcnt(0)
	flat_load_dword v0, v[0:1] glc
	s_waitcnt vmcnt(0) lgkmcnt(0)
	buffer_wbinvl1_vol
	v_cmp_eq_u32_e32 vcc, 0, v0
	s_and_b64 vcc, vcc, exec
	s_or_b64 s[30:31], s[30:31], vcc
	s_mov_b64 vcc, -1
	s_or_b64 s[94:95], s[94:95], exec
	s_and_saveexec_b64 s[34:35], s[30:31]
	s_cbranch_execz .LBB10_1261
.LBB10_1265:                            ;   in Loop: Header=BB10_1262 Depth=4
	s_sleep 1
	s_trap 2
	ds_read_b64 v[0:1], v0
	s_waitcnt lgkmcnt(0)
	buffer_load_dword v3, off, s[0:3], s33 offset:72 ; 4-byte Folded Reload
	buffer_load_dword v4, off, s[0:3], s33 offset:76 ; 4-byte Folded Reload
	s_andn2_b64 s[94:95], s[94:95], exec
	s_waitcnt vmcnt(0)
	v_cmp_ge_u64_e32 vcc, v[0:1], v[3:4]
	s_orn2_b64 vcc, vcc, exec
	s_branch .LBB10_1261
.LBB10_1266:                            ;   in Loop: Header=BB10_1228 Depth=3
	s_or_b64 exec, exec, s[90:91]
	s_and_saveexec_b64 s[90:91], s[92:93]
	s_xor_b64 s[90:91], exec, s[90:91]
	s_cbranch_execz .LBB10_1268
; %bb.1267:                             ;   in Loop: Header=BB10_1228 Depth=3
	v_mov_b32_e32 v0, 1
	ds_write_b32 v0, v0
	s_trap 2
.LBB10_1268:                            ;   in Loop: Header=BB10_1228 Depth=3
	s_or_b64 exec, exec, s[88:89]
	;;#ASMSTART
	s_wakeup
	;;#ASMEND
.LBB10_1269:                            ;   in Loop: Header=BB10_1228 Depth=3
	s_or_b64 exec, exec, s[78:79]
.LBB10_1270:                            ;   in Loop: Header=BB10_1228 Depth=3
	s_andn2_saveexec_b64 s[76:77], s[76:77]
	s_cbranch_execz .LBB10_1272
; %bb.1271:                             ;   in Loop: Header=BB10_1228 Depth=3
	s_waitcnt vmcnt(0) lgkmcnt(0)
	buffer_wbinvl1_vol
	s_barrier
.LBB10_1272:                            ;   in Loop: Header=BB10_1228 Depth=3
	s_or_b64 exec, exec, s[76:77]
.LBB10_1273:                            ;   in Loop: Header=BB10_1228 Depth=3
	s_or_b64 exec, exec, s[28:29]
                                        ; implicit-def: $vgpr0
	s_and_saveexec_b64 s[28:29], s[62:63]
	s_xor_b64 s[28:29], exec, s[28:29]
	s_cbranch_execz .LBB10_1285
; %bb.1274:                             ;   in Loop: Header=BB10_1228 Depth=3
	s_and_saveexec_b64 s[76:77], s[56:57]
	s_xor_b64 s[76:77], exec, s[76:77]
	s_cbranch_execz .LBB10_1290
; %bb.1275:                             ;   in Loop: Header=BB10_1228 Depth=3
	s_and_saveexec_b64 s[78:79], s[16:17]
	s_cbranch_execz .LBB10_1289
; %bb.1276:                             ;   in Loop: Header=BB10_1228 Depth=3
	s_mov_b64 s[90:91], exec
	v_mbcnt_lo_u32_b32 v0, s90, 0
	v_mbcnt_hi_u32_b32 v0, s91, v0
	v_cmp_eq_u32_e32 vcc, 0, v0
	;;#ASMSTART
	s_waitcnt lgkmcnt(0) vmcnt(0)
	;;#ASMEND
	s_and_saveexec_b64 s[88:89], vcc
	s_cbranch_execz .LBB10_1278
; %bb.1277:                             ;   in Loop: Header=BB10_1228 Depth=3
	s_bcnt1_i32_b64 s90, s[90:91]
	v_mov_b32_e32 v0, s90
	v_mov_b32_e32 v1, v2
	s_waitcnt lgkmcnt(0)
	ds_add_u64 v0, v[0:1]
	s_trap 2
.LBB10_1278:                            ;   in Loop: Header=BB10_1228 Depth=3
	s_or_b64 exec, exec, s[88:89]
	s_trap 2
	ds_read_b64 v[0:1], v0
	s_waitcnt lgkmcnt(0)
	buffer_load_dword v3, off, s[0:3], s33 offset:72 ; 4-byte Folded Reload
	buffer_load_dword v4, off, s[0:3], s33 offset:76 ; 4-byte Folded Reload
	;; [unrolled: 1-line block ×3, first 2 shown]
	s_waitcnt vmcnt(0)
	v_add_co_u32_e32 v3, vcc, v3, v5
	v_addc_co_u32_e32 v4, vcc, 0, v4, vcc
	buffer_store_dword v3, off, s[0:3], s33 offset:72 ; 4-byte Folded Spill
	s_nop 0
	buffer_store_dword v4, off, s[0:3], s33 offset:76 ; 4-byte Folded Spill
	v_cmp_lt_u64_e32 vcc, v[0:1], v[3:4]
	s_and_saveexec_b64 s[88:89], vcc
	s_cbranch_execz .LBB10_1288
; %bb.1279:                             ;   in Loop: Header=BB10_1228 Depth=3
	s_mov_b32 s36, 0
	s_mov_b64 s[90:91], 0
                                        ; implicit-def: $sgpr92_sgpr93
                                        ; implicit-def: $sgpr94_sgpr95
	s_branch .LBB10_1281
.LBB10_1280:                            ;   in Loop: Header=BB10_1281 Depth=4
	s_or_b64 exec, exec, s[34:35]
	s_and_b64 vcc, exec, vcc
	s_or_b64 s[90:91], vcc, s[90:91]
	s_andn2_b64 s[92:93], s[92:93], exec
	s_and_b64 vcc, s[94:95], exec
	s_or_b64 s[92:93], s[92:93], vcc
	s_andn2_b64 exec, exec, s[90:91]
	s_cbranch_execz .LBB10_1286
.LBB10_1281:                            ;   Parent Loop BB10_47 Depth=1
                                        ;     Parent Loop BB10_625 Depth=2
                                        ;       Parent Loop BB10_1228 Depth=3
                                        ; =>      This Inner Loop Header: Depth=4
	s_add_i32 s36, s36, 1
	s_cmpk_lg_i32 s36, 0x2710
	s_cselect_b64 s[30:31], -1, 0
	s_and_b64 vcc, exec, s[30:31]
	s_cbranch_vccz .LBB10_1283
; %bb.1282:                             ;   in Loop: Header=BB10_1281 Depth=4
	s_mov_b64 vcc, -1
	s_or_b64 s[94:95], s[94:95], exec
	s_and_saveexec_b64 s[34:35], s[30:31]
	s_cbranch_execz .LBB10_1280
	s_branch .LBB10_1284
.LBB10_1283:                            ;   in Loop: Header=BB10_1281 Depth=4
	s_trap 2
	ds_read_b64 v[0:1], v0
	s_andn2_b64 s[30:31], s[30:31], exec
	s_mov_b32 s36, 0
	s_waitcnt vmcnt(0) lgkmcnt(0)
	flat_load_dword v0, v[0:1] glc
	s_waitcnt vmcnt(0) lgkmcnt(0)
	buffer_wbinvl1_vol
	v_cmp_eq_u32_e32 vcc, 0, v0
	s_and_b64 vcc, vcc, exec
	s_or_b64 s[30:31], s[30:31], vcc
	s_mov_b64 vcc, -1
	s_or_b64 s[94:95], s[94:95], exec
	s_and_saveexec_b64 s[34:35], s[30:31]
	s_cbranch_execz .LBB10_1280
.LBB10_1284:                            ;   in Loop: Header=BB10_1281 Depth=4
	s_sleep 1
	s_trap 2
	ds_read_b64 v[0:1], v0
	s_waitcnt lgkmcnt(0)
	buffer_load_dword v3, off, s[0:3], s33 offset:72 ; 4-byte Folded Reload
	buffer_load_dword v4, off, s[0:3], s33 offset:76 ; 4-byte Folded Reload
	s_andn2_b64 s[94:95], s[94:95], exec
	s_waitcnt vmcnt(0)
	v_cmp_ge_u64_e32 vcc, v[0:1], v[3:4]
	s_orn2_b64 vcc, vcc, exec
	s_branch .LBB10_1280
.LBB10_1285:                            ;   in Loop: Header=BB10_1228 Depth=3
	s_andn2_saveexec_b64 s[28:29], s[28:29]
	s_cbranch_execnz .LBB10_1293
	s_branch .LBB10_1296
.LBB10_1286:                            ;   in Loop: Header=BB10_1228 Depth=3
	s_or_b64 exec, exec, s[90:91]
	s_and_saveexec_b64 s[90:91], s[92:93]
	s_xor_b64 s[90:91], exec, s[90:91]
	s_cbranch_execz .LBB10_1288
; %bb.1287:                             ;   in Loop: Header=BB10_1228 Depth=3
	v_mov_b32_e32 v0, 1
	ds_write_b32 v0, v0
	s_trap 2
.LBB10_1288:                            ;   in Loop: Header=BB10_1228 Depth=3
	s_or_b64 exec, exec, s[88:89]
	;;#ASMSTART
	s_wakeup
	;;#ASMEND
.LBB10_1289:                            ;   in Loop: Header=BB10_1228 Depth=3
	s_or_b64 exec, exec, s[78:79]
.LBB10_1290:                            ;   in Loop: Header=BB10_1228 Depth=3
	s_andn2_saveexec_b64 s[76:77], s[76:77]
	s_cbranch_execz .LBB10_1292
; %bb.1291:                             ;   in Loop: Header=BB10_1228 Depth=3
	;;#ASMSTART
	s_waitcnt lgkmcnt(0) vmcnt(0)
	;;#ASMEND
	s_waitcnt vmcnt(0) lgkmcnt(0)
	s_barrier
.LBB10_1292:                            ;   in Loop: Header=BB10_1228 Depth=3
	s_or_b64 exec, exec, s[76:77]
	buffer_load_dword v0, off, s[0:3], s33 offset:68 ; 4-byte Folded Reload
	s_waitcnt vmcnt(0)
	v_and_b32_e32 v0, 16, v0
	s_andn2_saveexec_b64 s[28:29], s[28:29]
	s_cbranch_execz .LBB10_1296
.LBB10_1293:                            ;   in Loop: Header=BB10_1228 Depth=3
	s_trap 2
	buffer_load_dword v1, off, s[0:3], s33 offset:68 ; 4-byte Folded Reload
	ds_read_b32 v0, v0
	v_cmp_lt_i32_e32 vcc, 0, v26
	s_waitcnt lgkmcnt(0)
	v_readfirstlane_b32 s76, v0
	s_cmp_eq_u32 s76, 0
	s_cselect_b64 s[76:77], -1, 0
	s_and_b64 s[76:77], vcc, s[76:77]
	s_waitcnt vmcnt(0)
	v_and_b32_e32 v0, 16, v1
	v_and_b32_e32 v1, 16, v1
	v_cmp_ne_u32_e32 vcc, 0, v1
	s_and_b64 s[78:79], vcc, s[76:77]
	s_and_saveexec_b64 s[76:77], s[78:79]
	s_cbranch_execz .LBB10_1295
; %bb.1294:                             ;   in Loop: Header=BB10_1228 Depth=3
	v_mov_b32_e32 v0, 1
	buffer_wbinvl1_vol
.LBB10_1295:                            ;   in Loop: Header=BB10_1228 Depth=3
	s_or_b64 exec, exec, s[76:77]
.LBB10_1296:                            ;   in Loop: Header=BB10_1228 Depth=3
	s_or_b64 exec, exec, s[28:29]
	v_cmp_ne_u32_e32 vcc, 0, v0
	s_xor_b64 s[28:29], s[12:13], -1
	s_and_b64 s[76:77], vcc, s[28:29]
	s_and_saveexec_b64 s[28:29], s[76:77]
	s_cbranch_execz .LBB10_1298
; %bb.1297:                             ;   in Loop: Header=BB10_1228 Depth=3
	buffer_load_dword v0, off, s[0:3], s33 offset:128 ; 4-byte Folded Reload
	buffer_load_dword v1, off, s[0:3], s33 offset:132 ; 4-byte Folded Reload
	v_mov_b32_e32 v3, 1
	s_waitcnt vmcnt(0)
	flat_store_dword v[0:1], v3
.LBB10_1298:                            ;   in Loop: Header=BB10_1228 Depth=3
	s_or_b64 exec, exec, s[28:29]
	buffer_load_dword v0, off, s[0:3], s33 offset:68 ; 4-byte Folded Reload
	s_waitcnt vmcnt(0)
	v_and_b32_e32 v0, 48, v0
	v_cmp_ne_u32_e32 vcc, 0, v0
	s_and_saveexec_b64 s[28:29], vcc
	s_cbranch_execz .LBB10_1227
; %bb.1299:                             ;   in Loop: Header=BB10_1228 Depth=3
	buffer_load_dword v3, off, s[0:3], s33 offset:80 ; 4-byte Folded Reload
	buffer_load_dword v4, off, s[0:3], s33 offset:84 ; 4-byte Folded Reload
	;; [unrolled: 1-line block ×4, first 2 shown]
	s_waitcnt vmcnt(0)
	v_add_co_u32_e32 v3, vcc, 2, v3
	v_addc_co_u32_e32 v4, vcc, 0, v4, vcc
	buffer_store_dword v3, off, s[0:3], s33 offset:80 ; 4-byte Folded Spill
	s_nop 0
	buffer_store_dword v4, off, s[0:3], s33 offset:84 ; 4-byte Folded Spill
	flat_store_dwordx2 v[0:1], v[3:4]
	s_branch .LBB10_1227
.LBB10_1300:                            ;   in Loop: Header=BB10_47 Depth=1
	buffer_load_dword v5, off, s[0:3], s33 offset:340 ; 4-byte Folded Reload
	buffer_load_dword v6, off, s[0:3], s33 offset:344 ; 4-byte Folded Reload
	s_waitcnt vmcnt(0)
	v_mul_lo_u32 v1, v5, s53
	v_mul_lo_u32 v0, v6, s52
	v_mad_u64_u32 v[3:4], s[28:29], v5, s52, 0
	v_add3_u32 v4, v4, v1, v0
	buffer_load_dword v0, off, s[0:3], s33 offset:332 ; 4-byte Folded Reload
	buffer_load_dword v1, off, s[0:3], s33 offset:336 ; 4-byte Folded Reload
	s_waitcnt vmcnt(0)
	v_sub_co_u32_e32 v0, vcc, v0, v3
	v_subb_co_u32_e32 v1, vcc, v1, v4, vcc
	v_cmp_lt_i64_e32 vcc, v[5:6], v[0:1]
	v_cndmask_b32_e32 v1, v0, v5, vcc
	v_max_i32_e32 v5, 0, v1
	buffer_store_dword v5, off, s[0:3], s33 offset:208 ; 4-byte Folded Spill
	v_add_u32_e32 v5, 31, v5
	v_lshrrev_b32_e32 v5, 1, v5
	v_and_b32_e32 v5, 0x3ffffff0, v5
	v_cmp_lt_i32_e32 vcc, 0, v1
	v_mov_b32_e32 v0, 0
	v_max_i32_e32 v5, s82, v5
	s_and_b64 s[28:29], s[72:73], vcc
	v_mov_b32_e32 v1, 0
	buffer_store_dword v5, off, s[0:3], s33 offset:200 ; 4-byte Folded Spill
	s_nop 0
	buffer_store_dword v6, off, s[0:3], s33 offset:204 ; 4-byte Folded Spill
	buffer_store_dword v1, off, s[0:3], s33 offset:184 ; 4-byte Folded Spill
	s_nop 0
	buffer_store_dword v2, off, s[0:3], s33 offset:188 ; 4-byte Folded Spill
	s_and_saveexec_b64 s[76:77], s[28:29]
	s_cbranch_execz .LBB10_2388
; %bb.1301:                             ;   in Loop: Header=BB10_47 Depth=1
	buffer_load_dword v0, off, s[0:3], s33 offset:192 ; 4-byte Folded Reload
	buffer_load_dword v1, off, s[0:3], s33 offset:196 ; 4-byte Folded Reload
	s_mov_b32 s75, 1
	s_mov_b64 s[88:89], -1
	s_mov_b64 s[78:79], 0
	s_waitcnt vmcnt(0)
	v_add_co_u32_e32 v0, vcc, v3, v0
	v_addc_co_u32_e32 v1, vcc, v4, v1, vcc
	v_lshlrev_b64 v[0:1], 1, v[0:1]
	v_mov_b32_e32 v3, 0
	buffer_store_dword v3, off, s[0:3], s33 offset:184 ; 4-byte Folded Spill
	s_nop 0
	buffer_store_dword v4, off, s[0:3], s33 offset:188 ; 4-byte Folded Spill
	buffer_store_dword v0, off, s[0:3], s33 offset:248 ; 4-byte Folded Spill
	s_nop 0
	buffer_store_dword v1, off, s[0:3], s33 offset:252 ; 4-byte Folded Spill
	s_branch .LBB10_1303
.LBB10_1302:                            ;   in Loop: Header=BB10_1303 Depth=2
	s_or_b64 exec, exec, s[28:29]
	buffer_load_dword v0, off, s[0:3], s33 offset:200 ; 4-byte Folded Reload
	buffer_load_dword v1, off, s[0:3], s33 offset:204 ; 4-byte Folded Reload
	;; [unrolled: 1-line block ×4, first 2 shown]
	s_xor_b64 s[28:29], s[88:89], -1
	s_mov_b64 s[88:89], 0
	s_waitcnt vmcnt(0)
	v_add_u32_e32 v3, v0, v3
	buffer_load_dword v0, off, s[0:3], s33 offset:208 ; 4-byte Folded Reload
	v_mov_b32_e32 v1, v3
	buffer_store_dword v1, off, s[0:3], s33 offset:184 ; 4-byte Folded Spill
	s_nop 0
	buffer_store_dword v2, off, s[0:3], s33 offset:188 ; 4-byte Folded Spill
	s_waitcnt vmcnt(0)
	v_cmp_ge_i32_e32 vcc, v3, v0
	s_or_b64 s[28:29], s[28:29], vcc
	s_and_b64 s[28:29], exec, s[28:29]
	s_or_b64 s[78:79], s[28:29], s[78:79]
	v_mov_b32_e32 v0, s75
	s_mov_b32 s75, 2
	s_andn2_b64 exec, exec, s[78:79]
	s_cbranch_execz .LBB10_2463
.LBB10_1303:                            ;   Parent Loop BB10_47 Depth=1
                                        ; =>  This Loop Header: Depth=2
                                        ;       Child Loop BB10_1311 Depth 3
                                        ;       Child Loop BB10_1339 Depth 3
	;; [unrolled: 1-line block ×9, first 2 shown]
                                        ;         Child Loop BB10_1713 Depth 4
                                        ;       Child Loop BB10_1721 Depth 3
                                        ;       Child Loop BB10_1853 Depth 3
                                        ;         Child Loop BB10_1862 Depth 4
                                        ;       Child Loop BB10_2354 Depth 3
                                        ;       Child Loop BB10_2373 Depth 3
	s_and_saveexec_b64 s[28:29], s[4:5]
	s_cbranch_execz .LBB10_1305
; %bb.1304:                             ;   in Loop: Header=BB10_1303 Depth=2
	s_trap 2
	ds_read2_b64 v[3:6], v0 offset1:1
	buffer_load_dword v9, off, s[0:3], s33 offset:248 ; 4-byte Folded Reload
	buffer_load_dword v10, off, s[0:3], s33 offset:252 ; 4-byte Folded Reload
	buffer_load_dword v0, off, s[0:3], s33 offset:184 ; 4-byte Folded Reload
	buffer_load_dword v1, off, s[0:3], s33 offset:188 ; 4-byte Folded Reload
	s_waitcnt vmcnt(0) lgkmcnt(0)
	v_add_co_u32_e32 v3, vcc, v3, v9
	v_mov_b32_e32 v7, v0
	v_ashrrev_i32_e32 v8, 31, v7
	buffer_store_dword v0, off, s[0:3], s33 offset:184 ; 4-byte Folded Spill
	s_nop 0
	buffer_store_dword v1, off, s[0:3], s33 offset:188 ; 4-byte Folded Spill
	v_lshlrev_b64 v[0:1], 1, v[7:8]
	v_addc_co_u32_e32 v4, vcc, v4, v10, vcc
	v_add_co_u32_e32 v3, vcc, v3, v0
	v_addc_co_u32_e32 v4, vcc, v4, v1, vcc
	ds_write_b64 v0, v[3:4]
	v_add_co_u32_e32 v3, vcc, v5, v9
	v_addc_co_u32_e32 v4, vcc, v6, v10, vcc
	v_add_co_u32_e32 v3, vcc, v3, v0
	v_addc_co_u32_e32 v4, vcc, v4, v1, vcc
	ds_write_b64 v0, v[3:4]
	ds_read_b64 v[3:4], v0
	s_waitcnt lgkmcnt(0)
	v_add_co_u32_e32 v5, vcc, v3, v9
	v_addc_co_u32_e32 v6, vcc, v4, v10, vcc
	v_add_co_u32_e32 v0, vcc, v5, v0
	v_addc_co_u32_e32 v1, vcc, v6, v1, vcc
	v_cmp_ne_u64_e32 vcc, 0, v[3:4]
	v_cndmask_b32_e32 v1, 0, v1, vcc
	v_cndmask_b32_e32 v0, 0, v0, vcc
	ds_write_b64 v0, v[0:1]
.LBB10_1305:                            ;   in Loop: Header=BB10_1303 Depth=2
	s_or_b64 exec, exec, s[28:29]
	buffer_load_dword v0, off, s[0:3], s33 offset:208 ; 4-byte Folded Reload
	buffer_load_dword v3, off, s[0:3], s33 offset:184 ; 4-byte Folded Reload
	;; [unrolled: 1-line block ×3, first 2 shown]
	s_waitcnt vmcnt(0)
	v_sub_u32_e32 v0, v0, v3
	buffer_load_dword v3, off, s[0:3], s33 offset:200 ; 4-byte Folded Reload
	buffer_load_dword v4, off, s[0:3], s33 offset:204 ; 4-byte Folded Reload
	s_waitcnt vmcnt(0)
	v_min_i32_e32 v3, v3, v0
	buffer_store_dword v3, off, s[0:3], s33 offset:200 ; 4-byte Folded Spill
	s_nop 0
	buffer_store_dword v4, off, s[0:3], s33 offset:204 ; 4-byte Folded Spill
	buffer_load_dword v0, off, s[0:3], s33 offset:68 ; 4-byte Folded Reload
	s_waitcnt vmcnt(0)
	v_and_b32_e32 v0, 12, v0
	v_cmp_ne_u32_e32 vcc, 0, v0
	s_and_saveexec_b64 s[40:41], vcc
	s_cbranch_execz .LBB10_1331
; %bb.1306:                             ;   in Loop: Header=BB10_1303 Depth=2
	buffer_load_dword v0, off, s[0:3], s33 offset:68 ; 4-byte Folded Reload
	buffer_load_dword v3, off, s[0:3], s33 offset:80 ; 4-byte Folded Reload
	;; [unrolled: 1-line block ×3, first 2 shown]
	s_waitcnt vmcnt(0)
	v_and_b32_e32 v0, 8, v0
	s_waitcnt lgkmcnt(0)
	v_add_co_u32_e32 v5, vcc, v48, v0
	v_addc_co_u32_e32 v6, vcc, 0, v49, vcc
	v_add_co_u32_e32 v3, vcc, 2, v3
	v_addc_co_u32_e32 v4, vcc, 0, v4, vcc
	v_cmp_lt_u64_e32 vcc, v[5:6], v[3:4]
	s_and_saveexec_b64 s[42:43], vcc
	s_cbranch_execz .LBB10_1318
; %bb.1307:                             ;   in Loop: Header=BB10_1303 Depth=2
	buffer_load_dword v1, off, s[0:3], s33 offset:68 ; 4-byte Folded Reload
	s_mov_b32 s86, 0
	s_mov_b64 s[90:91], 0
                                        ; implicit-def: $sgpr92_sgpr93
                                        ; implicit-def: $sgpr94_sgpr95
                                        ; implicit-def: $sgpr30_sgpr31
	s_waitcnt vmcnt(0)
	v_and_b32_e32 v1, 64, v1
	v_cmp_eq_u32_e32 vcc, 0, v1
	s_branch .LBB10_1311
.LBB10_1308:                            ;   in Loop: Header=BB10_1311 Depth=3
	s_waitcnt vmcnt(0) lgkmcnt(0)
	v_add_co_u32_e64 v5, s[28:29], v48, v0
	v_addc_co_u32_e64 v6, s[28:29], 0, v49, s[28:29]
	v_cmp_ge_u64_e64 s[28:29], v[5:6], v[3:4]
	s_or_b64 s[38:39], s[38:39], exec
	s_orn2_b64 s[36:37], s[28:29], exec
.LBB10_1309:                            ;   in Loop: Header=BB10_1311 Depth=3
	s_or_b64 exec, exec, s[50:51]
	s_andn2_b64 s[28:29], s[30:31], exec
	s_and_b64 s[30:31], s[38:39], exec
	s_or_b64 s[30:31], s[28:29], s[30:31]
	s_andn2_b64 s[28:29], s[94:95], exec
	s_and_b64 s[94:95], s[36:37], exec
	s_or_b64 s[94:95], s[28:29], s[94:95]
.LBB10_1310:                            ;   in Loop: Header=BB10_1311 Depth=3
	s_or_b64 exec, exec, s[34:35]
	s_and_b64 s[28:29], exec, s[94:95]
	s_or_b64 s[90:91], s[28:29], s[90:91]
	s_andn2_b64 s[28:29], s[92:93], exec
	s_and_b64 s[92:93], s[30:31], exec
	s_or_b64 s[92:93], s[28:29], s[92:93]
	s_andn2_b64 exec, exec, s[90:91]
	s_cbranch_execz .LBB10_1315
.LBB10_1311:                            ;   Parent Loop BB10_47 Depth=1
                                        ;     Parent Loop BB10_1303 Depth=2
                                        ; =>    This Inner Loop Header: Depth=3
	s_sleep 1
	buffer_load_dword v5, off, s[0:3], s33 offset:60 ; 4-byte Folded Reload
	buffer_load_dword v6, off, s[0:3], s33 offset:64 ; 4-byte Folded Reload
	s_or_b64 s[30:31], s[30:31], exec
	s_or_b64 s[94:95], s[94:95], exec
                                        ; implicit-def: $vgpr1
	s_waitcnt vmcnt(0) lgkmcnt(0)
	flat_load_dwordx2 v[48:49], v[5:6] glc
	s_and_saveexec_b64 s[34:35], vcc
	s_cbranch_execz .LBB10_1310
; %bb.1312:                             ;   in Loop: Header=BB10_1311 Depth=3
	s_cmpk_lt_i32 s86, 0x270f
	s_cselect_b64 s[48:49], -1, 0
	s_cmpk_gt_i32 s86, 0x270e
	s_mov_b64 s[36:37], -1
	s_cbranch_scc0 .LBB10_1314
; %bb.1313:                             ;   in Loop: Header=BB10_1311 Depth=3
	s_trap 2
	ds_read_b64 v[5:6], v0
	s_andn2_b64 s[48:49], s[48:49], exec
	s_mov_b32 s86, 0
	s_mov_b64 s[38:39], 0
	s_waitcnt vmcnt(0) lgkmcnt(0)
	flat_load_dword v1, v[5:6] glc
	s_waitcnt vmcnt(0) lgkmcnt(0)
	buffer_wbinvl1_vol
	v_cmp_eq_u32_e64 s[28:29], 0, v1
	s_and_b64 s[28:29], s[28:29], exec
	s_or_b64 s[48:49], s[48:49], s[28:29]
	s_and_saveexec_b64 s[50:51], s[48:49]
	s_cbranch_execz .LBB10_1309
	s_branch .LBB10_1308
.LBB10_1314:                            ;   in Loop: Header=BB10_1311 Depth=3
	s_add_i32 s86, s86, 1
	s_mov_b64 s[38:39], -1
                                        ; implicit-def: $vgpr1
	s_and_saveexec_b64 s[50:51], s[48:49]
	s_cbranch_execz .LBB10_1309
	s_branch .LBB10_1308
.LBB10_1315:                            ;   in Loop: Header=BB10_1303 Depth=2
	s_or_b64 exec, exec, s[90:91]
	s_xor_b64 s[28:29], s[92:93], -1
	s_and_saveexec_b64 s[90:91], s[28:29]
	s_xor_b64 s[28:29], exec, s[90:91]
	s_cbranch_execz .LBB10_1317
; %bb.1316:                             ;   in Loop: Header=BB10_1303 Depth=2
	s_waitcnt lgkmcnt(0)
	ds_write_b32 v0, v1
	s_trap 2
	buffer_load_dword v1, off, s[0:3], s33 offset:68 ; 4-byte Folded Reload
	s_waitcnt vmcnt(0)
	v_or_b32_e32 v1, 64, v1
	buffer_store_dword v1, off, s[0:3], s33 offset:68 ; 4-byte Folded Spill
.LBB10_1317:                            ;   in Loop: Header=BB10_1303 Depth=2
	s_or_b64 exec, exec, s[28:29]
.LBB10_1318:                            ;   in Loop: Header=BB10_1303 Depth=2
	s_or_b64 exec, exec, s[42:43]
	;;#ASMSTART
	s_wakeup
	;;#ASMEND
	buffer_load_dword v1, off, s[0:3], s33 offset:68 ; 4-byte Folded Reload
                                        ; implicit-def: $vgpr8_vgpr9
	s_waitcnt vmcnt(0)
	v_and_b32_e32 v1, 0x108, v1
	v_cmp_ne_u32_e32 vcc, s68, v1
	s_and_saveexec_b64 s[28:29], vcc
	s_xor_b64 s[28:29], exec, s[28:29]
	s_cbranch_execz .LBB10_1320
; %bb.1319:                             ;   in Loop: Header=BB10_1303 Depth=2
	buffer_load_dword v5, off, s[0:3], s33 offset:80 ; 4-byte Folded Reload
	buffer_load_dword v6, off, s[0:3], s33 offset:84 ; 4-byte Folded Reload
	v_mov_b32_e32 v9, v2
	s_waitcnt vmcnt(0)
	v_and_b32_e32 v8, 7, v5
                                        ; implicit-def: $vgpr5_vgpr6
                                        ; kill: killed $vgpr5_vgpr6
.LBB10_1320:                            ;   in Loop: Header=BB10_1303 Depth=2
	s_andn2_saveexec_b64 s[28:29], s[28:29]
	s_cbranch_execz .LBB10_1322
; %bb.1321:                             ;   in Loop: Header=BB10_1303 Depth=2
	buffer_load_dword v5, off, s[0:3], s33 offset:80 ; 4-byte Folded Reload
	buffer_load_dword v6, off, s[0:3], s33 offset:84 ; 4-byte Folded Reload
	;; [unrolled: 1-line block ×6, first 2 shown]
	s_waitcnt vmcnt(0)
	v_and_b32_e32 v8, 7, v5
	v_mad_u64_u32 v[5:6], s[42:43], v8, 24, v[9:10]
	buffer_load_dword v9, off, s[0:3], s33 offset:200 ; 4-byte Folded Reload
	buffer_load_dword v10, off, s[0:3], s33 offset:204 ; 4-byte Folded Reload
	s_waitcnt vmcnt(0)
	v_mov_b32_e32 v1, v9
	buffer_store_dword v1, off, s[0:3], s33 offset:200 ; 4-byte Folded Spill
	s_nop 0
	buffer_store_dword v2, off, s[0:3], s33 offset:204 ; 4-byte Folded Spill
	v_ashrrev_i32_e32 v10, 31, v9
	v_lshlrev_b64 v[10:11], 1, v[9:10]
	flat_store_dwordx2 v[5:6], v[10:11] offset:8
	v_mov_b32_e32 v9, v2
.LBB10_1322:                            ;   in Loop: Header=BB10_1303 Depth=2
	s_or_b64 exec, exec, s[28:29]
	buffer_load_dword v1, off, s[0:3], s33 offset:68 ; 4-byte Folded Reload
	s_mov_b64 s[28:29], -1
                                        ; implicit-def: $vgpr10_vgpr11
	s_waitcnt vmcnt(0)
	v_and_b32_e32 v1, 0x100, v1
	v_cmp_ne_u32_e32 vcc, 0, v1
	s_and_saveexec_b64 s[42:43], vcc
	s_cbranch_execz .LBB10_1326
; %bb.1323:                             ;   in Loop: Header=BB10_1303 Depth=2
	buffer_load_dword v10, off, s[0:3], s33 offset:112 ; 4-byte Folded Reload
	buffer_load_dword v11, off, s[0:3], s33 offset:116 ; 4-byte Folded Reload
	;; [unrolled: 1-line block ×4, first 2 shown]
	s_waitcnt vmcnt(0)
	v_mad_u64_u32 v[12:13], s[28:29], v8, 24, v[10:11]
                                        ; implicit-def: $vgpr10_vgpr11
	v_mov_b32_e32 v1, v13
	v_mad_u64_u32 v[5:6], s[28:29], v9, 24, v[1:2]
	v_mov_b32_e32 v13, v5
	flat_load_dword v1, v[12:13]
	s_waitcnt vmcnt(0) lgkmcnt(0)
	v_cmp_ne_u32_e32 vcc, 1, v1
	v_cmp_eq_u32_e64 s[28:29], 1, v1
	s_and_saveexec_b64 s[90:91], s[28:29]
	s_cbranch_execz .LBB10_1325
; %bb.1324:                             ;   in Loop: Header=BB10_1303 Depth=2
	flat_load_dword v5, v[12:13] offset:4 glc
	s_waitcnt vmcnt(0) lgkmcnt(0)
	v_ashrrev_i32_e32 v6, 31, v5
	v_lshrrev_b64 v[10:11], 1, v[5:6]
.LBB10_1325:                            ;   in Loop: Header=BB10_1303 Depth=2
	s_or_b64 exec, exec, s[90:91]
	s_orn2_b64 s[28:29], vcc, exec
.LBB10_1326:                            ;   in Loop: Header=BB10_1303 Depth=2
	s_or_b64 exec, exec, s[42:43]
	s_and_saveexec_b64 s[42:43], s[28:29]
	s_cbranch_execz .LBB10_1328
; %bb.1327:                             ;   in Loop: Header=BB10_1303 Depth=2
	buffer_load_dword v6, off, s[0:3], s33 offset:140 ; 4-byte Folded Reload
	buffer_load_dword v5, off, s[0:3], s33 offset:160 ; 4-byte Folded Reload
	s_waitcnt vmcnt(0)
	v_mul_lo_u32 v1, v9, v6
	v_mul_lo_u32 v5, v8, v5
	v_mad_u64_u32 v[10:11], s[28:29], v8, v6, 0
	v_add3_u32 v11, v11, v5, v1
.LBB10_1328:                            ;   in Loop: Header=BB10_1303 Depth=2
	s_or_b64 exec, exec, s[42:43]
	buffer_load_dword v6, off, s[0:3], s33 offset:104 ; 4-byte Folded Reload
	buffer_load_dword v7, off, s[0:3], s33 offset:108 ; 4-byte Folded Reload
	v_cmp_eq_u32_e32 vcc, 0, v0
	v_mov_b32_e32 v0, 0x90
	v_mov_b32_e32 v1, 0xd0
	v_cndmask_b32_e32 v5, v1, v0, vcc
	v_lshlrev_b64 v[0:1], 1, v[10:11]
	s_waitcnt vmcnt(0)
	v_add_co_u32_e32 v0, vcc, v6, v0
	v_addc_co_u32_e32 v1, vcc, v7, v1, vcc
	v_add_u32_e32 v5, v0, v5
	ds_write_b64 v5, v[0:1] offset:584
	buffer_load_dword v0, off, s[0:3], s33 offset:68 ; 4-byte Folded Reload
	s_waitcnt vmcnt(0)
	v_and_b32_e32 v0, 0x2000, v0
	v_cmp_ne_u32_e32 vcc, 0, v0
	s_and_saveexec_b64 s[28:29], vcc
	s_cbranch_execz .LBB10_1330
; %bb.1329:                             ;   in Loop: Header=BB10_1303 Depth=2
	ds_read_b64 v[0:1], v0 offset:872
	s_waitcnt lgkmcnt(0)
	v_add_co_u32_e32 v0, vcc, 1, v0
	v_addc_co_u32_e32 v1, vcc, 0, v1, vcc
	ds_write_b64 v0, v[0:1] offset:872
.LBB10_1330:                            ;   in Loop: Header=BB10_1303 Depth=2
	s_or_b64 exec, exec, s[28:29]
	buffer_store_dword v3, off, s[0:3], s33 offset:80 ; 4-byte Folded Spill
	s_nop 0
	buffer_store_dword v4, off, s[0:3], s33 offset:84 ; 4-byte Folded Spill
.LBB10_1331:                            ;   in Loop: Header=BB10_1303 Depth=2
	s_or_b64 exec, exec, s[40:41]
	s_and_saveexec_b64 s[28:29], s[10:11]
	s_cbranch_execz .LBB10_1350
; %bb.1332:                             ;   in Loop: Header=BB10_1303 Depth=2
	s_and_saveexec_b64 s[40:41], s[56:57]
	s_xor_b64 s[40:41], exec, s[40:41]
	s_cbranch_execz .LBB10_1347
; %bb.1333:                             ;   in Loop: Header=BB10_1303 Depth=2
	s_and_saveexec_b64 s[42:43], s[16:17]
	s_cbranch_execz .LBB10_1346
; %bb.1334:                             ;   in Loop: Header=BB10_1303 Depth=2
	s_mov_b64 s[92:93], exec
	v_mbcnt_lo_u32_b32 v0, s92, 0
	v_mbcnt_hi_u32_b32 v0, s93, v0
	v_cmp_eq_u32_e32 vcc, 0, v0
	s_waitcnt vmcnt(0) lgkmcnt(0)
	buffer_wbinvl1_vol
	s_and_saveexec_b64 s[90:91], vcc
	s_cbranch_execz .LBB10_1336
; %bb.1335:                             ;   in Loop: Header=BB10_1303 Depth=2
	s_bcnt1_i32_b64 s92, s[92:93]
	v_mov_b32_e32 v0, s92
	v_mov_b32_e32 v1, v2
	ds_add_u64 v0, v[0:1]
	s_trap 2
.LBB10_1336:                            ;   in Loop: Header=BB10_1303 Depth=2
	s_or_b64 exec, exec, s[90:91]
	s_trap 2
	ds_read_b64 v[0:1], v0
	s_waitcnt lgkmcnt(0)
	buffer_load_dword v3, off, s[0:3], s33 offset:72 ; 4-byte Folded Reload
	buffer_load_dword v4, off, s[0:3], s33 offset:76 ; 4-byte Folded Reload
	;; [unrolled: 1-line block ×3, first 2 shown]
	s_waitcnt vmcnt(0)
	v_add_co_u32_e32 v3, vcc, v3, v5
	v_addc_co_u32_e32 v4, vcc, 0, v4, vcc
	buffer_store_dword v3, off, s[0:3], s33 offset:72 ; 4-byte Folded Spill
	s_nop 0
	buffer_store_dword v4, off, s[0:3], s33 offset:76 ; 4-byte Folded Spill
	v_cmp_lt_u64_e32 vcc, v[0:1], v[3:4]
	s_and_saveexec_b64 s[90:91], vcc
	s_cbranch_execz .LBB10_1345
; %bb.1337:                             ;   in Loop: Header=BB10_1303 Depth=2
	s_mov_b32 s38, 0
	s_mov_b64 s[92:93], 0
                                        ; implicit-def: $sgpr94_sgpr95
                                        ; implicit-def: $sgpr30_sgpr31
	s_branch .LBB10_1339
.LBB10_1338:                            ;   in Loop: Header=BB10_1339 Depth=3
	s_or_b64 exec, exec, s[36:37]
	s_and_b64 vcc, exec, vcc
	s_or_b64 s[92:93], vcc, s[92:93]
	s_andn2_b64 s[94:95], s[94:95], exec
	s_and_b64 vcc, s[30:31], exec
	s_or_b64 s[94:95], s[94:95], vcc
	s_andn2_b64 exec, exec, s[92:93]
	s_cbranch_execz .LBB10_1343
.LBB10_1339:                            ;   Parent Loop BB10_47 Depth=1
                                        ;     Parent Loop BB10_1303 Depth=2
                                        ; =>    This Inner Loop Header: Depth=3
	s_add_i32 s38, s38, 1
	s_cmpk_lg_i32 s38, 0x2710
	s_cselect_b64 s[34:35], -1, 0
	s_and_b64 vcc, exec, s[34:35]
	s_cbranch_vccz .LBB10_1341
; %bb.1340:                             ;   in Loop: Header=BB10_1339 Depth=3
	s_mov_b64 vcc, -1
	s_or_b64 s[30:31], s[30:31], exec
	s_and_saveexec_b64 s[36:37], s[34:35]
	s_cbranch_execz .LBB10_1338
	s_branch .LBB10_1342
.LBB10_1341:                            ;   in Loop: Header=BB10_1339 Depth=3
	s_trap 2
	ds_read_b64 v[0:1], v0
	s_andn2_b64 s[34:35], s[34:35], exec
	s_mov_b32 s38, 0
	s_waitcnt vmcnt(0) lgkmcnt(0)
	flat_load_dword v0, v[0:1] glc
	s_waitcnt vmcnt(0) lgkmcnt(0)
	buffer_wbinvl1_vol
	v_cmp_eq_u32_e32 vcc, 0, v0
	s_and_b64 vcc, vcc, exec
	s_or_b64 s[34:35], s[34:35], vcc
	s_mov_b64 vcc, -1
	s_or_b64 s[30:31], s[30:31], exec
	s_and_saveexec_b64 s[36:37], s[34:35]
	s_cbranch_execz .LBB10_1338
.LBB10_1342:                            ;   in Loop: Header=BB10_1339 Depth=3
	s_sleep 1
	s_trap 2
	ds_read_b64 v[0:1], v0
	s_waitcnt lgkmcnt(0)
	buffer_load_dword v3, off, s[0:3], s33 offset:72 ; 4-byte Folded Reload
	buffer_load_dword v4, off, s[0:3], s33 offset:76 ; 4-byte Folded Reload
	s_andn2_b64 s[30:31], s[30:31], exec
	s_waitcnt vmcnt(0)
	v_cmp_ge_u64_e32 vcc, v[0:1], v[3:4]
	s_orn2_b64 vcc, vcc, exec
	s_branch .LBB10_1338
.LBB10_1343:                            ;   in Loop: Header=BB10_1303 Depth=2
	s_or_b64 exec, exec, s[92:93]
	s_and_saveexec_b64 s[92:93], s[94:95]
	s_xor_b64 s[92:93], exec, s[92:93]
	s_cbranch_execz .LBB10_1345
; %bb.1344:                             ;   in Loop: Header=BB10_1303 Depth=2
	v_mov_b32_e32 v0, 1
	ds_write_b32 v0, v0
	s_trap 2
.LBB10_1345:                            ;   in Loop: Header=BB10_1303 Depth=2
	s_or_b64 exec, exec, s[90:91]
	;;#ASMSTART
	s_wakeup
	;;#ASMEND
.LBB10_1346:                            ;   in Loop: Header=BB10_1303 Depth=2
	s_or_b64 exec, exec, s[42:43]
.LBB10_1347:                            ;   in Loop: Header=BB10_1303 Depth=2
	s_andn2_saveexec_b64 s[40:41], s[40:41]
	s_cbranch_execz .LBB10_1349
; %bb.1348:                             ;   in Loop: Header=BB10_1303 Depth=2
	s_waitcnt vmcnt(0) lgkmcnt(0)
	buffer_wbinvl1_vol
	s_barrier
.LBB10_1349:                            ;   in Loop: Header=BB10_1303 Depth=2
	s_or_b64 exec, exec, s[40:41]
.LBB10_1350:                            ;   in Loop: Header=BB10_1303 Depth=2
	s_or_b64 exec, exec, s[28:29]
	s_trap 2
	buffer_load_dword v1, off, s[0:3], s33 offset:68 ; 4-byte Folded Reload
	ds_read_b32 v0, v0
	s_xor_b64 s[28:29], s[6:7], -1
	s_waitcnt vmcnt(0)
	v_and_b32_e32 v1, 0x4000, v1
	v_cmp_ne_u32_e32 vcc, 0, v1
	s_and_b64 s[40:41], s[28:29], vcc
	s_and_saveexec_b64 s[28:29], s[40:41]
	s_cbranch_execz .LBB10_1369
; %bb.1351:                             ;   in Loop: Header=BB10_1303 Depth=2
	s_and_saveexec_b64 s[40:41], s[56:57]
	s_xor_b64 s[40:41], exec, s[40:41]
	s_cbranch_execz .LBB10_1366
; %bb.1352:                             ;   in Loop: Header=BB10_1303 Depth=2
	s_and_saveexec_b64 s[42:43], s[16:17]
	s_cbranch_execz .LBB10_1365
; %bb.1353:                             ;   in Loop: Header=BB10_1303 Depth=2
	s_mov_b64 s[92:93], exec
	v_mbcnt_lo_u32_b32 v1, s92, 0
	v_mbcnt_hi_u32_b32 v1, s93, v1
	v_cmp_eq_u32_e32 vcc, 0, v1
	s_waitcnt lgkmcnt(0)
	buffer_wbinvl1_vol
	s_and_saveexec_b64 s[90:91], vcc
	s_cbranch_execz .LBB10_1355
; %bb.1354:                             ;   in Loop: Header=BB10_1303 Depth=2
	s_bcnt1_i32_b64 s92, s[92:93]
	v_mov_b32_e32 v3, s92
	v_mov_b32_e32 v4, v2
	ds_add_u64 v0, v[3:4]
	s_trap 2
.LBB10_1355:                            ;   in Loop: Header=BB10_1303 Depth=2
	s_or_b64 exec, exec, s[90:91]
	s_trap 2
	ds_read_b64 v[3:4], v0
	s_waitcnt lgkmcnt(0)
	buffer_load_dword v5, off, s[0:3], s33 offset:72 ; 4-byte Folded Reload
	buffer_load_dword v6, off, s[0:3], s33 offset:76 ; 4-byte Folded Reload
	;; [unrolled: 1-line block ×3, first 2 shown]
	s_waitcnt vmcnt(0)
	v_add_co_u32_e32 v5, vcc, v5, v1
	v_addc_co_u32_e32 v6, vcc, 0, v6, vcc
	buffer_store_dword v5, off, s[0:3], s33 offset:72 ; 4-byte Folded Spill
	s_nop 0
	buffer_store_dword v6, off, s[0:3], s33 offset:76 ; 4-byte Folded Spill
	v_cmp_lt_u64_e32 vcc, v[3:4], v[5:6]
	s_and_saveexec_b64 s[90:91], vcc
	s_cbranch_execz .LBB10_1364
; %bb.1356:                             ;   in Loop: Header=BB10_1303 Depth=2
	s_mov_b32 s38, 0
	s_mov_b64 s[92:93], 0
                                        ; implicit-def: $sgpr94_sgpr95
                                        ; implicit-def: $sgpr30_sgpr31
	s_branch .LBB10_1358
.LBB10_1357:                            ;   in Loop: Header=BB10_1358 Depth=3
	s_or_b64 exec, exec, s[36:37]
	s_and_b64 vcc, exec, vcc
	s_or_b64 s[92:93], vcc, s[92:93]
	s_andn2_b64 s[94:95], s[94:95], exec
	s_and_b64 vcc, s[30:31], exec
	s_or_b64 s[94:95], s[94:95], vcc
	s_andn2_b64 exec, exec, s[92:93]
	s_cbranch_execz .LBB10_1362
.LBB10_1358:                            ;   Parent Loop BB10_47 Depth=1
                                        ;     Parent Loop BB10_1303 Depth=2
                                        ; =>    This Inner Loop Header: Depth=3
	s_add_i32 s38, s38, 1
	s_cmpk_lg_i32 s38, 0x2710
	s_cselect_b64 s[34:35], -1, 0
	s_and_b64 vcc, exec, s[34:35]
	s_cbranch_vccz .LBB10_1360
; %bb.1359:                             ;   in Loop: Header=BB10_1358 Depth=3
	s_mov_b64 vcc, -1
	s_or_b64 s[30:31], s[30:31], exec
	s_and_saveexec_b64 s[36:37], s[34:35]
	s_cbranch_execz .LBB10_1357
	s_branch .LBB10_1361
.LBB10_1360:                            ;   in Loop: Header=BB10_1358 Depth=3
	s_trap 2
	ds_read_b64 v[3:4], v0
	s_andn2_b64 s[34:35], s[34:35], exec
	s_mov_b32 s38, 0
	s_waitcnt vmcnt(0) lgkmcnt(0)
	flat_load_dword v1, v[3:4] glc
	s_waitcnt vmcnt(0) lgkmcnt(0)
	buffer_wbinvl1_vol
	v_cmp_eq_u32_e32 vcc, 0, v1
	s_and_b64 vcc, vcc, exec
	s_or_b64 s[34:35], s[34:35], vcc
	s_mov_b64 vcc, -1
	s_or_b64 s[30:31], s[30:31], exec
	s_and_saveexec_b64 s[36:37], s[34:35]
	s_cbranch_execz .LBB10_1357
.LBB10_1361:                            ;   in Loop: Header=BB10_1358 Depth=3
	s_sleep 1
	s_trap 2
	ds_read_b64 v[3:4], v0
	s_waitcnt lgkmcnt(0)
	buffer_load_dword v5, off, s[0:3], s33 offset:72 ; 4-byte Folded Reload
	buffer_load_dword v6, off, s[0:3], s33 offset:76 ; 4-byte Folded Reload
	s_andn2_b64 s[30:31], s[30:31], exec
	s_waitcnt vmcnt(0)
	v_cmp_ge_u64_e32 vcc, v[3:4], v[5:6]
	s_orn2_b64 vcc, vcc, exec
	s_branch .LBB10_1357
.LBB10_1362:                            ;   in Loop: Header=BB10_1303 Depth=2
	s_or_b64 exec, exec, s[92:93]
	s_and_saveexec_b64 s[92:93], s[94:95]
	s_xor_b64 s[92:93], exec, s[92:93]
	s_cbranch_execz .LBB10_1364
; %bb.1363:                             ;   in Loop: Header=BB10_1303 Depth=2
	v_mov_b32_e32 v1, 1
	ds_write_b32 v0, v1
	s_trap 2
.LBB10_1364:                            ;   in Loop: Header=BB10_1303 Depth=2
	s_or_b64 exec, exec, s[90:91]
	;;#ASMSTART
	s_wakeup
	;;#ASMEND
.LBB10_1365:                            ;   in Loop: Header=BB10_1303 Depth=2
	s_or_b64 exec, exec, s[42:43]
.LBB10_1366:                            ;   in Loop: Header=BB10_1303 Depth=2
	s_andn2_saveexec_b64 s[40:41], s[40:41]
	s_cbranch_execz .LBB10_1368
; %bb.1367:                             ;   in Loop: Header=BB10_1303 Depth=2
	s_waitcnt vmcnt(0) lgkmcnt(0)
	buffer_wbinvl1_vol
	s_barrier
.LBB10_1368:                            ;   in Loop: Header=BB10_1303 Depth=2
	s_or_b64 exec, exec, s[40:41]
.LBB10_1369:                            ;   in Loop: Header=BB10_1303 Depth=2
	s_or_b64 exec, exec, s[28:29]
	s_trap 2
	s_waitcnt lgkmcnt(0)
	ds_read_b64 v[5:6], v0
	s_waitcnt lgkmcnt(0)
	v_cmp_eq_u64_e32 vcc, 0, v[5:6]
	s_cbranch_vccnz .LBB10_1378
; %bb.1370:                             ;   in Loop: Header=BB10_1303 Depth=2
	s_trap 2
	ds_read_b64 v[3:4], v0
	s_waitcnt lgkmcnt(0)
	buffer_store_dword v3, off, s[0:3], s33 offset:224 ; 4-byte Folded Spill
	s_nop 0
	buffer_store_dword v4, off, s[0:3], s33 offset:228 ; 4-byte Folded Spill
	v_cmp_eq_u64_e32 vcc, 0, v[3:4]
	s_cbranch_vccnz .LBB10_1378
; %bb.1371:                             ;   in Loop: Header=BB10_1303 Depth=2
	buffer_store_dword v5, off, s[0:3], s33 offset:240 ; 4-byte Folded Spill
	s_nop 0
	buffer_store_dword v6, off, s[0:3], s33 offset:244 ; 4-byte Folded Spill
	v_cmp_eq_u32_e32 vcc, 0, v0
	buffer_load_dword v0, off, s[0:3], s33 offset:200 ; 4-byte Folded Reload
	buffer_load_dword v1, off, s[0:3], s33 offset:204 ; 4-byte Folded Reload
	s_trap 2
	s_waitcnt vmcnt(1)
	ds_read_b64 v[44:45], v0
	v_cndmask_b32_e32 v62, 0, v0, vcc
	v_lshlrev_b32_e32 v6, 1, v62
	buffer_store_dword v6, off, s[0:3], s33 offset:232 ; 4-byte Folded Spill
	s_waitcnt lgkmcnt(0)
	v_cmp_ne_u64_e32 vcc, 0, v[44:45]
	s_cbranch_vccz .LBB10_1383
; %bb.1372:                             ;   in Loop: Header=BB10_1303 Depth=2
	s_mov_b64 s[40:41], -1
	s_and_saveexec_b64 s[28:29], s[22:23]
	s_cbranch_execz .LBB10_1374
; %bb.1373:                             ;   in Loop: Header=BB10_1303 Depth=2
	ds_read_b32 v0, v0 offset:720
	s_waitcnt lgkmcnt(0)
	v_and_b32_e32 v0, 15, v0
	v_cmp_eq_u32_e32 vcc, 0, v0
	s_orn2_b64 s[40:41], vcc, exec
.LBB10_1374:                            ;   in Loop: Header=BB10_1303 Depth=2
	s_or_b64 exec, exec, s[28:29]
	s_and_saveexec_b64 s[28:29], s[22:23]
	s_cbranch_execz .LBB10_1376
; %bb.1375:                             ;   in Loop: Header=BB10_1303 Depth=2
	ds_read_b32 v0, v0 offset:784
	s_waitcnt lgkmcnt(0)
	v_and_b32_e32 v0, 15, v0
	v_cmp_eq_u32_e32 vcc, 0, v0
	s_and_b64 s[42:43], s[40:41], vcc
	s_andn2_b64 s[40:41], s[40:41], exec
	s_and_b64 s[42:43], s[42:43], exec
	s_or_b64 s[40:41], s[40:41], s[42:43]
.LBB10_1376:                            ;   in Loop: Header=BB10_1303 Depth=2
	s_or_b64 exec, exec, s[28:29]
	s_xor_b64 s[40:41], s[40:41], -1
	s_waitcnt vmcnt(1)
	v_cndmask_b32_e64 v1, 0, 1, s[40:41]
	v_cmp_ne_u32_e32 vcc, 0, v1
	v_mov_b32_e32 v1, v6
	buffer_load_dword v6, off, s[0:3], s33 offset:180 ; 4-byte Folded Reload
	s_mov_b64 s[28:29], -1
	v_mov_b32_e32 v0, 0
	s_cbranch_vccz .LBB10_1385
; %bb.1377:                             ;   in Loop: Header=BB10_1303 Depth=2
	s_and_saveexec_b64 s[42:43], s[28:29]
	s_cbranch_execnz .LBB10_1718
	s_branch .LBB10_1864
.LBB10_1378:                            ;   in Loop: Header=BB10_1303 Depth=2
	s_mov_b64 s[28:29], 0
	s_and_saveexec_b64 s[40:41], s[10:11]
	s_cbranch_execnz .LBB10_2347
.LBB10_1379:                            ;   in Loop: Header=BB10_1303 Depth=2
	s_or_b64 exec, exec, s[40:41]
                                        ; implicit-def: $vgpr0
	s_and_saveexec_b64 s[40:41], s[24:25]
	s_xor_b64 s[40:41], exec, s[40:41]
	s_cbranch_execz .LBB10_2365
.LBB10_1380:                            ;   in Loop: Header=BB10_1303 Depth=2
	buffer_load_dword v1, off, s[0:3], s33 offset:68 ; 4-byte Folded Reload
	s_waitcnt vmcnt(0)
	v_and_b32_e32 v0, 16, v1
	v_and_b32_e32 v1, 16, v1
	v_cmp_ne_u32_e32 vcc, 0, v1
	s_and_b64 s[42:43], vcc, s[28:29]
	s_and_saveexec_b64 s[28:29], s[42:43]
	s_cbranch_execz .LBB10_1382
; %bb.1381:                             ;   in Loop: Header=BB10_1303 Depth=2
	v_mov_b32_e32 v0, 1
	s_waitcnt lgkmcnt(0)
	buffer_wbinvl1_vol
.LBB10_1382:                            ;   in Loop: Header=BB10_1303 Depth=2
	s_or_b64 exec, exec, s[28:29]
	s_andn2_saveexec_b64 s[28:29], s[40:41]
	s_cbranch_execz .LBB10_2384
	s_branch .LBB10_2366
.LBB10_1383:                            ;   in Loop: Header=BB10_1303 Depth=2
	s_cbranch_execnz .LBB10_1865
.LBB10_1384:                            ;   in Loop: Header=BB10_1303 Depth=2
	v_cmp_lt_i32_e64 s[28:29], 0, v62
	s_and_saveexec_b64 s[40:41], s[10:11]
	s_cbranch_execnz .LBB10_2347
	s_branch .LBB10_1379
.LBB10_1385:                            ;   in Loop: Header=BB10_1303 Depth=2
	v_lshlrev_b32_e32 v1, 1, v62
	v_ashrrev_i32_e32 v0, 31, v1
	v_lshrrev_b32_e32 v0, 20, v0
	v_add_u32_e32 v0, v1, v0
	v_ashrrev_i32_e32 v3, 12, v0
	buffer_load_dword v0, off, s[0:3], s33 offset:216 ; 4-byte Folded Reload
	s_waitcnt vmcnt(0)
	v_sub_u32_e32 v47, v3, v0
	v_cmp_lt_i32_e32 vcc, 0, v47
	s_and_saveexec_b64 s[28:29], vcc
	s_cbranch_execz .LBB10_1645
; %bb.1386:                             ;   in Loop: Header=BB10_1303 Depth=2
	buffer_store_dword v3, off, s[0:3], s33 offset:268 ; 4-byte Folded Spill
	buffer_store_dword v62, off, s[0:3], s33 offset:256 ; 4-byte Folded Spill
	s_trap 2
	ds_read_b64 v[0:1], v0
	buffer_load_dword v4, off, s[0:3], s33 offset:316 ; 4-byte Folded Reload
	buffer_load_dword v5, off, s[0:3], s33 offset:240 ; 4-byte Folded Reload
	;; [unrolled: 1-line block ×3, first 2 shown]
	s_mov_b64 s[40:41], 0
	s_waitcnt lgkmcnt(0)
	ds_read_b32 v3, v0
	buffer_store_dword v44, off, s[0:3], s33 offset:260 ; 4-byte Folded Spill
	s_nop 0
	buffer_store_dword v45, off, s[0:3], s33 offset:264 ; 4-byte Folded Spill
	buffer_load_dword v60, off, s[0:3], s33 offset:224 ; 4-byte Folded Reload
	buffer_load_dword v61, off, s[0:3], s33 offset:228 ; 4-byte Folded Reload
	s_waitcnt lgkmcnt(0)
	v_lshlrev_b32_e32 v57, 16, v3
	s_waitcnt vmcnt(5)
	v_add_co_u32_e32 v30, vcc, v5, v4
	s_waitcnt vmcnt(4)
	v_addc_co_u32_e32 v31, vcc, 0, v6, vcc
	v_add_co_u32_e32 v24, vcc, v0, v4
	v_mov_b32_e32 v28, v44
	v_addc_co_u32_e32 v25, vcc, 0, v1, vcc
	v_mov_b32_e32 v29, v45
	s_branch .LBB10_1388
.LBB10_1387:                            ;   in Loop: Header=BB10_1388 Depth=3
	s_or_b64 exec, exec, s[42:43]
	v_lshrrev_b32_e32 v4, 16, v4
	v_and_or_b32 v11, v12, s66, v4
	v_lshrrev_b32_e32 v4, 16, v19
	v_and_or_b32 v10, v3, s66, v4
	;; [unrolled: 2-line block ×9, first 2 shown]
	buffer_load_dword v3, off, s[0:3], s33 offset:220 ; 4-byte Folded Reload
	v_lshrrev_b32_e32 v0, 16, v0
	v_and_or_b32 v21, v23, s66, v0
	buffer_load_dword v0, off, s[0:3], s33 offset:316 ; 4-byte Folded Reload
	s_waitcnt vmcnt(1)
	v_lshrrev_b32_e32 v3, 16, v3
	v_and_or_b32 v18, v20, s66, v3
	v_lshrrev_b32_e32 v3, 16, v39
	v_and_or_b32 v20, v22, s66, v3
	s_waitcnt vmcnt(0)
	v_add_co_u32_e32 v22, vcc, v0, v60
	v_addc_co_u32_e32 v23, vcc, 0, v61, vcc
	v_add_co_u32_e32 v26, vcc, v0, v28
	v_lshrrev_b32_e32 v0, 16, v35
	v_and_or_b32 v4, v9, s66, v0
	v_lshrrev_b32_e32 v0, 16, v34
	v_and_or_b32 v3, v8, s66, v0
	;; [unrolled: 2-line block ×3, first 2 shown]
	v_lshrrev_b32_e32 v0, 16, v7
	v_addc_co_u32_e32 v27, vcc, 0, v29, vcc
	v_and_or_b32 v6, v1, s66, v0
	global_store_dwordx4 v[22:23], v[18:21], off glc slc
	global_store_dwordx4 v[22:23], v[14:17], off offset:1024 glc slc
	global_store_dwordx4 v[22:23], v[10:13], off offset:2048 glc slc
	;; [unrolled: 1-line block ×3, first 2 shown]
	global_store_dwordx4 v[26:27], v[18:21], off glc slc
	global_store_dwordx4 v[26:27], v[14:17], off offset:1024 glc slc
	global_store_dwordx4 v[26:27], v[10:13], off offset:2048 glc slc
	;; [unrolled: 1-line block ×3, first 2 shown]
	buffer_load_dword v1, off, s[0:3], s33 offset:100 ; 4-byte Folded Reload
	buffer_load_dword v0, off, s[0:3], s33 offset:88 ; 4-byte Folded Reload
	s_waitcnt vmcnt(1)
	v_add_co_u32_e32 v30, vcc, v30, v1
	v_addc_co_u32_e32 v31, vcc, 0, v31, vcc
	v_add_co_u32_e32 v24, vcc, v24, v1
	v_addc_co_u32_e32 v25, vcc, 0, v25, vcc
	v_add_co_u32_e32 v60, vcc, v60, v1
	s_waitcnt vmcnt(0)
	v_sub_u32_e32 v47, v47, v0
	v_addc_co_u32_e32 v61, vcc, 0, v61, vcc
	v_cmp_gt_i32_e32 vcc, 1, v47
	s_or_b64 s[40:41], vcc, s[40:41]
	v_add_co_u32_e32 v28, vcc, v28, v1
	v_addc_co_u32_e32 v29, vcc, 0, v29, vcc
	s_andn2_b64 exec, exec, s[40:41]
	s_cbranch_execz .LBB10_1644
.LBB10_1388:                            ;   Parent Loop BB10_47 Depth=1
                                        ;     Parent Loop BB10_1303 Depth=2
                                        ; =>    This Inner Loop Header: Depth=3
	global_load_dwordx4 v[8:11], v[30:31], off glc slc
                                        ; implicit-def: $vgpr62
	s_waitcnt vmcnt(0)
	v_lshlrev_b32_e32 v0, 16, v8
	v_mul_f32_e32 v0, v57, v0
	v_and_b32_e32 v1, 0x7f800000, v0
	v_cmp_ne_u32_e32 vcc, s64, v1
	s_and_saveexec_b64 s[42:43], vcc
	s_xor_b64 s[42:43], exec, s[42:43]
; %bb.1389:                             ;   in Loop: Header=BB10_1388 Depth=3
	v_bfe_u32 v1, v0, 16, 1
	v_add3_u32 v62, v0, v1, s65
                                        ; implicit-def: $vgpr0
; %bb.1390:                             ;   in Loop: Header=BB10_1388 Depth=3
	s_andn2_saveexec_b64 s[42:43], s[42:43]
; %bb.1391:                             ;   in Loop: Header=BB10_1388 Depth=3
	v_or_b32_e32 v1, 0x10000, v0
	v_cmp_eq_u32_sdwa vcc, v0, v2 src0_sel:WORD_0 src1_sel:DWORD
	v_cndmask_b32_e32 v62, v1, v0, vcc
; %bb.1392:                             ;   in Loop: Header=BB10_1388 Depth=3
	s_or_b64 exec, exec, s[42:43]
	v_and_b32_e32 v0, 0xffff0000, v8
	v_mul_f32_e32 v0, v57, v0
	v_and_b32_e32 v1, 0x7f800000, v0
	v_cmp_ne_u32_e32 vcc, s64, v1
                                        ; implicit-def: $vgpr38
	s_and_saveexec_b64 s[42:43], vcc
	s_xor_b64 s[42:43], exec, s[42:43]
; %bb.1393:                             ;   in Loop: Header=BB10_1388 Depth=3
	v_bfe_u32 v1, v0, 16, 1
	v_add3_u32 v38, v0, v1, s65
                                        ; implicit-def: $vgpr0
; %bb.1394:                             ;   in Loop: Header=BB10_1388 Depth=3
	s_andn2_saveexec_b64 s[42:43], s[42:43]
; %bb.1395:                             ;   in Loop: Header=BB10_1388 Depth=3
	v_or_b32_e32 v1, 0x10000, v0
	v_cmp_eq_u32_sdwa vcc, v0, v2 src0_sel:WORD_0 src1_sel:DWORD
	v_cndmask_b32_e32 v38, v1, v0, vcc
; %bb.1396:                             ;   in Loop: Header=BB10_1388 Depth=3
	s_or_b64 exec, exec, s[42:43]
	v_lshlrev_b32_e32 v0, 16, v9
	v_mul_f32_e32 v0, v57, v0
	v_and_b32_e32 v1, 0x7f800000, v0
	v_cmp_ne_u32_e32 vcc, s64, v1
                                        ; implicit-def: $vgpr39
	s_and_saveexec_b64 s[42:43], vcc
	s_xor_b64 s[42:43], exec, s[42:43]
; %bb.1397:                             ;   in Loop: Header=BB10_1388 Depth=3
	v_bfe_u32 v1, v0, 16, 1
	v_add3_u32 v39, v0, v1, s65
                                        ; implicit-def: $vgpr0
; %bb.1398:                             ;   in Loop: Header=BB10_1388 Depth=3
	s_andn2_saveexec_b64 s[42:43], s[42:43]
; %bb.1399:                             ;   in Loop: Header=BB10_1388 Depth=3
	v_or_b32_e32 v1, 0x10000, v0
	v_cmp_eq_u32_sdwa vcc, v0, v2 src0_sel:WORD_0 src1_sel:DWORD
	v_cndmask_b32_e32 v39, v1, v0, vcc
; %bb.1400:                             ;   in Loop: Header=BB10_1388 Depth=3
	s_or_b64 exec, exec, s[42:43]
	v_and_b32_e32 v0, 0xffff0000, v9
	v_mul_f32_e32 v0, v57, v0
	v_and_b32_e32 v1, 0x7f800000, v0
	v_cmp_ne_u32_e32 vcc, s64, v1
                                        ; implicit-def: $vgpr40
	s_and_saveexec_b64 s[42:43], vcc
	s_xor_b64 s[42:43], exec, s[42:43]
; %bb.1401:                             ;   in Loop: Header=BB10_1388 Depth=3
	v_bfe_u32 v1, v0, 16, 1
	v_add3_u32 v40, v0, v1, s65
                                        ; implicit-def: $vgpr0
; %bb.1402:                             ;   in Loop: Header=BB10_1388 Depth=3
	s_andn2_saveexec_b64 s[42:43], s[42:43]
; %bb.1403:                             ;   in Loop: Header=BB10_1388 Depth=3
	v_or_b32_e32 v1, 0x10000, v0
	v_cmp_eq_u32_sdwa vcc, v0, v2 src0_sel:WORD_0 src1_sel:DWORD
	v_cndmask_b32_e32 v40, v1, v0, vcc
; %bb.1404:                             ;   in Loop: Header=BB10_1388 Depth=3
	s_or_b64 exec, exec, s[42:43]
	v_lshlrev_b32_e32 v0, 16, v10
	v_mul_f32_e32 v0, v57, v0
	v_and_b32_e32 v1, 0x7f800000, v0
	v_cmp_ne_u32_e32 vcc, s64, v1
                                        ; implicit-def: $vgpr41
	s_and_saveexec_b64 s[42:43], vcc
	s_xor_b64 s[42:43], exec, s[42:43]
; %bb.1405:                             ;   in Loop: Header=BB10_1388 Depth=3
	v_bfe_u32 v1, v0, 16, 1
	v_add3_u32 v41, v0, v1, s65
                                        ; implicit-def: $vgpr0
; %bb.1406:                             ;   in Loop: Header=BB10_1388 Depth=3
	s_andn2_saveexec_b64 s[42:43], s[42:43]
; %bb.1407:                             ;   in Loop: Header=BB10_1388 Depth=3
	v_or_b32_e32 v1, 0x10000, v0
	v_cmp_eq_u32_sdwa vcc, v0, v2 src0_sel:WORD_0 src1_sel:DWORD
	v_cndmask_b32_e32 v41, v1, v0, vcc
; %bb.1408:                             ;   in Loop: Header=BB10_1388 Depth=3
	s_or_b64 exec, exec, s[42:43]
	v_and_b32_e32 v0, 0xffff0000, v10
	v_mul_f32_e32 v0, v57, v0
	v_and_b32_e32 v1, 0x7f800000, v0
	v_cmp_ne_u32_e32 vcc, s64, v1
                                        ; implicit-def: $vgpr56
	s_and_saveexec_b64 s[42:43], vcc
	s_xor_b64 s[42:43], exec, s[42:43]
; %bb.1409:                             ;   in Loop: Header=BB10_1388 Depth=3
	v_bfe_u32 v1, v0, 16, 1
	v_add3_u32 v56, v0, v1, s65
                                        ; implicit-def: $vgpr0
; %bb.1410:                             ;   in Loop: Header=BB10_1388 Depth=3
	s_andn2_saveexec_b64 s[42:43], s[42:43]
; %bb.1411:                             ;   in Loop: Header=BB10_1388 Depth=3
	v_or_b32_e32 v1, 0x10000, v0
	v_cmp_eq_u32_sdwa vcc, v0, v2 src0_sel:WORD_0 src1_sel:DWORD
	v_cndmask_b32_e32 v56, v1, v0, vcc
; %bb.1412:                             ;   in Loop: Header=BB10_1388 Depth=3
	s_or_b64 exec, exec, s[42:43]
	v_lshlrev_b32_e32 v0, 16, v11
	v_mul_f32_e32 v1, v57, v0
	v_and_b32_e32 v0, 0x7f800000, v1
	v_cmp_ne_u32_e32 vcc, s64, v0
                                        ; implicit-def: $vgpr0
	s_and_saveexec_b64 s[42:43], vcc
	s_xor_b64 s[42:43], exec, s[42:43]
; %bb.1413:                             ;   in Loop: Header=BB10_1388 Depth=3
	v_bfe_u32 v0, v1, 16, 1
	v_add3_u32 v0, v1, v0, s65
                                        ; implicit-def: $vgpr1
; %bb.1414:                             ;   in Loop: Header=BB10_1388 Depth=3
	s_andn2_saveexec_b64 s[42:43], s[42:43]
; %bb.1415:                             ;   in Loop: Header=BB10_1388 Depth=3
	v_or_b32_e32 v0, 0x10000, v1
	v_cmp_eq_u32_sdwa vcc, v1, v2 src0_sel:WORD_0 src1_sel:DWORD
	v_cndmask_b32_e32 v0, v0, v1, vcc
; %bb.1416:                             ;   in Loop: Header=BB10_1388 Depth=3
	s_or_b64 exec, exec, s[42:43]
	v_and_b32_e32 v1, 0xffff0000, v11
	v_mul_f32_e32 v1, v57, v1
	v_and_b32_e32 v3, 0x7f800000, v1
	v_cmp_ne_u32_e32 vcc, s64, v3
                                        ; implicit-def: $vgpr59
	s_and_saveexec_b64 s[42:43], vcc
	s_xor_b64 s[42:43], exec, s[42:43]
; %bb.1417:                             ;   in Loop: Header=BB10_1388 Depth=3
	v_bfe_u32 v3, v1, 16, 1
	v_add3_u32 v59, v1, v3, s65
                                        ; implicit-def: $vgpr1
; %bb.1418:                             ;   in Loop: Header=BB10_1388 Depth=3
	s_andn2_saveexec_b64 s[42:43], s[42:43]
; %bb.1419:                             ;   in Loop: Header=BB10_1388 Depth=3
	v_or_b32_e32 v3, 0x10000, v1
	v_cmp_eq_u32_sdwa vcc, v1, v2 src0_sel:WORD_0 src1_sel:DWORD
	v_cndmask_b32_e32 v59, v3, v1, vcc
; %bb.1420:                             ;   in Loop: Header=BB10_1388 Depth=3
	s_or_b64 exec, exec, s[42:43]
	global_load_dwordx4 v[8:11], v[30:31], off offset:1024 glc slc
                                        ; implicit-def: $vgpr46
	s_waitcnt vmcnt(0)
	v_lshlrev_b32_e32 v1, 16, v8
	v_mul_f32_e32 v1, v57, v1
	v_and_b32_e32 v3, 0x7f800000, v1
	v_cmp_ne_u32_e32 vcc, s64, v3
	s_and_saveexec_b64 s[42:43], vcc
	s_xor_b64 s[42:43], exec, s[42:43]
; %bb.1421:                             ;   in Loop: Header=BB10_1388 Depth=3
	v_bfe_u32 v3, v1, 16, 1
	v_add3_u32 v46, v1, v3, s65
                                        ; implicit-def: $vgpr1
; %bb.1422:                             ;   in Loop: Header=BB10_1388 Depth=3
	s_andn2_saveexec_b64 s[42:43], s[42:43]
; %bb.1423:                             ;   in Loop: Header=BB10_1388 Depth=3
	v_or_b32_e32 v3, 0x10000, v1
	v_cmp_eq_u32_sdwa vcc, v1, v2 src0_sel:WORD_0 src1_sel:DWORD
	v_cndmask_b32_e32 v46, v3, v1, vcc
; %bb.1424:                             ;   in Loop: Header=BB10_1388 Depth=3
	s_or_b64 exec, exec, s[42:43]
	v_and_b32_e32 v1, 0xffff0000, v8
	v_mul_f32_e32 v1, v57, v1
	v_and_b32_e32 v3, 0x7f800000, v1
	v_cmp_ne_u32_e32 vcc, s64, v3
                                        ; implicit-def: $vgpr50
	s_and_saveexec_b64 s[42:43], vcc
	s_xor_b64 s[42:43], exec, s[42:43]
; %bb.1425:                             ;   in Loop: Header=BB10_1388 Depth=3
	v_bfe_u32 v3, v1, 16, 1
	v_add3_u32 v50, v1, v3, s65
                                        ; implicit-def: $vgpr1
; %bb.1426:                             ;   in Loop: Header=BB10_1388 Depth=3
	s_andn2_saveexec_b64 s[42:43], s[42:43]
; %bb.1427:                             ;   in Loop: Header=BB10_1388 Depth=3
	v_or_b32_e32 v3, 0x10000, v1
	v_cmp_eq_u32_sdwa vcc, v1, v2 src0_sel:WORD_0 src1_sel:DWORD
	v_cndmask_b32_e32 v50, v3, v1, vcc
; %bb.1428:                             ;   in Loop: Header=BB10_1388 Depth=3
	s_or_b64 exec, exec, s[42:43]
	v_lshlrev_b32_e32 v1, 16, v9
	v_mul_f32_e32 v1, v57, v1
	v_and_b32_e32 v3, 0x7f800000, v1
	v_cmp_ne_u32_e32 vcc, s64, v3
                                        ; implicit-def: $vgpr58
	s_and_saveexec_b64 s[42:43], vcc
	s_xor_b64 s[42:43], exec, s[42:43]
; %bb.1429:                             ;   in Loop: Header=BB10_1388 Depth=3
	v_bfe_u32 v3, v1, 16, 1
	v_add3_u32 v58, v1, v3, s65
                                        ; implicit-def: $vgpr1
; %bb.1430:                             ;   in Loop: Header=BB10_1388 Depth=3
	s_andn2_saveexec_b64 s[42:43], s[42:43]
; %bb.1431:                             ;   in Loop: Header=BB10_1388 Depth=3
	v_or_b32_e32 v3, 0x10000, v1
	v_cmp_eq_u32_sdwa vcc, v1, v2 src0_sel:WORD_0 src1_sel:DWORD
	v_cndmask_b32_e32 v58, v3, v1, vcc
; %bb.1432:                             ;   in Loop: Header=BB10_1388 Depth=3
	s_or_b64 exec, exec, s[42:43]
	v_and_b32_e32 v1, 0xffff0000, v9
	v_mul_f32_e32 v1, v57, v1
	v_and_b32_e32 v3, 0x7f800000, v1
	v_cmp_ne_u32_e32 vcc, s64, v3
                                        ; implicit-def: $vgpr51
	s_and_saveexec_b64 s[42:43], vcc
	s_xor_b64 s[42:43], exec, s[42:43]
; %bb.1433:                             ;   in Loop: Header=BB10_1388 Depth=3
	v_bfe_u32 v3, v1, 16, 1
	v_add3_u32 v51, v1, v3, s65
                                        ; implicit-def: $vgpr1
; %bb.1434:                             ;   in Loop: Header=BB10_1388 Depth=3
	s_andn2_saveexec_b64 s[42:43], s[42:43]
; %bb.1435:                             ;   in Loop: Header=BB10_1388 Depth=3
	v_or_b32_e32 v3, 0x10000, v1
	v_cmp_eq_u32_sdwa vcc, v1, v2 src0_sel:WORD_0 src1_sel:DWORD
	v_cndmask_b32_e32 v51, v3, v1, vcc
; %bb.1436:                             ;   in Loop: Header=BB10_1388 Depth=3
	s_or_b64 exec, exec, s[42:43]
	v_lshlrev_b32_e32 v1, 16, v10
	v_mul_f32_e32 v1, v57, v1
	v_and_b32_e32 v3, 0x7f800000, v1
	v_cmp_ne_u32_e32 vcc, s64, v3
                                        ; implicit-def: $vgpr42
	s_and_saveexec_b64 s[42:43], vcc
	s_xor_b64 s[42:43], exec, s[42:43]
; %bb.1437:                             ;   in Loop: Header=BB10_1388 Depth=3
	v_bfe_u32 v3, v1, 16, 1
	v_add3_u32 v42, v1, v3, s65
                                        ; implicit-def: $vgpr1
; %bb.1438:                             ;   in Loop: Header=BB10_1388 Depth=3
	s_andn2_saveexec_b64 s[42:43], s[42:43]
; %bb.1439:                             ;   in Loop: Header=BB10_1388 Depth=3
	v_or_b32_e32 v3, 0x10000, v1
	v_cmp_eq_u32_sdwa vcc, v1, v2 src0_sel:WORD_0 src1_sel:DWORD
	v_cndmask_b32_e32 v42, v3, v1, vcc
; %bb.1440:                             ;   in Loop: Header=BB10_1388 Depth=3
	s_or_b64 exec, exec, s[42:43]
	v_and_b32_e32 v1, 0xffff0000, v10
	v_mul_f32_e32 v1, v57, v1
	v_and_b32_e32 v3, 0x7f800000, v1
	v_cmp_ne_u32_e32 vcc, s64, v3
                                        ; implicit-def: $vgpr26
	s_and_saveexec_b64 s[42:43], vcc
	s_xor_b64 s[42:43], exec, s[42:43]
; %bb.1441:                             ;   in Loop: Header=BB10_1388 Depth=3
	v_bfe_u32 v3, v1, 16, 1
	v_add3_u32 v26, v1, v3, s65
                                        ; implicit-def: $vgpr1
; %bb.1442:                             ;   in Loop: Header=BB10_1388 Depth=3
	s_andn2_saveexec_b64 s[42:43], s[42:43]
; %bb.1443:                             ;   in Loop: Header=BB10_1388 Depth=3
	v_or_b32_e32 v3, 0x10000, v1
	v_cmp_eq_u32_sdwa vcc, v1, v2 src0_sel:WORD_0 src1_sel:DWORD
	v_cndmask_b32_e32 v26, v3, v1, vcc
; %bb.1444:                             ;   in Loop: Header=BB10_1388 Depth=3
	s_or_b64 exec, exec, s[42:43]
	v_lshlrev_b32_e32 v1, 16, v11
	v_mul_f32_e32 v1, v57, v1
	v_and_b32_e32 v3, 0x7f800000, v1
	v_cmp_ne_u32_e32 vcc, s64, v3
                                        ; implicit-def: $vgpr27
	s_and_saveexec_b64 s[42:43], vcc
	s_xor_b64 s[42:43], exec, s[42:43]
; %bb.1445:                             ;   in Loop: Header=BB10_1388 Depth=3
	v_bfe_u32 v3, v1, 16, 1
	v_add3_u32 v27, v1, v3, s65
                                        ; implicit-def: $vgpr1
; %bb.1446:                             ;   in Loop: Header=BB10_1388 Depth=3
	s_andn2_saveexec_b64 s[42:43], s[42:43]
; %bb.1447:                             ;   in Loop: Header=BB10_1388 Depth=3
	v_or_b32_e32 v3, 0x10000, v1
	v_cmp_eq_u32_sdwa vcc, v1, v2 src0_sel:WORD_0 src1_sel:DWORD
	v_cndmask_b32_e32 v27, v3, v1, vcc
; %bb.1448:                             ;   in Loop: Header=BB10_1388 Depth=3
	s_or_b64 exec, exec, s[42:43]
	v_and_b32_e32 v1, 0xffff0000, v11
	v_mul_f32_e32 v1, v57, v1
	v_and_b32_e32 v3, 0x7f800000, v1
	v_cmp_ne_u32_e32 vcc, s64, v3
                                        ; implicit-def: $vgpr5
	s_and_saveexec_b64 s[42:43], vcc
	s_xor_b64 s[42:43], exec, s[42:43]
; %bb.1449:                             ;   in Loop: Header=BB10_1388 Depth=3
	v_bfe_u32 v3, v1, 16, 1
	v_add3_u32 v5, v1, v3, s65
                                        ; implicit-def: $vgpr1
; %bb.1450:                             ;   in Loop: Header=BB10_1388 Depth=3
	s_andn2_saveexec_b64 s[42:43], s[42:43]
; %bb.1451:                             ;   in Loop: Header=BB10_1388 Depth=3
	v_or_b32_e32 v3, 0x10000, v1
	v_cmp_eq_u32_sdwa vcc, v1, v2 src0_sel:WORD_0 src1_sel:DWORD
	v_cndmask_b32_e32 v5, v3, v1, vcc
; %bb.1452:                             ;   in Loop: Header=BB10_1388 Depth=3
	s_or_b64 exec, exec, s[42:43]
	global_load_dwordx4 v[8:11], v[30:31], off offset:2048 glc slc
                                        ; implicit-def: $vgpr44
	s_waitcnt vmcnt(0)
	v_lshlrev_b32_e32 v1, 16, v8
	v_mul_f32_e32 v1, v57, v1
	v_and_b32_e32 v3, 0x7f800000, v1
	v_cmp_ne_u32_e32 vcc, s64, v3
	s_and_saveexec_b64 s[42:43], vcc
	s_xor_b64 s[42:43], exec, s[42:43]
; %bb.1453:                             ;   in Loop: Header=BB10_1388 Depth=3
	v_bfe_u32 v3, v1, 16, 1
	v_add3_u32 v44, v1, v3, s65
                                        ; implicit-def: $vgpr1
; %bb.1454:                             ;   in Loop: Header=BB10_1388 Depth=3
	s_andn2_saveexec_b64 s[42:43], s[42:43]
; %bb.1455:                             ;   in Loop: Header=BB10_1388 Depth=3
	v_or_b32_e32 v3, 0x10000, v1
	v_cmp_eq_u32_sdwa vcc, v1, v2 src0_sel:WORD_0 src1_sel:DWORD
	v_cndmask_b32_e32 v44, v3, v1, vcc
; %bb.1456:                             ;   in Loop: Header=BB10_1388 Depth=3
	s_or_b64 exec, exec, s[42:43]
	v_and_b32_e32 v1, 0xffff0000, v8
	v_mul_f32_e32 v1, v57, v1
	v_and_b32_e32 v3, 0x7f800000, v1
	v_cmp_ne_u32_e32 vcc, s64, v3
                                        ; implicit-def: $vgpr3
	s_and_saveexec_b64 s[42:43], vcc
	s_xor_b64 s[42:43], exec, s[42:43]
; %bb.1457:                             ;   in Loop: Header=BB10_1388 Depth=3
	v_bfe_u32 v3, v1, 16, 1
	v_add3_u32 v3, v1, v3, s65
                                        ; implicit-def: $vgpr1
; %bb.1458:                             ;   in Loop: Header=BB10_1388 Depth=3
	s_andn2_saveexec_b64 s[42:43], s[42:43]
; %bb.1459:                             ;   in Loop: Header=BB10_1388 Depth=3
	v_or_b32_e32 v3, 0x10000, v1
	v_cmp_eq_u32_sdwa vcc, v1, v2 src0_sel:WORD_0 src1_sel:DWORD
	v_cndmask_b32_e32 v3, v3, v1, vcc
; %bb.1460:                             ;   in Loop: Header=BB10_1388 Depth=3
	s_or_b64 exec, exec, s[42:43]
	v_lshlrev_b32_e32 v1, 16, v9
	v_mul_f32_e32 v1, v57, v1
	v_and_b32_e32 v4, 0x7f800000, v1
	v_cmp_ne_u32_e32 vcc, s64, v4
                                        ; implicit-def: $vgpr4
	s_and_saveexec_b64 s[42:43], vcc
	s_xor_b64 s[42:43], exec, s[42:43]
; %bb.1461:                             ;   in Loop: Header=BB10_1388 Depth=3
	v_bfe_u32 v4, v1, 16, 1
	v_add3_u32 v4, v1, v4, s65
                                        ; implicit-def: $vgpr1
; %bb.1462:                             ;   in Loop: Header=BB10_1388 Depth=3
	s_andn2_saveexec_b64 s[42:43], s[42:43]
; %bb.1463:                             ;   in Loop: Header=BB10_1388 Depth=3
	v_or_b32_e32 v4, 0x10000, v1
	v_cmp_eq_u32_sdwa vcc, v1, v2 src0_sel:WORD_0 src1_sel:DWORD
	v_cndmask_b32_e32 v4, v4, v1, vcc
; %bb.1464:                             ;   in Loop: Header=BB10_1388 Depth=3
	s_or_b64 exec, exec, s[42:43]
	v_and_b32_e32 v1, 0xffff0000, v9
	v_mul_f32_e32 v1, v57, v1
	v_and_b32_e32 v6, 0x7f800000, v1
	v_cmp_ne_u32_e32 vcc, s64, v6
                                        ; implicit-def: $vgpr34
	s_and_saveexec_b64 s[42:43], vcc
	s_xor_b64 s[42:43], exec, s[42:43]
; %bb.1465:                             ;   in Loop: Header=BB10_1388 Depth=3
	v_bfe_u32 v6, v1, 16, 1
	v_add3_u32 v34, v1, v6, s65
                                        ; implicit-def: $vgpr1
; %bb.1466:                             ;   in Loop: Header=BB10_1388 Depth=3
	s_andn2_saveexec_b64 s[42:43], s[42:43]
; %bb.1467:                             ;   in Loop: Header=BB10_1388 Depth=3
	v_or_b32_e32 v6, 0x10000, v1
	v_cmp_eq_u32_sdwa vcc, v1, v2 src0_sel:WORD_0 src1_sel:DWORD
	v_cndmask_b32_e32 v34, v6, v1, vcc
; %bb.1468:                             ;   in Loop: Header=BB10_1388 Depth=3
	s_or_b64 exec, exec, s[42:43]
	v_lshlrev_b32_e32 v1, 16, v10
	v_mul_f32_e32 v1, v57, v1
	v_and_b32_e32 v6, 0x7f800000, v1
	v_cmp_ne_u32_e32 vcc, s64, v6
                                        ; implicit-def: $vgpr35
	s_and_saveexec_b64 s[42:43], vcc
	s_xor_b64 s[42:43], exec, s[42:43]
; %bb.1469:                             ;   in Loop: Header=BB10_1388 Depth=3
	v_bfe_u32 v6, v1, 16, 1
	v_add3_u32 v35, v1, v6, s65
                                        ; implicit-def: $vgpr1
; %bb.1470:                             ;   in Loop: Header=BB10_1388 Depth=3
	s_andn2_saveexec_b64 s[42:43], s[42:43]
; %bb.1471:                             ;   in Loop: Header=BB10_1388 Depth=3
	v_or_b32_e32 v6, 0x10000, v1
	v_cmp_eq_u32_sdwa vcc, v1, v2 src0_sel:WORD_0 src1_sel:DWORD
	v_cndmask_b32_e32 v35, v6, v1, vcc
; %bb.1472:                             ;   in Loop: Header=BB10_1388 Depth=3
	s_or_b64 exec, exec, s[42:43]
	v_and_b32_e32 v1, 0xffff0000, v10
	v_mul_f32_e32 v1, v57, v1
	v_and_b32_e32 v6, 0x7f800000, v1
	v_cmp_ne_u32_e32 vcc, s64, v6
                                        ; implicit-def: $vgpr43
	s_and_saveexec_b64 s[42:43], vcc
	s_xor_b64 s[42:43], exec, s[42:43]
; %bb.1473:                             ;   in Loop: Header=BB10_1388 Depth=3
	v_bfe_u32 v6, v1, 16, 1
	v_add3_u32 v43, v1, v6, s65
                                        ; implicit-def: $vgpr1
; %bb.1474:                             ;   in Loop: Header=BB10_1388 Depth=3
	s_andn2_saveexec_b64 s[42:43], s[42:43]
; %bb.1475:                             ;   in Loop: Header=BB10_1388 Depth=3
	v_or_b32_e32 v6, 0x10000, v1
	v_cmp_eq_u32_sdwa vcc, v1, v2 src0_sel:WORD_0 src1_sel:DWORD
	v_cndmask_b32_e32 v43, v6, v1, vcc
; %bb.1476:                             ;   in Loop: Header=BB10_1388 Depth=3
	s_or_b64 exec, exec, s[42:43]
	v_lshlrev_b32_e32 v1, 16, v11
	v_mul_f32_e32 v1, v57, v1
	v_and_b32_e32 v6, 0x7f800000, v1
	v_cmp_ne_u32_e32 vcc, s64, v6
                                        ; implicit-def: $vgpr45
	s_and_saveexec_b64 s[42:43], vcc
	s_xor_b64 s[42:43], exec, s[42:43]
; %bb.1477:                             ;   in Loop: Header=BB10_1388 Depth=3
	v_bfe_u32 v6, v1, 16, 1
	v_add3_u32 v45, v1, v6, s65
                                        ; implicit-def: $vgpr1
; %bb.1478:                             ;   in Loop: Header=BB10_1388 Depth=3
	s_andn2_saveexec_b64 s[42:43], s[42:43]
; %bb.1479:                             ;   in Loop: Header=BB10_1388 Depth=3
	v_or_b32_e32 v6, 0x10000, v1
	v_cmp_eq_u32_sdwa vcc, v1, v2 src0_sel:WORD_0 src1_sel:DWORD
	v_cndmask_b32_e32 v45, v6, v1, vcc
; %bb.1480:                             ;   in Loop: Header=BB10_1388 Depth=3
	s_or_b64 exec, exec, s[42:43]
	v_and_b32_e32 v1, 0xffff0000, v11
	v_mul_f32_e32 v1, v57, v1
	v_and_b32_e32 v6, 0x7f800000, v1
	v_cmp_ne_u32_e32 vcc, s64, v6
                                        ; implicit-def: $vgpr54
	s_and_saveexec_b64 s[42:43], vcc
	s_xor_b64 s[42:43], exec, s[42:43]
; %bb.1481:                             ;   in Loop: Header=BB10_1388 Depth=3
	v_bfe_u32 v6, v1, 16, 1
	v_add3_u32 v54, v1, v6, s65
                                        ; implicit-def: $vgpr1
; %bb.1482:                             ;   in Loop: Header=BB10_1388 Depth=3
	s_andn2_saveexec_b64 s[42:43], s[42:43]
; %bb.1483:                             ;   in Loop: Header=BB10_1388 Depth=3
	v_or_b32_e32 v6, 0x10000, v1
	v_cmp_eq_u32_sdwa vcc, v1, v2 src0_sel:WORD_0 src1_sel:DWORD
	v_cndmask_b32_e32 v54, v6, v1, vcc
; %bb.1484:                             ;   in Loop: Header=BB10_1388 Depth=3
	s_or_b64 exec, exec, s[42:43]
	global_load_dwordx4 v[8:11], v[30:31], off offset:3072 glc slc
                                        ; implicit-def: $vgpr55
	s_waitcnt vmcnt(0)
	v_lshlrev_b32_e32 v1, 16, v8
	v_mul_f32_e32 v1, v57, v1
	v_and_b32_e32 v6, 0x7f800000, v1
	v_cmp_ne_u32_e32 vcc, s64, v6
	s_and_saveexec_b64 s[42:43], vcc
	s_xor_b64 s[42:43], exec, s[42:43]
; %bb.1485:                             ;   in Loop: Header=BB10_1388 Depth=3
	v_bfe_u32 v6, v1, 16, 1
	v_add3_u32 v55, v1, v6, s65
                                        ; implicit-def: $vgpr1
; %bb.1486:                             ;   in Loop: Header=BB10_1388 Depth=3
	s_andn2_saveexec_b64 s[42:43], s[42:43]
; %bb.1487:                             ;   in Loop: Header=BB10_1388 Depth=3
	v_or_b32_e32 v6, 0x10000, v1
	v_cmp_eq_u32_sdwa vcc, v1, v2 src0_sel:WORD_0 src1_sel:DWORD
	v_cndmask_b32_e32 v55, v6, v1, vcc
; %bb.1488:                             ;   in Loop: Header=BB10_1388 Depth=3
	s_or_b64 exec, exec, s[42:43]
	v_and_b32_e32 v1, 0xffff0000, v8
	v_mul_f32_e32 v1, v57, v1
	v_and_b32_e32 v6, 0x7f800000, v1
	v_cmp_ne_u32_e32 vcc, s64, v6
                                        ; implicit-def: $vgpr52
	s_and_saveexec_b64 s[42:43], vcc
	s_xor_b64 s[42:43], exec, s[42:43]
; %bb.1489:                             ;   in Loop: Header=BB10_1388 Depth=3
	v_bfe_u32 v6, v1, 16, 1
	v_add3_u32 v52, v1, v6, s65
                                        ; implicit-def: $vgpr1
; %bb.1490:                             ;   in Loop: Header=BB10_1388 Depth=3
	s_andn2_saveexec_b64 s[42:43], s[42:43]
; %bb.1491:                             ;   in Loop: Header=BB10_1388 Depth=3
	v_or_b32_e32 v6, 0x10000, v1
	v_cmp_eq_u32_sdwa vcc, v1, v2 src0_sel:WORD_0 src1_sel:DWORD
	v_cndmask_b32_e32 v52, v6, v1, vcc
; %bb.1492:                             ;   in Loop: Header=BB10_1388 Depth=3
	s_or_b64 exec, exec, s[42:43]
	v_lshlrev_b32_e32 v1, 16, v9
	v_mul_f32_e32 v1, v57, v1
	v_and_b32_e32 v6, 0x7f800000, v1
	v_cmp_ne_u32_e32 vcc, s64, v6
                                        ; implicit-def: $vgpr53
	s_and_saveexec_b64 s[42:43], vcc
	s_xor_b64 s[42:43], exec, s[42:43]
; %bb.1493:                             ;   in Loop: Header=BB10_1388 Depth=3
	v_bfe_u32 v6, v1, 16, 1
	v_add3_u32 v53, v1, v6, s65
                                        ; implicit-def: $vgpr1
; %bb.1494:                             ;   in Loop: Header=BB10_1388 Depth=3
	s_andn2_saveexec_b64 s[42:43], s[42:43]
; %bb.1495:                             ;   in Loop: Header=BB10_1388 Depth=3
	v_or_b32_e32 v6, 0x10000, v1
	v_cmp_eq_u32_sdwa vcc, v1, v2 src0_sel:WORD_0 src1_sel:DWORD
	v_cndmask_b32_e32 v53, v6, v1, vcc
; %bb.1496:                             ;   in Loop: Header=BB10_1388 Depth=3
	s_or_b64 exec, exec, s[42:43]
	v_and_b32_e32 v1, 0xffff0000, v9
	v_mul_f32_e32 v1, v57, v1
	v_and_b32_e32 v6, 0x7f800000, v1
	v_cmp_ne_u32_e32 vcc, s64, v6
                                        ; implicit-def: $vgpr36
	s_and_saveexec_b64 s[42:43], vcc
	s_xor_b64 s[42:43], exec, s[42:43]
; %bb.1497:                             ;   in Loop: Header=BB10_1388 Depth=3
	v_bfe_u32 v6, v1, 16, 1
	v_add3_u32 v36, v1, v6, s65
                                        ; implicit-def: $vgpr1
; %bb.1498:                             ;   in Loop: Header=BB10_1388 Depth=3
	s_andn2_saveexec_b64 s[42:43], s[42:43]
; %bb.1499:                             ;   in Loop: Header=BB10_1388 Depth=3
	v_or_b32_e32 v6, 0x10000, v1
	v_cmp_eq_u32_sdwa vcc, v1, v2 src0_sel:WORD_0 src1_sel:DWORD
	v_cndmask_b32_e32 v36, v6, v1, vcc
; %bb.1500:                             ;   in Loop: Header=BB10_1388 Depth=3
	s_or_b64 exec, exec, s[42:43]
	v_lshlrev_b32_e32 v1, 16, v10
	v_mul_f32_e32 v1, v57, v1
	v_and_b32_e32 v6, 0x7f800000, v1
	v_cmp_ne_u32_e32 vcc, s64, v6
                                        ; implicit-def: $vgpr37
	s_and_saveexec_b64 s[42:43], vcc
	s_xor_b64 s[42:43], exec, s[42:43]
; %bb.1501:                             ;   in Loop: Header=BB10_1388 Depth=3
	v_bfe_u32 v6, v1, 16, 1
	v_add3_u32 v37, v1, v6, s65
                                        ; implicit-def: $vgpr1
; %bb.1502:                             ;   in Loop: Header=BB10_1388 Depth=3
	s_andn2_saveexec_b64 s[42:43], s[42:43]
; %bb.1503:                             ;   in Loop: Header=BB10_1388 Depth=3
	v_or_b32_e32 v6, 0x10000, v1
	v_cmp_eq_u32_sdwa vcc, v1, v2 src0_sel:WORD_0 src1_sel:DWORD
	v_cndmask_b32_e32 v37, v6, v1, vcc
; %bb.1504:                             ;   in Loop: Header=BB10_1388 Depth=3
	s_or_b64 exec, exec, s[42:43]
	v_and_b32_e32 v1, 0xffff0000, v10
	v_mul_f32_e32 v1, v57, v1
	v_and_b32_e32 v6, 0x7f800000, v1
	v_cmp_ne_u32_e32 vcc, s64, v6
                                        ; implicit-def: $vgpr6
	s_and_saveexec_b64 s[42:43], vcc
	s_xor_b64 s[42:43], exec, s[42:43]
; %bb.1505:                             ;   in Loop: Header=BB10_1388 Depth=3
	v_bfe_u32 v6, v1, 16, 1
	v_add3_u32 v6, v1, v6, s65
                                        ; implicit-def: $vgpr1
; %bb.1506:                             ;   in Loop: Header=BB10_1388 Depth=3
	s_andn2_saveexec_b64 s[42:43], s[42:43]
; %bb.1507:                             ;   in Loop: Header=BB10_1388 Depth=3
	v_or_b32_e32 v6, 0x10000, v1
	v_cmp_eq_u32_sdwa vcc, v1, v2 src0_sel:WORD_0 src1_sel:DWORD
	v_cndmask_b32_e32 v6, v6, v1, vcc
; %bb.1508:                             ;   in Loop: Header=BB10_1388 Depth=3
	s_or_b64 exec, exec, s[42:43]
	v_lshlrev_b32_e32 v1, 16, v11
	v_mul_f32_e32 v1, v57, v1
	v_and_b32_e32 v7, 0x7f800000, v1
	v_cmp_ne_u32_e32 vcc, s64, v7
                                        ; implicit-def: $vgpr7
	s_and_saveexec_b64 s[42:43], vcc
	s_xor_b64 s[42:43], exec, s[42:43]
; %bb.1509:                             ;   in Loop: Header=BB10_1388 Depth=3
	v_bfe_u32 v7, v1, 16, 1
	v_add3_u32 v7, v1, v7, s65
                                        ; implicit-def: $vgpr1
; %bb.1510:                             ;   in Loop: Header=BB10_1388 Depth=3
	s_andn2_saveexec_b64 s[42:43], s[42:43]
; %bb.1511:                             ;   in Loop: Header=BB10_1388 Depth=3
	v_or_b32_e32 v7, 0x10000, v1
	v_cmp_eq_u32_sdwa vcc, v1, v2 src0_sel:WORD_0 src1_sel:DWORD
	v_cndmask_b32_e32 v7, v7, v1, vcc
; %bb.1512:                             ;   in Loop: Header=BB10_1388 Depth=3
	s_or_b64 exec, exec, s[42:43]
	v_and_b32_e32 v1, 0xffff0000, v11
	v_mul_f32_e32 v8, v57, v1
	v_and_b32_e32 v1, 0x7f800000, v8
	v_cmp_ne_u32_e32 vcc, s64, v1
                                        ; implicit-def: $vgpr1
	s_and_saveexec_b64 s[42:43], vcc
	s_xor_b64 s[42:43], exec, s[42:43]
; %bb.1513:                             ;   in Loop: Header=BB10_1388 Depth=3
	v_bfe_u32 v1, v8, 16, 1
	v_add3_u32 v1, v8, v1, s65
                                        ; implicit-def: $vgpr8
; %bb.1514:                             ;   in Loop: Header=BB10_1388 Depth=3
	s_andn2_saveexec_b64 s[42:43], s[42:43]
; %bb.1515:                             ;   in Loop: Header=BB10_1388 Depth=3
	v_or_b32_e32 v1, 0x10000, v8
	v_cmp_eq_u32_sdwa vcc, v8, v2 src0_sel:WORD_0 src1_sel:DWORD
	v_cndmask_b32_e32 v1, v1, v8, vcc
; %bb.1516:                             ;   in Loop: Header=BB10_1388 Depth=3
	s_or_b64 exec, exec, s[42:43]
	global_load_dwordx4 v[20:23], v[24:25], off glc slc
	global_load_dwordx4 v[16:19], v[24:25], off offset:1024 glc slc
	global_load_dwordx4 v[12:15], v[24:25], off offset:2048 glc slc
	;; [unrolled: 1-line block ×3, first 2 shown]
	v_and_b32_e32 v32, 0xffff0000, v62
	s_waitcnt vmcnt(3)
	v_lshlrev_b32_e32 v33, 16, v20
	v_add_f32_e32 v62, v32, v33
	v_and_b32_e32 v32, 0x7f800000, v62
	v_cmp_ne_u32_e32 vcc, s64, v32
                                        ; implicit-def: $vgpr32
                                        ; kill: killed $vgpr32
	s_and_saveexec_b64 s[42:43], vcc
	s_xor_b64 s[42:43], exec, s[42:43]
	s_cbranch_execz .LBB10_1518
; %bb.1517:                             ;   in Loop: Header=BB10_1388 Depth=3
	v_bfe_u32 v32, v62, 16, 1
	v_add3_u32 v32, v62, v32, s65
	buffer_store_dword v32, off, s[0:3], s33 offset:220 ; 4-byte Folded Spill
                                        ; implicit-def: $vgpr62
.LBB10_1518:                            ;   in Loop: Header=BB10_1388 Depth=3
	s_andn2_saveexec_b64 s[42:43], s[42:43]
	s_cbranch_execz .LBB10_1520
; %bb.1519:                             ;   in Loop: Header=BB10_1388 Depth=3
	v_or_b32_e32 v32, 0x10000, v62
	v_cmp_eq_u32_sdwa vcc, v62, v2 src0_sel:WORD_0 src1_sel:DWORD
	v_cndmask_b32_e32 v32, v32, v62, vcc
	buffer_store_dword v32, off, s[0:3], s33 offset:220 ; 4-byte Folded Spill
.LBB10_1520:                            ;   in Loop: Header=BB10_1388 Depth=3
	s_or_b64 exec, exec, s[42:43]
	v_and_b32_e32 v20, 0xffff0000, v20
	v_and_b32_e32 v32, 0xffff0000, v38
	v_add_f32_e32 v38, v32, v20
	v_and_b32_e32 v20, 0x7f800000, v38
	v_cmp_ne_u32_e32 vcc, s64, v20
                                        ; implicit-def: $vgpr20
	s_and_saveexec_b64 s[42:43], vcc
	s_xor_b64 s[42:43], exec, s[42:43]
; %bb.1521:                             ;   in Loop: Header=BB10_1388 Depth=3
	v_bfe_u32 v20, v38, 16, 1
	v_add3_u32 v20, v38, v20, s65
                                        ; implicit-def: $vgpr38
; %bb.1522:                             ;   in Loop: Header=BB10_1388 Depth=3
	s_andn2_saveexec_b64 s[42:43], s[42:43]
; %bb.1523:                             ;   in Loop: Header=BB10_1388 Depth=3
	v_or_b32_e32 v20, 0x10000, v38
	v_cmp_eq_u32_sdwa vcc, v38, v2 src0_sel:WORD_0 src1_sel:DWORD
	v_cndmask_b32_e32 v20, v20, v38, vcc
; %bb.1524:                             ;   in Loop: Header=BB10_1388 Depth=3
	s_or_b64 exec, exec, s[42:43]
	v_and_b32_e32 v32, 0xffff0000, v39
	v_lshlrev_b32_e32 v33, 16, v21
	v_add_f32_e32 v39, v32, v33
	v_and_b32_e32 v32, 0x7f800000, v39
	v_cmp_ne_u32_e32 vcc, s64, v32
                                        ; implicit-def: $vgpr38
	s_and_saveexec_b64 s[42:43], vcc
	s_xor_b64 s[42:43], exec, s[42:43]
; %bb.1525:                             ;   in Loop: Header=BB10_1388 Depth=3
	v_bfe_u32 v32, v39, 16, 1
	v_add3_u32 v38, v39, v32, s65
                                        ; implicit-def: $vgpr39
; %bb.1526:                             ;   in Loop: Header=BB10_1388 Depth=3
	s_andn2_saveexec_b64 s[42:43], s[42:43]
; %bb.1527:                             ;   in Loop: Header=BB10_1388 Depth=3
	v_or_b32_e32 v32, 0x10000, v39
	v_cmp_eq_u32_sdwa vcc, v39, v2 src0_sel:WORD_0 src1_sel:DWORD
	v_cndmask_b32_e32 v38, v32, v39, vcc
; %bb.1528:                             ;   in Loop: Header=BB10_1388 Depth=3
	s_or_b64 exec, exec, s[42:43]
	v_and_b32_e32 v21, 0xffff0000, v21
	v_and_b32_e32 v32, 0xffff0000, v40
	v_add_f32_e32 v39, v32, v21
	v_and_b32_e32 v21, 0x7f800000, v39
	v_cmp_ne_u32_e32 vcc, s64, v21
                                        ; implicit-def: $vgpr21
	s_and_saveexec_b64 s[42:43], vcc
	s_xor_b64 s[42:43], exec, s[42:43]
; %bb.1529:                             ;   in Loop: Header=BB10_1388 Depth=3
	v_bfe_u32 v21, v39, 16, 1
	v_add3_u32 v21, v39, v21, s65
                                        ; implicit-def: $vgpr39
; %bb.1530:                             ;   in Loop: Header=BB10_1388 Depth=3
	s_andn2_saveexec_b64 s[42:43], s[42:43]
; %bb.1531:                             ;   in Loop: Header=BB10_1388 Depth=3
	v_or_b32_e32 v21, 0x10000, v39
	v_cmp_eq_u32_sdwa vcc, v39, v2 src0_sel:WORD_0 src1_sel:DWORD
	v_cndmask_b32_e32 v21, v21, v39, vcc
; %bb.1532:                             ;   in Loop: Header=BB10_1388 Depth=3
	s_or_b64 exec, exec, s[42:43]
	v_and_b32_e32 v32, 0xffff0000, v41
	v_lshlrev_b32_e32 v33, 16, v22
	v_add_f32_e32 v40, v32, v33
	v_and_b32_e32 v32, 0x7f800000, v40
	v_cmp_ne_u32_e32 vcc, s64, v32
                                        ; implicit-def: $vgpr39
	s_and_saveexec_b64 s[42:43], vcc
	s_xor_b64 s[42:43], exec, s[42:43]
; %bb.1533:                             ;   in Loop: Header=BB10_1388 Depth=3
	v_bfe_u32 v32, v40, 16, 1
	v_add3_u32 v39, v40, v32, s65
                                        ; implicit-def: $vgpr40
; %bb.1534:                             ;   in Loop: Header=BB10_1388 Depth=3
	s_andn2_saveexec_b64 s[42:43], s[42:43]
; %bb.1535:                             ;   in Loop: Header=BB10_1388 Depth=3
	v_or_b32_e32 v32, 0x10000, v40
	v_cmp_eq_u32_sdwa vcc, v40, v2 src0_sel:WORD_0 src1_sel:DWORD
	v_cndmask_b32_e32 v39, v32, v40, vcc
; %bb.1536:                             ;   in Loop: Header=BB10_1388 Depth=3
	s_or_b64 exec, exec, s[42:43]
	v_and_b32_e32 v22, 0xffff0000, v22
	v_and_b32_e32 v32, 0xffff0000, v56
	v_add_f32_e32 v40, v32, v22
	v_and_b32_e32 v22, 0x7f800000, v40
	v_cmp_ne_u32_e32 vcc, s64, v22
                                        ; implicit-def: $vgpr22
	s_and_saveexec_b64 s[42:43], vcc
	s_xor_b64 s[42:43], exec, s[42:43]
; %bb.1537:                             ;   in Loop: Header=BB10_1388 Depth=3
	v_bfe_u32 v22, v40, 16, 1
	v_add3_u32 v22, v40, v22, s65
                                        ; implicit-def: $vgpr40
; %bb.1538:                             ;   in Loop: Header=BB10_1388 Depth=3
	s_andn2_saveexec_b64 s[42:43], s[42:43]
; %bb.1539:                             ;   in Loop: Header=BB10_1388 Depth=3
	v_or_b32_e32 v22, 0x10000, v40
	v_cmp_eq_u32_sdwa vcc, v40, v2 src0_sel:WORD_0 src1_sel:DWORD
	v_cndmask_b32_e32 v22, v22, v40, vcc
; %bb.1540:                             ;   in Loop: Header=BB10_1388 Depth=3
	s_or_b64 exec, exec, s[42:43]
	v_and_b32_e32 v0, 0xffff0000, v0
	v_lshlrev_b32_e32 v32, 16, v23
	v_add_f32_e32 v40, v0, v32
	v_and_b32_e32 v0, 0x7f800000, v40
	v_cmp_ne_u32_e32 vcc, s64, v0
                                        ; implicit-def: $vgpr0
	s_and_saveexec_b64 s[42:43], vcc
	s_xor_b64 s[42:43], exec, s[42:43]
; %bb.1541:                             ;   in Loop: Header=BB10_1388 Depth=3
	v_bfe_u32 v0, v40, 16, 1
	v_add3_u32 v0, v40, v0, s65
                                        ; implicit-def: $vgpr40
; %bb.1542:                             ;   in Loop: Header=BB10_1388 Depth=3
	s_andn2_saveexec_b64 s[42:43], s[42:43]
; %bb.1543:                             ;   in Loop: Header=BB10_1388 Depth=3
	v_or_b32_e32 v0, 0x10000, v40
	v_cmp_eq_u32_sdwa vcc, v40, v2 src0_sel:WORD_0 src1_sel:DWORD
	v_cndmask_b32_e32 v0, v0, v40, vcc
; %bb.1544:                             ;   in Loop: Header=BB10_1388 Depth=3
	s_or_b64 exec, exec, s[42:43]
	v_and_b32_e32 v23, 0xffff0000, v23
	v_and_b32_e32 v32, 0xffff0000, v59
	v_add_f32_e32 v40, v32, v23
	v_and_b32_e32 v23, 0x7f800000, v40
	v_cmp_ne_u32_e32 vcc, s64, v23
                                        ; implicit-def: $vgpr23
	s_and_saveexec_b64 s[42:43], vcc
	s_xor_b64 s[42:43], exec, s[42:43]
; %bb.1545:                             ;   in Loop: Header=BB10_1388 Depth=3
	v_bfe_u32 v23, v40, 16, 1
	v_add3_u32 v23, v40, v23, s65
                                        ; implicit-def: $vgpr40
; %bb.1546:                             ;   in Loop: Header=BB10_1388 Depth=3
	s_andn2_saveexec_b64 s[42:43], s[42:43]
; %bb.1547:                             ;   in Loop: Header=BB10_1388 Depth=3
	v_or_b32_e32 v23, 0x10000, v40
	v_cmp_eq_u32_sdwa vcc, v40, v2 src0_sel:WORD_0 src1_sel:DWORD
	v_cndmask_b32_e32 v23, v23, v40, vcc
; %bb.1548:                             ;   in Loop: Header=BB10_1388 Depth=3
	s_or_b64 exec, exec, s[42:43]
	v_and_b32_e32 v32, 0xffff0000, v46
	s_waitcnt vmcnt(2)
	v_lshlrev_b32_e32 v33, 16, v16
	v_add_f32_e32 v41, v32, v33
	v_and_b32_e32 v32, 0x7f800000, v41
	v_cmp_ne_u32_e32 vcc, s64, v32
                                        ; implicit-def: $vgpr40
	s_and_saveexec_b64 s[42:43], vcc
	s_xor_b64 s[42:43], exec, s[42:43]
; %bb.1549:                             ;   in Loop: Header=BB10_1388 Depth=3
	v_bfe_u32 v32, v41, 16, 1
	v_add3_u32 v40, v41, v32, s65
                                        ; implicit-def: $vgpr41
; %bb.1550:                             ;   in Loop: Header=BB10_1388 Depth=3
	s_andn2_saveexec_b64 s[42:43], s[42:43]
; %bb.1551:                             ;   in Loop: Header=BB10_1388 Depth=3
	v_or_b32_e32 v32, 0x10000, v41
	v_cmp_eq_u32_sdwa vcc, v41, v2 src0_sel:WORD_0 src1_sel:DWORD
	v_cndmask_b32_e32 v40, v32, v41, vcc
; %bb.1552:                             ;   in Loop: Header=BB10_1388 Depth=3
	s_or_b64 exec, exec, s[42:43]
	v_and_b32_e32 v16, 0xffff0000, v16
	v_and_b32_e32 v32, 0xffff0000, v50
	v_add_f32_e32 v50, v32, v16
	v_and_b32_e32 v16, 0x7f800000, v50
	v_cmp_ne_u32_e32 vcc, s64, v16
                                        ; implicit-def: $vgpr16
	s_and_saveexec_b64 s[42:43], vcc
	s_xor_b64 s[42:43], exec, s[42:43]
; %bb.1553:                             ;   in Loop: Header=BB10_1388 Depth=3
	v_bfe_u32 v16, v50, 16, 1
	v_add3_u32 v16, v50, v16, s65
                                        ; implicit-def: $vgpr50
; %bb.1554:                             ;   in Loop: Header=BB10_1388 Depth=3
	s_andn2_saveexec_b64 s[42:43], s[42:43]
; %bb.1555:                             ;   in Loop: Header=BB10_1388 Depth=3
	v_or_b32_e32 v16, 0x10000, v50
	v_cmp_eq_u32_sdwa vcc, v50, v2 src0_sel:WORD_0 src1_sel:DWORD
	v_cndmask_b32_e32 v16, v16, v50, vcc
; %bb.1556:                             ;   in Loop: Header=BB10_1388 Depth=3
	s_or_b64 exec, exec, s[42:43]
	v_and_b32_e32 v32, 0xffff0000, v58
	v_lshlrev_b32_e32 v33, 16, v17
	v_add_f32_e32 v41, v32, v33
	v_and_b32_e32 v32, 0x7f800000, v41
	v_cmp_ne_u32_e32 vcc, s64, v32
                                        ; implicit-def: $vgpr50
	s_and_saveexec_b64 s[42:43], vcc
	s_xor_b64 s[42:43], exec, s[42:43]
; %bb.1557:                             ;   in Loop: Header=BB10_1388 Depth=3
	v_bfe_u32 v32, v41, 16, 1
	v_add3_u32 v50, v41, v32, s65
                                        ; implicit-def: $vgpr41
; %bb.1558:                             ;   in Loop: Header=BB10_1388 Depth=3
	s_andn2_saveexec_b64 s[42:43], s[42:43]
; %bb.1559:                             ;   in Loop: Header=BB10_1388 Depth=3
	v_or_b32_e32 v32, 0x10000, v41
	v_cmp_eq_u32_sdwa vcc, v41, v2 src0_sel:WORD_0 src1_sel:DWORD
	v_cndmask_b32_e32 v50, v32, v41, vcc
; %bb.1560:                             ;   in Loop: Header=BB10_1388 Depth=3
	s_or_b64 exec, exec, s[42:43]
	v_and_b32_e32 v17, 0xffff0000, v17
	v_and_b32_e32 v32, 0xffff0000, v51
	v_add_f32_e32 v51, v32, v17
	v_and_b32_e32 v17, 0x7f800000, v51
	v_cmp_ne_u32_e32 vcc, s64, v17
                                        ; implicit-def: $vgpr17
	s_and_saveexec_b64 s[42:43], vcc
	s_xor_b64 s[42:43], exec, s[42:43]
; %bb.1561:                             ;   in Loop: Header=BB10_1388 Depth=3
	v_bfe_u32 v17, v51, 16, 1
	v_add3_u32 v17, v51, v17, s65
                                        ; implicit-def: $vgpr51
; %bb.1562:                             ;   in Loop: Header=BB10_1388 Depth=3
	s_andn2_saveexec_b64 s[42:43], s[42:43]
; %bb.1563:                             ;   in Loop: Header=BB10_1388 Depth=3
	v_or_b32_e32 v17, 0x10000, v51
	v_cmp_eq_u32_sdwa vcc, v51, v2 src0_sel:WORD_0 src1_sel:DWORD
	v_cndmask_b32_e32 v17, v17, v51, vcc
; %bb.1564:                             ;   in Loop: Header=BB10_1388 Depth=3
	s_or_b64 exec, exec, s[42:43]
	v_and_b32_e32 v32, 0xffff0000, v42
	v_lshlrev_b32_e32 v33, 16, v18
	v_add_f32_e32 v41, v32, v33
	v_and_b32_e32 v32, 0x7f800000, v41
	v_cmp_ne_u32_e32 vcc, s64, v32
                                        ; implicit-def: $vgpr51
	s_and_saveexec_b64 s[42:43], vcc
	s_xor_b64 s[42:43], exec, s[42:43]
; %bb.1565:                             ;   in Loop: Header=BB10_1388 Depth=3
	v_bfe_u32 v32, v41, 16, 1
	v_add3_u32 v51, v41, v32, s65
                                        ; implicit-def: $vgpr41
; %bb.1566:                             ;   in Loop: Header=BB10_1388 Depth=3
	s_andn2_saveexec_b64 s[42:43], s[42:43]
; %bb.1567:                             ;   in Loop: Header=BB10_1388 Depth=3
	v_or_b32_e32 v32, 0x10000, v41
	v_cmp_eq_u32_sdwa vcc, v41, v2 src0_sel:WORD_0 src1_sel:DWORD
	v_cndmask_b32_e32 v51, v32, v41, vcc
; %bb.1568:                             ;   in Loop: Header=BB10_1388 Depth=3
	s_or_b64 exec, exec, s[42:43]
	v_and_b32_e32 v18, 0xffff0000, v18
	v_and_b32_e32 v26, 0xffff0000, v26
	v_add_f32_e32 v26, v26, v18
	v_and_b32_e32 v18, 0x7f800000, v26
	v_cmp_ne_u32_e32 vcc, s64, v18
                                        ; implicit-def: $vgpr18
	s_and_saveexec_b64 s[42:43], vcc
	s_xor_b64 s[42:43], exec, s[42:43]
; %bb.1569:                             ;   in Loop: Header=BB10_1388 Depth=3
	v_bfe_u32 v18, v26, 16, 1
	v_add3_u32 v18, v26, v18, s65
                                        ; implicit-def: $vgpr26
; %bb.1570:                             ;   in Loop: Header=BB10_1388 Depth=3
	s_andn2_saveexec_b64 s[42:43], s[42:43]
; %bb.1571:                             ;   in Loop: Header=BB10_1388 Depth=3
	v_or_b32_e32 v18, 0x10000, v26
	v_cmp_eq_u32_sdwa vcc, v26, v2 src0_sel:WORD_0 src1_sel:DWORD
	v_cndmask_b32_e32 v18, v18, v26, vcc
; %bb.1572:                             ;   in Loop: Header=BB10_1388 Depth=3
	s_or_b64 exec, exec, s[42:43]
	v_and_b32_e32 v26, 0xffff0000, v27
	v_lshlrev_b32_e32 v27, 16, v19
	v_add_f32_e32 v27, v26, v27
	v_and_b32_e32 v26, 0x7f800000, v27
	v_cmp_ne_u32_e32 vcc, s64, v26
                                        ; implicit-def: $vgpr26
	s_and_saveexec_b64 s[42:43], vcc
	s_xor_b64 s[42:43], exec, s[42:43]
; %bb.1573:                             ;   in Loop: Header=BB10_1388 Depth=3
	v_bfe_u32 v26, v27, 16, 1
	v_add3_u32 v26, v27, v26, s65
                                        ; implicit-def: $vgpr27
; %bb.1574:                             ;   in Loop: Header=BB10_1388 Depth=3
	s_andn2_saveexec_b64 s[42:43], s[42:43]
; %bb.1575:                             ;   in Loop: Header=BB10_1388 Depth=3
	v_or_b32_e32 v26, 0x10000, v27
	v_cmp_eq_u32_sdwa vcc, v27, v2 src0_sel:WORD_0 src1_sel:DWORD
	v_cndmask_b32_e32 v26, v26, v27, vcc
; %bb.1576:                             ;   in Loop: Header=BB10_1388 Depth=3
	s_or_b64 exec, exec, s[42:43]
	v_and_b32_e32 v19, 0xffff0000, v19
	v_and_b32_e32 v5, 0xffff0000, v5
	v_add_f32_e32 v19, v5, v19
	v_and_b32_e32 v5, 0x7f800000, v19
	v_cmp_ne_u32_e32 vcc, s64, v5
                                        ; implicit-def: $vgpr5
	s_and_saveexec_b64 s[42:43], vcc
	s_xor_b64 s[42:43], exec, s[42:43]
; %bb.1577:                             ;   in Loop: Header=BB10_1388 Depth=3
	v_bfe_u32 v5, v19, 16, 1
	v_add3_u32 v5, v19, v5, s65
                                        ; implicit-def: $vgpr19
; %bb.1578:                             ;   in Loop: Header=BB10_1388 Depth=3
	s_andn2_saveexec_b64 s[42:43], s[42:43]
; %bb.1579:                             ;   in Loop: Header=BB10_1388 Depth=3
	v_or_b32_e32 v5, 0x10000, v19
	v_cmp_eq_u32_sdwa vcc, v19, v2 src0_sel:WORD_0 src1_sel:DWORD
	v_cndmask_b32_e32 v5, v5, v19, vcc
; %bb.1580:                             ;   in Loop: Header=BB10_1388 Depth=3
	s_or_b64 exec, exec, s[42:43]
	v_and_b32_e32 v19, 0xffff0000, v44
	s_waitcnt vmcnt(1)
	v_lshlrev_b32_e32 v27, 16, v12
	v_add_f32_e32 v27, v19, v27
	v_and_b32_e32 v19, 0x7f800000, v27
	v_cmp_ne_u32_e32 vcc, s64, v19
                                        ; implicit-def: $vgpr19
	s_and_saveexec_b64 s[42:43], vcc
	s_xor_b64 s[42:43], exec, s[42:43]
; %bb.1581:                             ;   in Loop: Header=BB10_1388 Depth=3
	v_bfe_u32 v19, v27, 16, 1
	v_add3_u32 v19, v27, v19, s65
                                        ; implicit-def: $vgpr27
; %bb.1582:                             ;   in Loop: Header=BB10_1388 Depth=3
	s_andn2_saveexec_b64 s[42:43], s[42:43]
; %bb.1583:                             ;   in Loop: Header=BB10_1388 Depth=3
	v_or_b32_e32 v19, 0x10000, v27
	v_cmp_eq_u32_sdwa vcc, v27, v2 src0_sel:WORD_0 src1_sel:DWORD
	v_cndmask_b32_e32 v19, v19, v27, vcc
; %bb.1584:                             ;   in Loop: Header=BB10_1388 Depth=3
	s_or_b64 exec, exec, s[42:43]
	v_and_b32_e32 v12, 0xffff0000, v12
	v_and_b32_e32 v3, 0xffff0000, v3
	v_add_f32_e32 v12, v3, v12
	v_and_b32_e32 v3, 0x7f800000, v12
	v_cmp_ne_u32_e32 vcc, s64, v3
                                        ; implicit-def: $vgpr3
	s_and_saveexec_b64 s[42:43], vcc
	s_xor_b64 s[42:43], exec, s[42:43]
; %bb.1585:                             ;   in Loop: Header=BB10_1388 Depth=3
	v_bfe_u32 v3, v12, 16, 1
	v_add3_u32 v3, v12, v3, s65
                                        ; implicit-def: $vgpr12
; %bb.1586:                             ;   in Loop: Header=BB10_1388 Depth=3
	s_andn2_saveexec_b64 s[42:43], s[42:43]
; %bb.1587:                             ;   in Loop: Header=BB10_1388 Depth=3
	v_or_b32_e32 v3, 0x10000, v12
	v_cmp_eq_u32_sdwa vcc, v12, v2 src0_sel:WORD_0 src1_sel:DWORD
	v_cndmask_b32_e32 v3, v3, v12, vcc
; %bb.1588:                             ;   in Loop: Header=BB10_1388 Depth=3
	s_or_b64 exec, exec, s[42:43]
	v_and_b32_e32 v4, 0xffff0000, v4
	v_lshlrev_b32_e32 v12, 16, v13
	v_add_f32_e32 v12, v4, v12
	v_and_b32_e32 v4, 0x7f800000, v12
	v_cmp_ne_u32_e32 vcc, s64, v4
                                        ; implicit-def: $vgpr4
	s_and_saveexec_b64 s[42:43], vcc
	s_xor_b64 s[42:43], exec, s[42:43]
; %bb.1589:                             ;   in Loop: Header=BB10_1388 Depth=3
	v_bfe_u32 v4, v12, 16, 1
	v_add3_u32 v4, v12, v4, s65
                                        ; implicit-def: $vgpr12
; %bb.1590:                             ;   in Loop: Header=BB10_1388 Depth=3
	s_andn2_saveexec_b64 s[42:43], s[42:43]
; %bb.1591:                             ;   in Loop: Header=BB10_1388 Depth=3
	v_or_b32_e32 v4, 0x10000, v12
	v_cmp_eq_u32_sdwa vcc, v12, v2 src0_sel:WORD_0 src1_sel:DWORD
	v_cndmask_b32_e32 v4, v4, v12, vcc
; %bb.1592:                             ;   in Loop: Header=BB10_1388 Depth=3
	s_or_b64 exec, exec, s[42:43]
	v_and_b32_e32 v12, 0xffff0000, v13
	v_and_b32_e32 v13, 0xffff0000, v34
	v_add_f32_e32 v13, v13, v12
	v_and_b32_e32 v12, 0x7f800000, v13
	v_cmp_ne_u32_e32 vcc, s64, v12
                                        ; implicit-def: $vgpr12
	s_and_saveexec_b64 s[42:43], vcc
	s_xor_b64 s[42:43], exec, s[42:43]
; %bb.1593:                             ;   in Loop: Header=BB10_1388 Depth=3
	v_bfe_u32 v12, v13, 16, 1
	v_add3_u32 v12, v13, v12, s65
                                        ; implicit-def: $vgpr13
; %bb.1594:                             ;   in Loop: Header=BB10_1388 Depth=3
	s_andn2_saveexec_b64 s[42:43], s[42:43]
; %bb.1595:                             ;   in Loop: Header=BB10_1388 Depth=3
	v_or_b32_e32 v12, 0x10000, v13
	v_cmp_eq_u32_sdwa vcc, v13, v2 src0_sel:WORD_0 src1_sel:DWORD
	v_cndmask_b32_e32 v12, v12, v13, vcc
; %bb.1596:                             ;   in Loop: Header=BB10_1388 Depth=3
	s_or_b64 exec, exec, s[42:43]
	v_and_b32_e32 v13, 0xffff0000, v35
	v_lshlrev_b32_e32 v27, 16, v14
	v_add_f32_e32 v27, v13, v27
	v_and_b32_e32 v13, 0x7f800000, v27
	v_cmp_ne_u32_e32 vcc, s64, v13
                                        ; implicit-def: $vgpr13
	s_and_saveexec_b64 s[42:43], vcc
	s_xor_b64 s[42:43], exec, s[42:43]
; %bb.1597:                             ;   in Loop: Header=BB10_1388 Depth=3
	v_bfe_u32 v13, v27, 16, 1
	v_add3_u32 v13, v27, v13, s65
                                        ; implicit-def: $vgpr27
; %bb.1598:                             ;   in Loop: Header=BB10_1388 Depth=3
	s_andn2_saveexec_b64 s[42:43], s[42:43]
; %bb.1599:                             ;   in Loop: Header=BB10_1388 Depth=3
	v_or_b32_e32 v13, 0x10000, v27
	v_cmp_eq_u32_sdwa vcc, v27, v2 src0_sel:WORD_0 src1_sel:DWORD
	v_cndmask_b32_e32 v13, v13, v27, vcc
; %bb.1600:                             ;   in Loop: Header=BB10_1388 Depth=3
	s_or_b64 exec, exec, s[42:43]
	v_and_b32_e32 v14, 0xffff0000, v14
	v_and_b32_e32 v27, 0xffff0000, v43
	v_add_f32_e32 v27, v27, v14
	v_and_b32_e32 v14, 0x7f800000, v27
	v_cmp_ne_u32_e32 vcc, s64, v14
                                        ; implicit-def: $vgpr14
	s_and_saveexec_b64 s[42:43], vcc
	s_xor_b64 s[42:43], exec, s[42:43]
; %bb.1601:                             ;   in Loop: Header=BB10_1388 Depth=3
	v_bfe_u32 v14, v27, 16, 1
	v_add3_u32 v14, v27, v14, s65
                                        ; implicit-def: $vgpr27
; %bb.1602:                             ;   in Loop: Header=BB10_1388 Depth=3
	s_andn2_saveexec_b64 s[42:43], s[42:43]
; %bb.1603:                             ;   in Loop: Header=BB10_1388 Depth=3
	v_or_b32_e32 v14, 0x10000, v27
	v_cmp_eq_u32_sdwa vcc, v27, v2 src0_sel:WORD_0 src1_sel:DWORD
	v_cndmask_b32_e32 v14, v14, v27, vcc
; %bb.1604:                             ;   in Loop: Header=BB10_1388 Depth=3
	s_or_b64 exec, exec, s[42:43]
	v_and_b32_e32 v27, 0xffff0000, v45
	v_lshlrev_b32_e32 v32, 16, v15
	v_add_f32_e32 v34, v27, v32
	v_and_b32_e32 v27, 0x7f800000, v34
	v_cmp_ne_u32_e32 vcc, s64, v27
                                        ; implicit-def: $vgpr27
	s_and_saveexec_b64 s[42:43], vcc
	s_xor_b64 s[42:43], exec, s[42:43]
; %bb.1605:                             ;   in Loop: Header=BB10_1388 Depth=3
	v_bfe_u32 v27, v34, 16, 1
	v_add3_u32 v27, v34, v27, s65
                                        ; implicit-def: $vgpr34
; %bb.1606:                             ;   in Loop: Header=BB10_1388 Depth=3
	s_andn2_saveexec_b64 s[42:43], s[42:43]
; %bb.1607:                             ;   in Loop: Header=BB10_1388 Depth=3
	v_or_b32_e32 v27, 0x10000, v34
	v_cmp_eq_u32_sdwa vcc, v34, v2 src0_sel:WORD_0 src1_sel:DWORD
	v_cndmask_b32_e32 v27, v27, v34, vcc
; %bb.1608:                             ;   in Loop: Header=BB10_1388 Depth=3
	s_or_b64 exec, exec, s[42:43]
	v_and_b32_e32 v15, 0xffff0000, v15
	v_and_b32_e32 v32, 0xffff0000, v54
	v_add_f32_e32 v34, v32, v15
	v_and_b32_e32 v15, 0x7f800000, v34
	v_cmp_ne_u32_e32 vcc, s64, v15
                                        ; implicit-def: $vgpr15
	s_and_saveexec_b64 s[42:43], vcc
	s_xor_b64 s[42:43], exec, s[42:43]
; %bb.1609:                             ;   in Loop: Header=BB10_1388 Depth=3
	v_bfe_u32 v15, v34, 16, 1
	v_add3_u32 v15, v34, v15, s65
                                        ; implicit-def: $vgpr34
; %bb.1610:                             ;   in Loop: Header=BB10_1388 Depth=3
	s_andn2_saveexec_b64 s[42:43], s[42:43]
; %bb.1611:                             ;   in Loop: Header=BB10_1388 Depth=3
	v_or_b32_e32 v15, 0x10000, v34
	v_cmp_eq_u32_sdwa vcc, v34, v2 src0_sel:WORD_0 src1_sel:DWORD
	v_cndmask_b32_e32 v15, v15, v34, vcc
; %bb.1612:                             ;   in Loop: Header=BB10_1388 Depth=3
	s_or_b64 exec, exec, s[42:43]
	v_and_b32_e32 v32, 0xffff0000, v55
	s_waitcnt vmcnt(0)
	v_lshlrev_b32_e32 v33, 16, v8
	v_add_f32_e32 v35, v32, v33
	v_and_b32_e32 v32, 0x7f800000, v35
	v_cmp_ne_u32_e32 vcc, s64, v32
                                        ; implicit-def: $vgpr34
	s_and_saveexec_b64 s[42:43], vcc
	s_xor_b64 s[42:43], exec, s[42:43]
; %bb.1613:                             ;   in Loop: Header=BB10_1388 Depth=3
	v_bfe_u32 v32, v35, 16, 1
	v_add3_u32 v34, v35, v32, s65
                                        ; implicit-def: $vgpr35
; %bb.1614:                             ;   in Loop: Header=BB10_1388 Depth=3
	s_andn2_saveexec_b64 s[42:43], s[42:43]
; %bb.1615:                             ;   in Loop: Header=BB10_1388 Depth=3
	v_or_b32_e32 v32, 0x10000, v35
	v_cmp_eq_u32_sdwa vcc, v35, v2 src0_sel:WORD_0 src1_sel:DWORD
	v_cndmask_b32_e32 v34, v32, v35, vcc
; %bb.1616:                             ;   in Loop: Header=BB10_1388 Depth=3
	s_or_b64 exec, exec, s[42:43]
	v_and_b32_e32 v8, 0xffff0000, v8
	v_and_b32_e32 v32, 0xffff0000, v52
	v_add_f32_e32 v35, v32, v8
	v_and_b32_e32 v8, 0x7f800000, v35
	v_cmp_ne_u32_e32 vcc, s64, v8
                                        ; implicit-def: $vgpr8
	s_and_saveexec_b64 s[42:43], vcc
	s_xor_b64 s[42:43], exec, s[42:43]
; %bb.1617:                             ;   in Loop: Header=BB10_1388 Depth=3
	v_bfe_u32 v8, v35, 16, 1
	v_add3_u32 v8, v35, v8, s65
                                        ; implicit-def: $vgpr35
; %bb.1618:                             ;   in Loop: Header=BB10_1388 Depth=3
	s_andn2_saveexec_b64 s[42:43], s[42:43]
; %bb.1619:                             ;   in Loop: Header=BB10_1388 Depth=3
	v_or_b32_e32 v8, 0x10000, v35
	v_cmp_eq_u32_sdwa vcc, v35, v2 src0_sel:WORD_0 src1_sel:DWORD
	v_cndmask_b32_e32 v8, v8, v35, vcc
; %bb.1620:                             ;   in Loop: Header=BB10_1388 Depth=3
	s_or_b64 exec, exec, s[42:43]
	v_and_b32_e32 v32, 0xffff0000, v53
	v_lshlrev_b32_e32 v33, 16, v9
	v_add_f32_e32 v52, v32, v33
	v_and_b32_e32 v32, 0x7f800000, v52
	v_cmp_ne_u32_e32 vcc, s64, v32
                                        ; implicit-def: $vgpr35
	s_and_saveexec_b64 s[42:43], vcc
	s_xor_b64 s[42:43], exec, s[42:43]
; %bb.1621:                             ;   in Loop: Header=BB10_1388 Depth=3
	v_bfe_u32 v32, v52, 16, 1
	v_add3_u32 v35, v52, v32, s65
                                        ; implicit-def: $vgpr52
; %bb.1622:                             ;   in Loop: Header=BB10_1388 Depth=3
	s_andn2_saveexec_b64 s[42:43], s[42:43]
; %bb.1623:                             ;   in Loop: Header=BB10_1388 Depth=3
	v_or_b32_e32 v32, 0x10000, v52
	v_cmp_eq_u32_sdwa vcc, v52, v2 src0_sel:WORD_0 src1_sel:DWORD
	v_cndmask_b32_e32 v35, v32, v52, vcc
; %bb.1624:                             ;   in Loop: Header=BB10_1388 Depth=3
	s_or_b64 exec, exec, s[42:43]
	v_and_b32_e32 v9, 0xffff0000, v9
	v_and_b32_e32 v32, 0xffff0000, v36
	v_add_f32_e32 v36, v32, v9
	v_and_b32_e32 v9, 0x7f800000, v36
	v_cmp_ne_u32_e32 vcc, s64, v9
                                        ; implicit-def: $vgpr9
	s_and_saveexec_b64 s[42:43], vcc
	s_xor_b64 s[42:43], exec, s[42:43]
; %bb.1625:                             ;   in Loop: Header=BB10_1388 Depth=3
	v_bfe_u32 v9, v36, 16, 1
	v_add3_u32 v9, v36, v9, s65
                                        ; implicit-def: $vgpr36
; %bb.1626:                             ;   in Loop: Header=BB10_1388 Depth=3
	s_andn2_saveexec_b64 s[42:43], s[42:43]
; %bb.1627:                             ;   in Loop: Header=BB10_1388 Depth=3
	v_or_b32_e32 v9, 0x10000, v36
	v_cmp_eq_u32_sdwa vcc, v36, v2 src0_sel:WORD_0 src1_sel:DWORD
	v_cndmask_b32_e32 v9, v9, v36, vcc
; %bb.1628:                             ;   in Loop: Header=BB10_1388 Depth=3
	s_or_b64 exec, exec, s[42:43]
	v_and_b32_e32 v32, 0xffff0000, v37
	v_lshlrev_b32_e32 v33, 16, v10
	v_add_f32_e32 v37, v32, v33
	v_and_b32_e32 v32, 0x7f800000, v37
	v_cmp_ne_u32_e32 vcc, s64, v32
                                        ; implicit-def: $vgpr36
	s_and_saveexec_b64 s[42:43], vcc
	s_xor_b64 s[42:43], exec, s[42:43]
; %bb.1629:                             ;   in Loop: Header=BB10_1388 Depth=3
	v_bfe_u32 v32, v37, 16, 1
	v_add3_u32 v36, v37, v32, s65
                                        ; implicit-def: $vgpr37
; %bb.1630:                             ;   in Loop: Header=BB10_1388 Depth=3
	s_andn2_saveexec_b64 s[42:43], s[42:43]
; %bb.1631:                             ;   in Loop: Header=BB10_1388 Depth=3
	v_or_b32_e32 v32, 0x10000, v37
	v_cmp_eq_u32_sdwa vcc, v37, v2 src0_sel:WORD_0 src1_sel:DWORD
	v_cndmask_b32_e32 v36, v32, v37, vcc
; %bb.1632:                             ;   in Loop: Header=BB10_1388 Depth=3
	s_or_b64 exec, exec, s[42:43]
	v_and_b32_e32 v10, 0xffff0000, v10
	v_and_b32_e32 v6, 0xffff0000, v6
	v_add_f32_e32 v10, v6, v10
	v_and_b32_e32 v6, 0x7f800000, v10
	v_cmp_ne_u32_e32 vcc, s64, v6
                                        ; implicit-def: $vgpr6
	s_and_saveexec_b64 s[42:43], vcc
	s_xor_b64 s[42:43], exec, s[42:43]
; %bb.1633:                             ;   in Loop: Header=BB10_1388 Depth=3
	v_bfe_u32 v6, v10, 16, 1
	v_add3_u32 v6, v10, v6, s65
                                        ; implicit-def: $vgpr10
; %bb.1634:                             ;   in Loop: Header=BB10_1388 Depth=3
	s_andn2_saveexec_b64 s[42:43], s[42:43]
; %bb.1635:                             ;   in Loop: Header=BB10_1388 Depth=3
	v_or_b32_e32 v6, 0x10000, v10
	v_cmp_eq_u32_sdwa vcc, v10, v2 src0_sel:WORD_0 src1_sel:DWORD
	v_cndmask_b32_e32 v6, v6, v10, vcc
; %bb.1636:                             ;   in Loop: Header=BB10_1388 Depth=3
	s_or_b64 exec, exec, s[42:43]
	v_and_b32_e32 v7, 0xffff0000, v7
	v_lshlrev_b32_e32 v10, 16, v11
	v_add_f32_e32 v10, v7, v10
	v_and_b32_e32 v7, 0x7f800000, v10
	v_cmp_ne_u32_e32 vcc, s64, v7
                                        ; implicit-def: $vgpr7
	s_and_saveexec_b64 s[42:43], vcc
	s_xor_b64 s[42:43], exec, s[42:43]
; %bb.1637:                             ;   in Loop: Header=BB10_1388 Depth=3
	v_bfe_u32 v7, v10, 16, 1
	v_add3_u32 v7, v10, v7, s65
                                        ; implicit-def: $vgpr10
; %bb.1638:                             ;   in Loop: Header=BB10_1388 Depth=3
	s_andn2_saveexec_b64 s[42:43], s[42:43]
; %bb.1639:                             ;   in Loop: Header=BB10_1388 Depth=3
	v_or_b32_e32 v7, 0x10000, v10
	v_cmp_eq_u32_sdwa vcc, v10, v2 src0_sel:WORD_0 src1_sel:DWORD
	v_cndmask_b32_e32 v7, v7, v10, vcc
; %bb.1640:                             ;   in Loop: Header=BB10_1388 Depth=3
	s_or_b64 exec, exec, s[42:43]
	v_and_b32_e32 v10, 0xffff0000, v11
	v_and_b32_e32 v1, 0xffff0000, v1
	v_add_f32_e32 v10, v1, v10
	v_and_b32_e32 v1, 0x7f800000, v10
	v_cmp_ne_u32_e32 vcc, s64, v1
                                        ; implicit-def: $vgpr1
	s_and_saveexec_b64 s[42:43], vcc
	s_xor_b64 s[42:43], exec, s[42:43]
; %bb.1641:                             ;   in Loop: Header=BB10_1388 Depth=3
	v_bfe_u32 v1, v10, 16, 1
	v_add3_u32 v1, v10, v1, s65
                                        ; implicit-def: $vgpr10
; %bb.1642:                             ;   in Loop: Header=BB10_1388 Depth=3
	s_andn2_saveexec_b64 s[42:43], s[42:43]
	s_cbranch_execz .LBB10_1387
; %bb.1643:                             ;   in Loop: Header=BB10_1388 Depth=3
	v_or_b32_e32 v1, 0x10000, v10
	v_cmp_eq_u32_sdwa vcc, v10, v2 src0_sel:WORD_0 src1_sel:DWORD
	v_cndmask_b32_e32 v1, v1, v10, vcc
	s_branch .LBB10_1387
.LBB10_1644:                            ;   in Loop: Header=BB10_1303 Depth=2
	s_or_b64 exec, exec, s[40:41]
	buffer_load_dword v62, off, s[0:3], s33 offset:256 ; 4-byte Folded Reload
	buffer_load_dword v1, off, s[0:3], s33 offset:232 ; 4-byte Folded Reload
	;; [unrolled: 1-line block ×5, first 2 shown]
.LBB10_1645:                            ;   in Loop: Header=BB10_1303 Depth=2
	s_or_b64 exec, exec, s[28:29]
	s_waitcnt vmcnt(0)
	v_lshlrev_b32_e32 v3, 12, v3
	v_cmp_ne_u32_e32 vcc, v1, v3
	s_mov_b64 s[28:29], 0
	v_mov_b32_e32 v0, 0
                                        ; implicit-def: $vgpr1
                                        ; implicit-def: $vgpr6
	s_and_saveexec_b64 s[90:91], vcc
	s_cbranch_execz .LBB10_1717
; %bb.1646:                             ;   in Loop: Header=BB10_1303 Depth=2
	buffer_load_dword v0, off, s[0:3], s33 offset:232 ; 4-byte Folded Reload
	buffer_load_dword v4, off, s[0:3], s33 offset:328 ; 4-byte Folded Reload
	s_waitcnt vmcnt(1)
	v_sub_u32_e32 v1, v0, v3
	v_lshlrev_b32_e32 v0, 6, v47
	s_waitcnt vmcnt(0)
	v_sub_u32_e32 v0, v4, v0
	v_ashrrev_i32_e32 v4, 31, v0
	v_lshrrev_b32_e32 v4, 26, v4
	v_add_u32_e32 v4, v0, v4
	v_ashrrev_i32_e32 v5, 6, v4
	v_and_b32_e32 v4, 0xffffffc0, v4
	v_sub_u32_e32 v4, v0, v4
	v_lshlrev_b32_e32 v0, 4, v4
	v_lshl_add_u32 v7, v5, 10, v0
	v_ashrrev_i32_e32 v0, 31, v1
	v_lshrrev_b32_e32 v0, 22, v0
	v_add_u32_e32 v0, v1, v0
	v_ashrrev_i32_e32 v8, 10, v0
	v_and_b32_e32 v0, 0xfffffc00, v0
	v_sub_u32_e32 v6, v1, v7
	v_sub_u32_e32 v1, v1, v0
	v_cmp_lt_i32_e64 s[28:29], 15, v1
	v_addc_co_u32_e64 v8, vcc, 0, v8, s[28:29]
	v_sub_u32_e32 v5, v8, v5
	v_cmp_lt_i32_e32 vcc, 15, v6
	s_and_saveexec_b64 s[92:93], vcc
	s_cbranch_execz .LBB10_1716
; %bb.1647:                             ;   in Loop: Header=BB10_1303 Depth=2
	v_add_u32_e32 v10, v7, v3
	buffer_load_dword v7, off, s[0:3], s33 offset:224 ; 4-byte Folded Reload
	buffer_load_dword v8, off, s[0:3], s33 offset:228 ; 4-byte Folded Reload
	v_ashrrev_i32_e32 v11, 31, v10
	s_mov_b64 s[94:95], 0
	s_waitcnt vmcnt(1)
	v_add_co_u32_e32 v7, vcc, v10, v7
	s_waitcnt vmcnt(0)
	v_addc_co_u32_e32 v16, vcc, v11, v8, vcc
	buffer_load_dword v8, off, s[0:3], s33 offset:240 ; 4-byte Folded Reload
	buffer_load_dword v9, off, s[0:3], s33 offset:244 ; 4-byte Folded Reload
	v_add_co_u32_e32 v17, vcc, v10, v44
	v_addc_co_u32_e32 v18, vcc, v11, v45, vcc
	s_trap 2
	s_waitcnt vmcnt(1)
	v_add_co_u32_e32 v12, vcc, v10, v8
	s_waitcnt vmcnt(0)
	v_addc_co_u32_e32 v13, vcc, v11, v9, vcc
	ds_read_b64 v[8:9], v0
	s_waitcnt lgkmcnt(0)
	v_add_co_u32_e32 v14, vcc, v8, v10
	ds_read_b32 v8, v0
	v_addc_co_u32_e32 v15, vcc, v9, v11, vcc
	s_waitcnt lgkmcnt(0)
	v_lshlrev_b32_e32 v19, 16, v8
.LBB10_1648:                            ;   Parent Loop BB10_47 Depth=1
                                        ;     Parent Loop BB10_1303 Depth=2
                                        ; =>    This Loop Header: Depth=3
                                        ;         Child Loop BB10_1713 Depth 4
	global_load_dwordx4 v[8:11], v[12:13], off glc slc
	s_waitcnt vmcnt(0)
	v_lshlrev_b32_e32 v20, 16, v8
	v_mul_f32_e32 v20, v19, v20
	v_and_b32_e32 v21, 0x7f800000, v20
	v_cmp_ne_u32_e32 vcc, s64, v21
                                        ; implicit-def: $vgpr21
	s_and_saveexec_b64 s[40:41], vcc
	s_xor_b64 s[40:41], exec, s[40:41]
; %bb.1649:                             ;   in Loop: Header=BB10_1648 Depth=3
	v_bfe_u32 v21, v20, 16, 1
	v_add3_u32 v21, v20, v21, s65
                                        ; implicit-def: $vgpr20
; %bb.1650:                             ;   in Loop: Header=BB10_1648 Depth=3
	s_andn2_saveexec_b64 s[40:41], s[40:41]
; %bb.1651:                             ;   in Loop: Header=BB10_1648 Depth=3
	v_or_b32_e32 v21, 0x10000, v20
	v_cmp_eq_u32_sdwa vcc, v20, v2 src0_sel:WORD_0 src1_sel:DWORD
	v_cndmask_b32_e32 v21, v21, v20, vcc
; %bb.1652:                             ;   in Loop: Header=BB10_1648 Depth=3
	s_or_b64 exec, exec, s[40:41]
	v_and_b32_e32 v8, 0xffff0000, v8
	v_mul_f32_e32 v8, v19, v8
	v_and_b32_e32 v20, 0x7f800000, v8
	v_cmp_ne_u32_e32 vcc, s64, v20
                                        ; implicit-def: $vgpr27
	s_and_saveexec_b64 s[40:41], vcc
	s_xor_b64 s[40:41], exec, s[40:41]
; %bb.1653:                             ;   in Loop: Header=BB10_1648 Depth=3
	v_bfe_u32 v20, v8, 16, 1
	v_add3_u32 v27, v8, v20, s65
                                        ; implicit-def: $vgpr8
; %bb.1654:                             ;   in Loop: Header=BB10_1648 Depth=3
	s_andn2_saveexec_b64 s[40:41], s[40:41]
; %bb.1655:                             ;   in Loop: Header=BB10_1648 Depth=3
	v_or_b32_e32 v20, 0x10000, v8
	v_cmp_eq_u32_sdwa vcc, v8, v2 src0_sel:WORD_0 src1_sel:DWORD
	v_cndmask_b32_e32 v27, v20, v8, vcc
; %bb.1656:                             ;   in Loop: Header=BB10_1648 Depth=3
	s_or_b64 exec, exec, s[40:41]
	v_lshlrev_b32_e32 v8, 16, v9
	v_mul_f32_e32 v8, v19, v8
	v_and_b32_e32 v20, 0x7f800000, v8
	v_cmp_ne_u32_e32 vcc, s64, v20
                                        ; implicit-def: $vgpr26
	s_and_saveexec_b64 s[40:41], vcc
	s_xor_b64 s[40:41], exec, s[40:41]
; %bb.1657:                             ;   in Loop: Header=BB10_1648 Depth=3
	v_bfe_u32 v20, v8, 16, 1
	v_add3_u32 v26, v8, v20, s65
                                        ; implicit-def: $vgpr8
; %bb.1658:                             ;   in Loop: Header=BB10_1648 Depth=3
	s_andn2_saveexec_b64 s[40:41], s[40:41]
; %bb.1659:                             ;   in Loop: Header=BB10_1648 Depth=3
	v_or_b32_e32 v20, 0x10000, v8
	v_cmp_eq_u32_sdwa vcc, v8, v2 src0_sel:WORD_0 src1_sel:DWORD
	v_cndmask_b32_e32 v26, v20, v8, vcc
; %bb.1660:                             ;   in Loop: Header=BB10_1648 Depth=3
	s_or_b64 exec, exec, s[40:41]
	v_and_b32_e32 v8, 0xffff0000, v9
	v_mul_f32_e32 v8, v19, v8
	v_and_b32_e32 v9, 0x7f800000, v8
	v_cmp_ne_u32_e32 vcc, s64, v9
                                        ; implicit-def: $vgpr25
	s_and_saveexec_b64 s[40:41], vcc
	s_xor_b64 s[40:41], exec, s[40:41]
; %bb.1661:                             ;   in Loop: Header=BB10_1648 Depth=3
	v_bfe_u32 v9, v8, 16, 1
	v_add3_u32 v25, v8, v9, s65
                                        ; implicit-def: $vgpr8
; %bb.1662:                             ;   in Loop: Header=BB10_1648 Depth=3
	s_andn2_saveexec_b64 s[40:41], s[40:41]
; %bb.1663:                             ;   in Loop: Header=BB10_1648 Depth=3
	v_or_b32_e32 v9, 0x10000, v8
	v_cmp_eq_u32_sdwa vcc, v8, v2 src0_sel:WORD_0 src1_sel:DWORD
	v_cndmask_b32_e32 v25, v9, v8, vcc
; %bb.1664:                             ;   in Loop: Header=BB10_1648 Depth=3
	s_or_b64 exec, exec, s[40:41]
	v_lshlrev_b32_e32 v8, 16, v10
	v_mul_f32_e32 v8, v19, v8
	v_and_b32_e32 v9, 0x7f800000, v8
	v_cmp_ne_u32_e32 vcc, s64, v9
                                        ; implicit-def: $vgpr24
	s_and_saveexec_b64 s[40:41], vcc
	s_xor_b64 s[40:41], exec, s[40:41]
; %bb.1665:                             ;   in Loop: Header=BB10_1648 Depth=3
	v_bfe_u32 v9, v8, 16, 1
	v_add3_u32 v24, v8, v9, s65
                                        ; implicit-def: $vgpr8
; %bb.1666:                             ;   in Loop: Header=BB10_1648 Depth=3
	s_andn2_saveexec_b64 s[40:41], s[40:41]
; %bb.1667:                             ;   in Loop: Header=BB10_1648 Depth=3
	v_or_b32_e32 v9, 0x10000, v8
	v_cmp_eq_u32_sdwa vcc, v8, v2 src0_sel:WORD_0 src1_sel:DWORD
	v_cndmask_b32_e32 v24, v9, v8, vcc
; %bb.1668:                             ;   in Loop: Header=BB10_1648 Depth=3
	s_or_b64 exec, exec, s[40:41]
	v_and_b32_e32 v8, 0xffff0000, v10
	v_mul_f32_e32 v8, v19, v8
	v_and_b32_e32 v9, 0x7f800000, v8
	v_cmp_ne_u32_e32 vcc, s64, v9
                                        ; implicit-def: $vgpr23
	s_and_saveexec_b64 s[40:41], vcc
	s_xor_b64 s[40:41], exec, s[40:41]
; %bb.1669:                             ;   in Loop: Header=BB10_1648 Depth=3
	v_bfe_u32 v9, v8, 16, 1
	v_add3_u32 v23, v8, v9, s65
                                        ; implicit-def: $vgpr8
; %bb.1670:                             ;   in Loop: Header=BB10_1648 Depth=3
	s_andn2_saveexec_b64 s[40:41], s[40:41]
; %bb.1671:                             ;   in Loop: Header=BB10_1648 Depth=3
	v_or_b32_e32 v9, 0x10000, v8
	v_cmp_eq_u32_sdwa vcc, v8, v2 src0_sel:WORD_0 src1_sel:DWORD
	v_cndmask_b32_e32 v23, v9, v8, vcc
; %bb.1672:                             ;   in Loop: Header=BB10_1648 Depth=3
	s_or_b64 exec, exec, s[40:41]
	v_lshlrev_b32_e32 v8, 16, v11
	v_mul_f32_e32 v8, v19, v8
	v_and_b32_e32 v9, 0x7f800000, v8
	v_cmp_ne_u32_e32 vcc, s64, v9
                                        ; implicit-def: $vgpr22
	s_and_saveexec_b64 s[40:41], vcc
	s_xor_b64 s[40:41], exec, s[40:41]
; %bb.1673:                             ;   in Loop: Header=BB10_1648 Depth=3
	v_bfe_u32 v9, v8, 16, 1
	v_add3_u32 v22, v8, v9, s65
                                        ; implicit-def: $vgpr8
; %bb.1674:                             ;   in Loop: Header=BB10_1648 Depth=3
	s_andn2_saveexec_b64 s[40:41], s[40:41]
; %bb.1675:                             ;   in Loop: Header=BB10_1648 Depth=3
	v_or_b32_e32 v9, 0x10000, v8
	v_cmp_eq_u32_sdwa vcc, v8, v2 src0_sel:WORD_0 src1_sel:DWORD
	v_cndmask_b32_e32 v22, v9, v8, vcc
; %bb.1676:                             ;   in Loop: Header=BB10_1648 Depth=3
	s_or_b64 exec, exec, s[40:41]
	v_and_b32_e32 v8, 0xffff0000, v11
	v_mul_f32_e32 v8, v19, v8
	v_and_b32_e32 v9, 0x7f800000, v8
	v_cmp_ne_u32_e32 vcc, s64, v9
                                        ; implicit-def: $vgpr20
	s_and_saveexec_b64 s[40:41], vcc
	s_xor_b64 s[40:41], exec, s[40:41]
; %bb.1677:                             ;   in Loop: Header=BB10_1648 Depth=3
	v_bfe_u32 v9, v8, 16, 1
	v_add3_u32 v20, v8, v9, s65
                                        ; implicit-def: $vgpr8
; %bb.1678:                             ;   in Loop: Header=BB10_1648 Depth=3
	s_andn2_saveexec_b64 s[40:41], s[40:41]
; %bb.1679:                             ;   in Loop: Header=BB10_1648 Depth=3
	v_or_b32_e32 v9, 0x10000, v8
	v_cmp_eq_u32_sdwa vcc, v8, v2 src0_sel:WORD_0 src1_sel:DWORD
	v_cndmask_b32_e32 v20, v9, v8, vcc
; %bb.1680:                             ;   in Loop: Header=BB10_1648 Depth=3
	s_or_b64 exec, exec, s[40:41]
	global_load_dwordx4 v[8:11], v[14:15], off glc slc
	v_and_b32_e32 v21, 0xffff0000, v21
	s_waitcnt vmcnt(0)
	v_lshlrev_b32_e32 v28, 16, v8
	v_add_f32_e32 v28, v21, v28
	v_and_b32_e32 v21, 0x7f800000, v28
	v_cmp_ne_u32_e32 vcc, s64, v21
                                        ; implicit-def: $vgpr21
	s_and_saveexec_b64 s[40:41], vcc
	s_xor_b64 s[40:41], exec, s[40:41]
; %bb.1681:                             ;   in Loop: Header=BB10_1648 Depth=3
	v_bfe_u32 v21, v28, 16, 1
	v_add3_u32 v21, v28, v21, s65
                                        ; implicit-def: $vgpr28
; %bb.1682:                             ;   in Loop: Header=BB10_1648 Depth=3
	s_andn2_saveexec_b64 s[40:41], s[40:41]
; %bb.1683:                             ;   in Loop: Header=BB10_1648 Depth=3
	v_or_b32_e32 v21, 0x10000, v28
	v_cmp_eq_u32_sdwa vcc, v28, v2 src0_sel:WORD_0 src1_sel:DWORD
	v_cndmask_b32_e32 v21, v21, v28, vcc
; %bb.1684:                             ;   in Loop: Header=BB10_1648 Depth=3
	s_or_b64 exec, exec, s[40:41]
	v_and_b32_e32 v27, 0xffff0000, v27
	v_and_b32_e32 v8, 0xffff0000, v8
	v_add_f32_e32 v27, v27, v8
	v_and_b32_e32 v8, 0x7f800000, v27
	v_cmp_ne_u32_e32 vcc, s64, v8
                                        ; implicit-def: $vgpr8
	s_and_saveexec_b64 s[40:41], vcc
	s_xor_b64 s[40:41], exec, s[40:41]
; %bb.1685:                             ;   in Loop: Header=BB10_1648 Depth=3
	v_bfe_u32 v8, v27, 16, 1
	v_add3_u32 v8, v27, v8, s65
                                        ; implicit-def: $vgpr27
; %bb.1686:                             ;   in Loop: Header=BB10_1648 Depth=3
	s_andn2_saveexec_b64 s[40:41], s[40:41]
; %bb.1687:                             ;   in Loop: Header=BB10_1648 Depth=3
	v_or_b32_e32 v8, 0x10000, v27
	v_cmp_eq_u32_sdwa vcc, v27, v2 src0_sel:WORD_0 src1_sel:DWORD
	v_cndmask_b32_e32 v8, v8, v27, vcc
; %bb.1688:                             ;   in Loop: Header=BB10_1648 Depth=3
	s_or_b64 exec, exec, s[40:41]
	v_and_b32_e32 v26, 0xffff0000, v26
	v_lshlrev_b32_e32 v27, 16, v9
	v_add_f32_e32 v27, v26, v27
	v_and_b32_e32 v26, 0x7f800000, v27
	v_cmp_ne_u32_e32 vcc, s64, v26
                                        ; implicit-def: $vgpr26
	s_and_saveexec_b64 s[40:41], vcc
	s_xor_b64 s[40:41], exec, s[40:41]
; %bb.1689:                             ;   in Loop: Header=BB10_1648 Depth=3
	v_bfe_u32 v26, v27, 16, 1
	v_add3_u32 v26, v27, v26, s65
                                        ; implicit-def: $vgpr27
; %bb.1690:                             ;   in Loop: Header=BB10_1648 Depth=3
	s_andn2_saveexec_b64 s[40:41], s[40:41]
; %bb.1691:                             ;   in Loop: Header=BB10_1648 Depth=3
	v_or_b32_e32 v26, 0x10000, v27
	v_cmp_eq_u32_sdwa vcc, v27, v2 src0_sel:WORD_0 src1_sel:DWORD
	v_cndmask_b32_e32 v26, v26, v27, vcc
; %bb.1692:                             ;   in Loop: Header=BB10_1648 Depth=3
	s_or_b64 exec, exec, s[40:41]
	v_and_b32_e32 v25, 0xffff0000, v25
	v_and_b32_e32 v9, 0xffff0000, v9
	v_add_f32_e32 v25, v25, v9
	v_and_b32_e32 v9, 0x7f800000, v25
	v_cmp_ne_u32_e32 vcc, s64, v9
                                        ; implicit-def: $vgpr9
	s_and_saveexec_b64 s[40:41], vcc
	s_xor_b64 s[40:41], exec, s[40:41]
; %bb.1693:                             ;   in Loop: Header=BB10_1648 Depth=3
	v_bfe_u32 v9, v25, 16, 1
	v_add3_u32 v9, v25, v9, s65
                                        ; implicit-def: $vgpr25
; %bb.1694:                             ;   in Loop: Header=BB10_1648 Depth=3
	s_andn2_saveexec_b64 s[40:41], s[40:41]
; %bb.1695:                             ;   in Loop: Header=BB10_1648 Depth=3
	v_or_b32_e32 v9, 0x10000, v25
	v_cmp_eq_u32_sdwa vcc, v25, v2 src0_sel:WORD_0 src1_sel:DWORD
	v_cndmask_b32_e32 v9, v9, v25, vcc
; %bb.1696:                             ;   in Loop: Header=BB10_1648 Depth=3
	s_or_b64 exec, exec, s[40:41]
	v_and_b32_e32 v24, 0xffff0000, v24
	v_lshlrev_b32_e32 v25, 16, v10
	v_add_f32_e32 v25, v24, v25
	v_and_b32_e32 v24, 0x7f800000, v25
	v_cmp_ne_u32_e32 vcc, s64, v24
                                        ; implicit-def: $vgpr24
	s_and_saveexec_b64 s[40:41], vcc
	s_xor_b64 s[40:41], exec, s[40:41]
; %bb.1697:                             ;   in Loop: Header=BB10_1648 Depth=3
	v_bfe_u32 v24, v25, 16, 1
	v_add3_u32 v24, v25, v24, s65
                                        ; implicit-def: $vgpr25
; %bb.1698:                             ;   in Loop: Header=BB10_1648 Depth=3
	s_andn2_saveexec_b64 s[40:41], s[40:41]
; %bb.1699:                             ;   in Loop: Header=BB10_1648 Depth=3
	v_or_b32_e32 v24, 0x10000, v25
	v_cmp_eq_u32_sdwa vcc, v25, v2 src0_sel:WORD_0 src1_sel:DWORD
	v_cndmask_b32_e32 v24, v24, v25, vcc
; %bb.1700:                             ;   in Loop: Header=BB10_1648 Depth=3
	s_or_b64 exec, exec, s[40:41]
	v_and_b32_e32 v23, 0xffff0000, v23
	v_and_b32_e32 v10, 0xffff0000, v10
	v_add_f32_e32 v23, v23, v10
	v_and_b32_e32 v10, 0x7f800000, v23
	v_cmp_ne_u32_e32 vcc, s64, v10
                                        ; implicit-def: $vgpr10
	s_and_saveexec_b64 s[40:41], vcc
	s_xor_b64 s[40:41], exec, s[40:41]
; %bb.1701:                             ;   in Loop: Header=BB10_1648 Depth=3
	v_bfe_u32 v10, v23, 16, 1
	v_add3_u32 v10, v23, v10, s65
                                        ; implicit-def: $vgpr23
; %bb.1702:                             ;   in Loop: Header=BB10_1648 Depth=3
	s_andn2_saveexec_b64 s[40:41], s[40:41]
; %bb.1703:                             ;   in Loop: Header=BB10_1648 Depth=3
	v_or_b32_e32 v10, 0x10000, v23
	v_cmp_eq_u32_sdwa vcc, v23, v2 src0_sel:WORD_0 src1_sel:DWORD
	v_cndmask_b32_e32 v10, v10, v23, vcc
; %bb.1704:                             ;   in Loop: Header=BB10_1648 Depth=3
	s_or_b64 exec, exec, s[40:41]
	v_and_b32_e32 v22, 0xffff0000, v22
	v_lshlrev_b32_e32 v23, 16, v11
	v_add_f32_e32 v23, v22, v23
	v_and_b32_e32 v22, 0x7f800000, v23
	v_cmp_ne_u32_e32 vcc, s64, v22
                                        ; implicit-def: $vgpr22
	s_and_saveexec_b64 s[40:41], vcc
	s_xor_b64 s[40:41], exec, s[40:41]
; %bb.1705:                             ;   in Loop: Header=BB10_1648 Depth=3
	v_bfe_u32 v22, v23, 16, 1
	v_add3_u32 v22, v23, v22, s65
                                        ; implicit-def: $vgpr23
; %bb.1706:                             ;   in Loop: Header=BB10_1648 Depth=3
	s_andn2_saveexec_b64 s[40:41], s[40:41]
; %bb.1707:                             ;   in Loop: Header=BB10_1648 Depth=3
	v_or_b32_e32 v22, 0x10000, v23
	v_cmp_eq_u32_sdwa vcc, v23, v2 src0_sel:WORD_0 src1_sel:DWORD
	v_cndmask_b32_e32 v22, v22, v23, vcc
; %bb.1708:                             ;   in Loop: Header=BB10_1648 Depth=3
	s_or_b64 exec, exec, s[40:41]
	v_and_b32_e32 v20, 0xffff0000, v20
	v_and_b32_e32 v11, 0xffff0000, v11
	v_add_f32_e32 v20, v20, v11
	v_and_b32_e32 v11, 0x7f800000, v20
	v_cmp_ne_u32_e32 vcc, s64, v11
                                        ; implicit-def: $vgpr11
	s_and_saveexec_b64 s[40:41], vcc
	s_xor_b64 s[40:41], exec, s[40:41]
; %bb.1709:                             ;   in Loop: Header=BB10_1648 Depth=3
	v_bfe_u32 v11, v20, 16, 1
	v_add3_u32 v11, v20, v11, s65
                                        ; implicit-def: $vgpr20
; %bb.1710:                             ;   in Loop: Header=BB10_1648 Depth=3
	s_andn2_saveexec_b64 s[40:41], s[40:41]
; %bb.1711:                             ;   in Loop: Header=BB10_1648 Depth=3
	v_or_b32_e32 v11, 0x10000, v20
	v_cmp_eq_u32_sdwa vcc, v20, v2 src0_sel:WORD_0 src1_sel:DWORD
	v_cndmask_b32_e32 v11, v11, v20, vcc
; %bb.1712:                             ;   in Loop: Header=BB10_1648 Depth=3
	s_or_b64 exec, exec, s[40:41]
	v_lshrrev_b32_e32 v20, 16, v26
	v_and_or_b32 v9, v9, s66, v20
	v_lshrrev_b32_e32 v20, 16, v21
	v_and_or_b32 v8, v8, s66, v20
	;; [unrolled: 2-line block ×4, first 2 shown]
	s_mov_b64 s[34:35], 0
	s_mov_b64 s[30:31], -1
.LBB10_1713:                            ;   Parent Loop BB10_47 Depth=1
                                        ;     Parent Loop BB10_1303 Depth=2
                                        ;       Parent Loop BB10_1648 Depth=3
                                        ; =>      This Inner Loop Header: Depth=4
	s_cmp_eq_u32 s34, 1
	s_cselect_b64 s[40:41], -1, 0
	v_cndmask_b32_e64 v21, v16, v18, s[40:41]
	v_cndmask_b32_e64 v20, v7, v17, s[40:41]
	global_store_dwordx4 v[20:21], v[8:11], off glc slc
	v_add_co_u32_e32 v20, vcc, 0x400, v20
	s_cmp_eq_u32 s34, 0
	v_addc_co_u32_e32 v21, vcc, 0, v21, vcc
	s_cselect_b64 vcc, -1, 0
	s_and_b64 s[42:43], exec, s[30:31]
	s_mov_b64 s[34:35], 1
	v_cndmask_b32_e64 v17, v17, v20, s[40:41]
	s_mov_b64 s[30:31], 0
	v_cndmask_b32_e64 v18, v18, v21, s[40:41]
	v_cndmask_b32_e32 v16, v16, v21, vcc
	v_cndmask_b32_e32 v7, v7, v20, vcc
	s_mov_b64 vcc, s[42:43]
	s_cbranch_vccnz .LBB10_1713
; %bb.1714:                             ;   in Loop: Header=BB10_1648 Depth=3
	buffer_load_dword v8, off, s[0:3], s33 offset:172 ; 4-byte Folded Reload
	buffer_load_dword v9, off, s[0:3], s33 offset:176 ; 4-byte Folded Reload
	s_waitcnt vmcnt(1)
	v_add_co_u32_e32 v12, vcc, v12, v8
	s_waitcnt vmcnt(0)
	v_addc_co_u32_e32 v13, vcc, v13, v9, vcc
	v_add_co_u32_e32 v14, vcc, v14, v8
	buffer_load_dword v8, off, s[0:3], s33 offset:164 ; 4-byte Folded Reload
	v_addc_co_u32_e32 v15, vcc, v15, v9, vcc
	buffer_load_dword v9, off, s[0:3], s33 offset:168 ; 4-byte Folded Reload
	s_waitcnt vmcnt(1)
	v_add_co_u32_e32 v7, vcc, v7, v8
	s_waitcnt vmcnt(0)
	v_addc_co_u32_e32 v16, vcc, v16, v9, vcc
	v_add_co_u32_e32 v17, vcc, v17, v8
	buffer_load_dword v8, off, s[0:3], s33 offset:136 ; 4-byte Folded Reload
	v_addc_co_u32_e32 v18, vcc, v18, v9, vcc
	s_waitcnt vmcnt(0)
	v_sub_u32_e32 v6, v6, v8
	buffer_load_dword v8, off, s[0:3], s33 offset:88 ; 4-byte Folded Reload
	v_cmp_gt_i32_e32 vcc, 16, v6
	s_or_b64 s[94:95], vcc, s[94:95]
	s_waitcnt vmcnt(0)
	v_sub_u32_e32 v5, v5, v8
	s_andn2_b64 exec, exec, s[94:95]
	s_cbranch_execnz .LBB10_1648
; %bb.1715:                             ;   in Loop: Header=BB10_1303 Depth=2
	s_or_b64 exec, exec, s[94:95]
.LBB10_1716:                            ;   in Loop: Header=BB10_1303 Depth=2
	s_or_b64 exec, exec, s[92:93]
	buffer_load_dword v6, off, s[0:3], s33 offset:232 ; 4-byte Folded Reload
	v_cmp_lt_i32_e32 vcc, 0, v5
	s_waitcnt vmcnt(0)
	v_and_b32_e32 v6, 14, v6
	v_sub_u32_e32 v7, v1, v6
	v_cndmask_b32_e64 v7, 0, v7, s[28:29]
	v_add3_u32 v0, v0, v3, v7
	buffer_load_dword v3, off, s[0:3], s33 offset:88 ; 4-byte Folded Reload
	v_cndmask_b32_e64 v1, v1, v6, s[28:29]
	s_waitcnt vmcnt(0)
	v_cndmask_b32_e32 v3, 0, v3, vcc
	v_sub_u32_e32 v3, v3, v5
	v_cmp_ne_u32_e32 vcc, 0, v1
	v_lshl_add_u32 v6, v3, 6, v4
	s_and_b64 s[28:29], vcc, exec
.LBB10_1717:                            ;   in Loop: Header=BB10_1303 Depth=2
	s_or_b64 exec, exec, s[90:91]
	s_and_saveexec_b64 s[42:43], s[28:29]
	s_cbranch_execz .LBB10_1864
.LBB10_1718:                            ;   in Loop: Header=BB10_1303 Depth=2
	s_waitcnt vmcnt(0)
	v_ashrrev_i32_e32 v3, 31, v6
	v_ashrrev_i32_e32 v4, 31, v1
	v_lshrrev_b32_e32 v3, 26, v3
	v_lshrrev_b32_e32 v4, 21, v4
	v_add_u32_e32 v3, v6, v3
	v_add_u32_e32 v4, v1, v4
	v_ashrrev_i32_e32 v7, 6, v3
	v_ashrrev_i32_e32 v17, 11, v4
	v_sub_u32_e32 v16, v17, v7
	v_cmp_lt_i32_e32 vcc, 0, v16
	s_and_saveexec_b64 s[28:29], vcc
	s_cbranch_execz .LBB10_1850
; %bb.1719:                             ;   in Loop: Header=BB10_1303 Depth=2
	v_and_b32_e32 v3, 0x7fffffc0, v3
	v_sub_u32_e32 v3, v6, v3
	v_lshlrev_b32_e32 v3, 1, v3
	v_lshlrev_b32_e32 v4, 11, v7
	v_add3_u32 v5, v3, v0, v4
	buffer_load_dword v3, off, s[0:3], s33 offset:224 ; 4-byte Folded Reload
	buffer_load_dword v4, off, s[0:3], s33 offset:228 ; 4-byte Folded Reload
	v_ashrrev_i32_e32 v15, 31, v5
	s_mov_b64 s[40:41], 0
	s_waitcnt vmcnt(1)
	v_add_co_u32_e32 v8, vcc, v5, v3
	s_waitcnt vmcnt(0)
	v_addc_co_u32_e32 v9, vcc, v15, v4, vcc
	buffer_load_dword v3, off, s[0:3], s33 offset:240 ; 4-byte Folded Reload
	buffer_load_dword v4, off, s[0:3], s33 offset:244 ; 4-byte Folded Reload
	v_add_co_u32_e32 v10, vcc, v5, v44
	v_addc_co_u32_e32 v11, vcc, v15, v45, vcc
	s_trap 2
	s_waitcnt vmcnt(1)
	v_add_co_u32_e32 v12, vcc, v5, v3
	s_waitcnt vmcnt(0)
	v_addc_co_u32_e32 v13, vcc, v15, v4, vcc
	ds_read_b64 v[3:4], v0
	s_waitcnt lgkmcnt(0)
	v_add_co_u32_e32 v14, vcc, v3, v5
	ds_read_b32 v3, v0
	v_addc_co_u32_e32 v15, vcc, v4, v15, vcc
	s_waitcnt lgkmcnt(0)
	v_lshlrev_b32_e32 v18, 16, v3
	s_branch .LBB10_1721
.LBB10_1720:                            ;   in Loop: Header=BB10_1721 Depth=3
	s_or_b64 exec, exec, s[90:91]
	v_lshrrev_b32_e32 v3, 16, v3
	v_lshrrev_b32_e32 v30, 16, v30
	;; [unrolled: 1-line block ×16, first 2 shown]
	flat_store_short v[8:9], v3 glc slc
	flat_store_short v[8:9], v4 offset:128 glc slc
	flat_store_short v[8:9], v5 offset:256 glc slc
	;; [unrolled: 1-line block ×15, first 2 shown]
	flat_store_short v[10:11], v3 glc slc
	flat_store_short v[10:11], v4 offset:128 glc slc
	flat_store_short v[10:11], v5 offset:256 glc slc
	;; [unrolled: 1-line block ×15, first 2 shown]
	buffer_load_dword v4, off, s[0:3], s33 offset:92 ; 4-byte Folded Reload
	buffer_load_dword v3, off, s[0:3], s33 offset:88 ; 4-byte Folded Reload
	s_waitcnt vmcnt(0)
	v_add_co_u32_e32 v12, vcc, v12, v4
	v_addc_co_u32_e32 v13, vcc, 0, v13, vcc
	v_add_co_u32_e32 v14, vcc, v14, v4
	v_addc_co_u32_e32 v15, vcc, 0, v15, vcc
	;; [unrolled: 2-line block ×3, first 2 shown]
	v_sub_u32_e32 v16, v16, v3
	v_cmp_gt_i32_e32 vcc, 1, v16
	s_or_b64 s[40:41], vcc, s[40:41]
	v_add_co_u32_e32 v10, vcc, v10, v4
	v_addc_co_u32_e32 v11, vcc, 0, v11, vcc
	s_andn2_b64 exec, exec, s[40:41]
	s_cbranch_execz .LBB10_1849
.LBB10_1721:                            ;   Parent Loop BB10_47 Depth=1
                                        ;     Parent Loop BB10_1303 Depth=2
                                        ; =>    This Inner Loop Header: Depth=3
	flat_load_ushort v3, v[12:13] glc slc
	s_waitcnt vmcnt(0) lgkmcnt(0)
	v_lshlrev_b32_e32 v3, 16, v3
	v_mul_f32_e32 v4, v18, v3
	v_and_b32_e32 v3, 0x7f800000, v4
	v_cmp_ne_u32_e32 vcc, s64, v3
                                        ; implicit-def: $vgpr3
	s_and_saveexec_b64 s[90:91], vcc
	s_xor_b64 s[90:91], exec, s[90:91]
; %bb.1722:                             ;   in Loop: Header=BB10_1721 Depth=3
	v_bfe_u32 v3, v4, 16, 1
	v_add3_u32 v3, v4, v3, s65
                                        ; implicit-def: $vgpr4
; %bb.1723:                             ;   in Loop: Header=BB10_1721 Depth=3
	s_andn2_saveexec_b64 s[90:91], s[90:91]
; %bb.1724:                             ;   in Loop: Header=BB10_1721 Depth=3
	v_or_b32_e32 v3, 0x10000, v4
	v_cmp_eq_u32_sdwa vcc, v4, v2 src0_sel:WORD_0 src1_sel:DWORD
	v_cndmask_b32_e32 v3, v3, v4, vcc
; %bb.1725:                             ;   in Loop: Header=BB10_1721 Depth=3
	s_or_b64 exec, exec, s[90:91]
	flat_load_ushort v4, v[12:13] offset:128 glc slc
	s_waitcnt vmcnt(0) lgkmcnt(0)
	v_lshlrev_b32_e32 v4, 16, v4
	v_mul_f32_e32 v5, v18, v4
	v_and_b32_e32 v4, 0x7f800000, v5
	v_cmp_ne_u32_e32 vcc, s64, v4
                                        ; implicit-def: $vgpr4
	s_and_saveexec_b64 s[90:91], vcc
	s_xor_b64 s[90:91], exec, s[90:91]
; %bb.1726:                             ;   in Loop: Header=BB10_1721 Depth=3
	v_bfe_u32 v4, v5, 16, 1
	v_add3_u32 v4, v5, v4, s65
                                        ; implicit-def: $vgpr5
; %bb.1727:                             ;   in Loop: Header=BB10_1721 Depth=3
	s_andn2_saveexec_b64 s[90:91], s[90:91]
; %bb.1728:                             ;   in Loop: Header=BB10_1721 Depth=3
	v_or_b32_e32 v4, 0x10000, v5
	v_cmp_eq_u32_sdwa vcc, v5, v2 src0_sel:WORD_0 src1_sel:DWORD
	v_cndmask_b32_e32 v4, v4, v5, vcc
; %bb.1729:                             ;   in Loop: Header=BB10_1721 Depth=3
	s_or_b64 exec, exec, s[90:91]
	flat_load_ushort v5, v[12:13] offset:256 glc slc
	s_waitcnt vmcnt(0) lgkmcnt(0)
	v_lshlrev_b32_e32 v5, 16, v5
	v_mul_f32_e32 v19, v18, v5
	v_and_b32_e32 v5, 0x7f800000, v19
	v_cmp_ne_u32_e32 vcc, s64, v5
                                        ; implicit-def: $vgpr5
	s_and_saveexec_b64 s[90:91], vcc
	s_xor_b64 s[90:91], exec, s[90:91]
; %bb.1730:                             ;   in Loop: Header=BB10_1721 Depth=3
	v_bfe_u32 v5, v19, 16, 1
	v_add3_u32 v5, v19, v5, s65
                                        ; implicit-def: $vgpr19
; %bb.1731:                             ;   in Loop: Header=BB10_1721 Depth=3
	s_andn2_saveexec_b64 s[90:91], s[90:91]
; %bb.1732:                             ;   in Loop: Header=BB10_1721 Depth=3
	v_or_b32_e32 v5, 0x10000, v19
	v_cmp_eq_u32_sdwa vcc, v19, v2 src0_sel:WORD_0 src1_sel:DWORD
	v_cndmask_b32_e32 v5, v5, v19, vcc
; %bb.1733:                             ;   in Loop: Header=BB10_1721 Depth=3
	s_or_b64 exec, exec, s[90:91]
	flat_load_ushort v19, v[12:13] offset:384 glc slc
	s_waitcnt vmcnt(0) lgkmcnt(0)
	v_lshlrev_b32_e32 v19, 16, v19
	v_mul_f32_e32 v20, v18, v19
	v_and_b32_e32 v19, 0x7f800000, v20
	v_cmp_ne_u32_e32 vcc, s64, v19
                                        ; implicit-def: $vgpr19
	s_and_saveexec_b64 s[90:91], vcc
	s_xor_b64 s[90:91], exec, s[90:91]
; %bb.1734:                             ;   in Loop: Header=BB10_1721 Depth=3
	v_bfe_u32 v19, v20, 16, 1
	v_add3_u32 v19, v20, v19, s65
                                        ; implicit-def: $vgpr20
; %bb.1735:                             ;   in Loop: Header=BB10_1721 Depth=3
	s_andn2_saveexec_b64 s[90:91], s[90:91]
; %bb.1736:                             ;   in Loop: Header=BB10_1721 Depth=3
	v_or_b32_e32 v19, 0x10000, v20
	v_cmp_eq_u32_sdwa vcc, v20, v2 src0_sel:WORD_0 src1_sel:DWORD
	v_cndmask_b32_e32 v19, v19, v20, vcc
; %bb.1737:                             ;   in Loop: Header=BB10_1721 Depth=3
	s_or_b64 exec, exec, s[90:91]
	flat_load_ushort v20, v[12:13] offset:512 glc slc
	s_waitcnt vmcnt(0) lgkmcnt(0)
	v_lshlrev_b32_e32 v20, 16, v20
	v_mul_f32_e32 v21, v18, v20
	v_and_b32_e32 v20, 0x7f800000, v21
	v_cmp_ne_u32_e32 vcc, s64, v20
                                        ; implicit-def: $vgpr20
	s_and_saveexec_b64 s[90:91], vcc
	s_xor_b64 s[90:91], exec, s[90:91]
; %bb.1738:                             ;   in Loop: Header=BB10_1721 Depth=3
	v_bfe_u32 v20, v21, 16, 1
	v_add3_u32 v20, v21, v20, s65
                                        ; implicit-def: $vgpr21
; %bb.1739:                             ;   in Loop: Header=BB10_1721 Depth=3
	s_andn2_saveexec_b64 s[90:91], s[90:91]
; %bb.1740:                             ;   in Loop: Header=BB10_1721 Depth=3
	v_or_b32_e32 v20, 0x10000, v21
	v_cmp_eq_u32_sdwa vcc, v21, v2 src0_sel:WORD_0 src1_sel:DWORD
	v_cndmask_b32_e32 v20, v20, v21, vcc
; %bb.1741:                             ;   in Loop: Header=BB10_1721 Depth=3
	s_or_b64 exec, exec, s[90:91]
	flat_load_ushort v21, v[12:13] offset:640 glc slc
	s_waitcnt vmcnt(0) lgkmcnt(0)
	v_lshlrev_b32_e32 v21, 16, v21
	v_mul_f32_e32 v22, v18, v21
	v_and_b32_e32 v21, 0x7f800000, v22
	v_cmp_ne_u32_e32 vcc, s64, v21
                                        ; implicit-def: $vgpr21
	s_and_saveexec_b64 s[90:91], vcc
	s_xor_b64 s[90:91], exec, s[90:91]
; %bb.1742:                             ;   in Loop: Header=BB10_1721 Depth=3
	v_bfe_u32 v21, v22, 16, 1
	v_add3_u32 v21, v22, v21, s65
                                        ; implicit-def: $vgpr22
; %bb.1743:                             ;   in Loop: Header=BB10_1721 Depth=3
	s_andn2_saveexec_b64 s[90:91], s[90:91]
; %bb.1744:                             ;   in Loop: Header=BB10_1721 Depth=3
	v_or_b32_e32 v21, 0x10000, v22
	v_cmp_eq_u32_sdwa vcc, v22, v2 src0_sel:WORD_0 src1_sel:DWORD
	v_cndmask_b32_e32 v21, v21, v22, vcc
; %bb.1745:                             ;   in Loop: Header=BB10_1721 Depth=3
	s_or_b64 exec, exec, s[90:91]
	flat_load_ushort v22, v[12:13] offset:768 glc slc
	s_waitcnt vmcnt(0) lgkmcnt(0)
	v_lshlrev_b32_e32 v22, 16, v22
	v_mul_f32_e32 v23, v18, v22
	v_and_b32_e32 v22, 0x7f800000, v23
	v_cmp_ne_u32_e32 vcc, s64, v22
                                        ; implicit-def: $vgpr22
	s_and_saveexec_b64 s[90:91], vcc
	s_xor_b64 s[90:91], exec, s[90:91]
; %bb.1746:                             ;   in Loop: Header=BB10_1721 Depth=3
	v_bfe_u32 v22, v23, 16, 1
	v_add3_u32 v22, v23, v22, s65
                                        ; implicit-def: $vgpr23
; %bb.1747:                             ;   in Loop: Header=BB10_1721 Depth=3
	s_andn2_saveexec_b64 s[90:91], s[90:91]
; %bb.1748:                             ;   in Loop: Header=BB10_1721 Depth=3
	v_or_b32_e32 v22, 0x10000, v23
	v_cmp_eq_u32_sdwa vcc, v23, v2 src0_sel:WORD_0 src1_sel:DWORD
	v_cndmask_b32_e32 v22, v22, v23, vcc
; %bb.1749:                             ;   in Loop: Header=BB10_1721 Depth=3
	s_or_b64 exec, exec, s[90:91]
	flat_load_ushort v23, v[12:13] offset:896 glc slc
	s_waitcnt vmcnt(0) lgkmcnt(0)
	v_lshlrev_b32_e32 v23, 16, v23
	v_mul_f32_e32 v24, v18, v23
	v_and_b32_e32 v23, 0x7f800000, v24
	v_cmp_ne_u32_e32 vcc, s64, v23
                                        ; implicit-def: $vgpr23
	s_and_saveexec_b64 s[90:91], vcc
	s_xor_b64 s[90:91], exec, s[90:91]
; %bb.1750:                             ;   in Loop: Header=BB10_1721 Depth=3
	v_bfe_u32 v23, v24, 16, 1
	v_add3_u32 v23, v24, v23, s65
                                        ; implicit-def: $vgpr24
; %bb.1751:                             ;   in Loop: Header=BB10_1721 Depth=3
	s_andn2_saveexec_b64 s[90:91], s[90:91]
; %bb.1752:                             ;   in Loop: Header=BB10_1721 Depth=3
	v_or_b32_e32 v23, 0x10000, v24
	v_cmp_eq_u32_sdwa vcc, v24, v2 src0_sel:WORD_0 src1_sel:DWORD
	v_cndmask_b32_e32 v23, v23, v24, vcc
; %bb.1753:                             ;   in Loop: Header=BB10_1721 Depth=3
	s_or_b64 exec, exec, s[90:91]
	flat_load_ushort v24, v[12:13] offset:1024 glc slc
	s_waitcnt vmcnt(0) lgkmcnt(0)
	v_lshlrev_b32_e32 v24, 16, v24
	v_mul_f32_e32 v25, v18, v24
	v_and_b32_e32 v24, 0x7f800000, v25
	v_cmp_ne_u32_e32 vcc, s64, v24
                                        ; implicit-def: $vgpr24
	s_and_saveexec_b64 s[90:91], vcc
	s_xor_b64 s[90:91], exec, s[90:91]
; %bb.1754:                             ;   in Loop: Header=BB10_1721 Depth=3
	v_bfe_u32 v24, v25, 16, 1
	v_add3_u32 v24, v25, v24, s65
                                        ; implicit-def: $vgpr25
; %bb.1755:                             ;   in Loop: Header=BB10_1721 Depth=3
	s_andn2_saveexec_b64 s[90:91], s[90:91]
; %bb.1756:                             ;   in Loop: Header=BB10_1721 Depth=3
	v_or_b32_e32 v24, 0x10000, v25
	v_cmp_eq_u32_sdwa vcc, v25, v2 src0_sel:WORD_0 src1_sel:DWORD
	v_cndmask_b32_e32 v24, v24, v25, vcc
; %bb.1757:                             ;   in Loop: Header=BB10_1721 Depth=3
	s_or_b64 exec, exec, s[90:91]
	flat_load_ushort v25, v[12:13] offset:1152 glc slc
	s_waitcnt vmcnt(0) lgkmcnt(0)
	v_lshlrev_b32_e32 v25, 16, v25
	v_mul_f32_e32 v26, v18, v25
	v_and_b32_e32 v25, 0x7f800000, v26
	v_cmp_ne_u32_e32 vcc, s64, v25
                                        ; implicit-def: $vgpr25
	s_and_saveexec_b64 s[90:91], vcc
	s_xor_b64 s[90:91], exec, s[90:91]
; %bb.1758:                             ;   in Loop: Header=BB10_1721 Depth=3
	v_bfe_u32 v25, v26, 16, 1
	v_add3_u32 v25, v26, v25, s65
                                        ; implicit-def: $vgpr26
; %bb.1759:                             ;   in Loop: Header=BB10_1721 Depth=3
	s_andn2_saveexec_b64 s[90:91], s[90:91]
; %bb.1760:                             ;   in Loop: Header=BB10_1721 Depth=3
	v_or_b32_e32 v25, 0x10000, v26
	v_cmp_eq_u32_sdwa vcc, v26, v2 src0_sel:WORD_0 src1_sel:DWORD
	v_cndmask_b32_e32 v25, v25, v26, vcc
; %bb.1761:                             ;   in Loop: Header=BB10_1721 Depth=3
	s_or_b64 exec, exec, s[90:91]
	flat_load_ushort v26, v[12:13] offset:1280 glc slc
	s_waitcnt vmcnt(0) lgkmcnt(0)
	v_lshlrev_b32_e32 v26, 16, v26
	v_mul_f32_e32 v27, v18, v26
	v_and_b32_e32 v26, 0x7f800000, v27
	v_cmp_ne_u32_e32 vcc, s64, v26
                                        ; implicit-def: $vgpr26
	s_and_saveexec_b64 s[90:91], vcc
	s_xor_b64 s[90:91], exec, s[90:91]
; %bb.1762:                             ;   in Loop: Header=BB10_1721 Depth=3
	v_bfe_u32 v26, v27, 16, 1
	v_add3_u32 v26, v27, v26, s65
                                        ; implicit-def: $vgpr27
; %bb.1763:                             ;   in Loop: Header=BB10_1721 Depth=3
	s_andn2_saveexec_b64 s[90:91], s[90:91]
; %bb.1764:                             ;   in Loop: Header=BB10_1721 Depth=3
	v_or_b32_e32 v26, 0x10000, v27
	v_cmp_eq_u32_sdwa vcc, v27, v2 src0_sel:WORD_0 src1_sel:DWORD
	v_cndmask_b32_e32 v26, v26, v27, vcc
; %bb.1765:                             ;   in Loop: Header=BB10_1721 Depth=3
	s_or_b64 exec, exec, s[90:91]
	flat_load_ushort v27, v[12:13] offset:1408 glc slc
	s_waitcnt vmcnt(0) lgkmcnt(0)
	v_lshlrev_b32_e32 v27, 16, v27
	v_mul_f32_e32 v28, v18, v27
	v_and_b32_e32 v27, 0x7f800000, v28
	v_cmp_ne_u32_e32 vcc, s64, v27
                                        ; implicit-def: $vgpr27
	s_and_saveexec_b64 s[90:91], vcc
	s_xor_b64 s[90:91], exec, s[90:91]
; %bb.1766:                             ;   in Loop: Header=BB10_1721 Depth=3
	v_bfe_u32 v27, v28, 16, 1
	v_add3_u32 v27, v28, v27, s65
                                        ; implicit-def: $vgpr28
; %bb.1767:                             ;   in Loop: Header=BB10_1721 Depth=3
	s_andn2_saveexec_b64 s[90:91], s[90:91]
; %bb.1768:                             ;   in Loop: Header=BB10_1721 Depth=3
	v_or_b32_e32 v27, 0x10000, v28
	v_cmp_eq_u32_sdwa vcc, v28, v2 src0_sel:WORD_0 src1_sel:DWORD
	v_cndmask_b32_e32 v27, v27, v28, vcc
; %bb.1769:                             ;   in Loop: Header=BB10_1721 Depth=3
	s_or_b64 exec, exec, s[90:91]
	flat_load_ushort v28, v[12:13] offset:1536 glc slc
	s_waitcnt vmcnt(0) lgkmcnt(0)
	v_lshlrev_b32_e32 v28, 16, v28
	v_mul_f32_e32 v29, v18, v28
	v_and_b32_e32 v28, 0x7f800000, v29
	v_cmp_ne_u32_e32 vcc, s64, v28
                                        ; implicit-def: $vgpr28
	s_and_saveexec_b64 s[90:91], vcc
	s_xor_b64 s[90:91], exec, s[90:91]
; %bb.1770:                             ;   in Loop: Header=BB10_1721 Depth=3
	v_bfe_u32 v28, v29, 16, 1
	v_add3_u32 v28, v29, v28, s65
                                        ; implicit-def: $vgpr29
; %bb.1771:                             ;   in Loop: Header=BB10_1721 Depth=3
	s_andn2_saveexec_b64 s[90:91], s[90:91]
; %bb.1772:                             ;   in Loop: Header=BB10_1721 Depth=3
	v_or_b32_e32 v28, 0x10000, v29
	v_cmp_eq_u32_sdwa vcc, v29, v2 src0_sel:WORD_0 src1_sel:DWORD
	v_cndmask_b32_e32 v28, v28, v29, vcc
; %bb.1773:                             ;   in Loop: Header=BB10_1721 Depth=3
	s_or_b64 exec, exec, s[90:91]
	flat_load_ushort v29, v[12:13] offset:1664 glc slc
	s_waitcnt vmcnt(0) lgkmcnt(0)
	v_lshlrev_b32_e32 v29, 16, v29
	v_mul_f32_e32 v30, v18, v29
	v_and_b32_e32 v29, 0x7f800000, v30
	v_cmp_ne_u32_e32 vcc, s64, v29
                                        ; implicit-def: $vgpr29
	s_and_saveexec_b64 s[90:91], vcc
	s_xor_b64 s[90:91], exec, s[90:91]
; %bb.1774:                             ;   in Loop: Header=BB10_1721 Depth=3
	v_bfe_u32 v29, v30, 16, 1
	v_add3_u32 v29, v30, v29, s65
                                        ; implicit-def: $vgpr30
; %bb.1775:                             ;   in Loop: Header=BB10_1721 Depth=3
	s_andn2_saveexec_b64 s[90:91], s[90:91]
; %bb.1776:                             ;   in Loop: Header=BB10_1721 Depth=3
	v_or_b32_e32 v29, 0x10000, v30
	v_cmp_eq_u32_sdwa vcc, v30, v2 src0_sel:WORD_0 src1_sel:DWORD
	v_cndmask_b32_e32 v29, v29, v30, vcc
; %bb.1777:                             ;   in Loop: Header=BB10_1721 Depth=3
	s_or_b64 exec, exec, s[90:91]
	flat_load_ushort v30, v[12:13] offset:1792 glc slc
	s_waitcnt vmcnt(0) lgkmcnt(0)
	v_lshlrev_b32_e32 v30, 16, v30
	v_mul_f32_e32 v31, v18, v30
	v_and_b32_e32 v30, 0x7f800000, v31
	v_cmp_ne_u32_e32 vcc, s64, v30
                                        ; implicit-def: $vgpr30
	s_and_saveexec_b64 s[90:91], vcc
	s_xor_b64 s[90:91], exec, s[90:91]
; %bb.1778:                             ;   in Loop: Header=BB10_1721 Depth=3
	v_bfe_u32 v30, v31, 16, 1
	v_add3_u32 v30, v31, v30, s65
                                        ; implicit-def: $vgpr31
; %bb.1779:                             ;   in Loop: Header=BB10_1721 Depth=3
	s_andn2_saveexec_b64 s[90:91], s[90:91]
; %bb.1780:                             ;   in Loop: Header=BB10_1721 Depth=3
	v_or_b32_e32 v30, 0x10000, v31
	v_cmp_eq_u32_sdwa vcc, v31, v2 src0_sel:WORD_0 src1_sel:DWORD
	v_cndmask_b32_e32 v30, v30, v31, vcc
; %bb.1781:                             ;   in Loop: Header=BB10_1721 Depth=3
	s_or_b64 exec, exec, s[90:91]
	flat_load_ushort v31, v[12:13] offset:1920 glc slc
	s_waitcnt vmcnt(0) lgkmcnt(0)
	v_lshlrev_b32_e32 v31, 16, v31
	v_mul_f32_e32 v34, v18, v31
	v_and_b32_e32 v31, 0x7f800000, v34
	v_cmp_ne_u32_e32 vcc, s64, v31
                                        ; implicit-def: $vgpr31
	s_and_saveexec_b64 s[90:91], vcc
	s_xor_b64 s[90:91], exec, s[90:91]
; %bb.1782:                             ;   in Loop: Header=BB10_1721 Depth=3
	v_bfe_u32 v31, v34, 16, 1
	v_add3_u32 v31, v34, v31, s65
                                        ; implicit-def: $vgpr34
; %bb.1783:                             ;   in Loop: Header=BB10_1721 Depth=3
	s_andn2_saveexec_b64 s[90:91], s[90:91]
; %bb.1784:                             ;   in Loop: Header=BB10_1721 Depth=3
	v_or_b32_e32 v31, 0x10000, v34
	v_cmp_eq_u32_sdwa vcc, v34, v2 src0_sel:WORD_0 src1_sel:DWORD
	v_cndmask_b32_e32 v31, v31, v34, vcc
; %bb.1785:                             ;   in Loop: Header=BB10_1721 Depth=3
	s_or_b64 exec, exec, s[90:91]
	flat_load_ushort v42, v[14:15] offset:128 glc slc
	flat_load_ushort v41, v[14:15] offset:256 glc slc
	;; [unrolled: 1-line block ×7, first 2 shown]
	flat_load_ushort v32, v[14:15] glc slc
	flat_load_ushort v51, v[14:15] offset:1024 glc slc
	flat_load_ushort v50, v[14:15] offset:1152 glc slc
	;; [unrolled: 1-line block ×8, first 2 shown]
	v_and_b32_e32 v3, 0xffff0000, v3
	s_waitcnt vmcnt(0) lgkmcnt(0)
	v_lshlrev_b32_e32 v32, 16, v32
	v_add_f32_e32 v43, v3, v32
	v_and_b32_e32 v3, 0x7f800000, v43
	v_cmp_ne_u32_e32 vcc, s64, v3
                                        ; implicit-def: $vgpr3
	s_and_saveexec_b64 s[90:91], vcc
	s_xor_b64 s[90:91], exec, s[90:91]
; %bb.1786:                             ;   in Loop: Header=BB10_1721 Depth=3
	v_bfe_u32 v3, v43, 16, 1
	v_add3_u32 v3, v43, v3, s65
                                        ; implicit-def: $vgpr43
; %bb.1787:                             ;   in Loop: Header=BB10_1721 Depth=3
	s_andn2_saveexec_b64 s[90:91], s[90:91]
; %bb.1788:                             ;   in Loop: Header=BB10_1721 Depth=3
	v_or_b32_e32 v3, 0x10000, v43
	v_cmp_eq_u32_sdwa vcc, v43, v2 src0_sel:WORD_0 src1_sel:DWORD
	v_cndmask_b32_e32 v3, v3, v43, vcc
; %bb.1789:                             ;   in Loop: Header=BB10_1721 Depth=3
	s_or_b64 exec, exec, s[90:91]
	v_and_b32_e32 v4, 0xffff0000, v4
	v_lshlrev_b32_e32 v32, 16, v42
	v_add_f32_e32 v42, v4, v32
	v_and_b32_e32 v4, 0x7f800000, v42
	v_cmp_ne_u32_e32 vcc, s64, v4
                                        ; implicit-def: $vgpr4
	s_and_saveexec_b64 s[90:91], vcc
	s_xor_b64 s[90:91], exec, s[90:91]
; %bb.1790:                             ;   in Loop: Header=BB10_1721 Depth=3
	v_bfe_u32 v4, v42, 16, 1
	v_add3_u32 v4, v42, v4, s65
                                        ; implicit-def: $vgpr42
; %bb.1791:                             ;   in Loop: Header=BB10_1721 Depth=3
	s_andn2_saveexec_b64 s[90:91], s[90:91]
; %bb.1792:                             ;   in Loop: Header=BB10_1721 Depth=3
	v_or_b32_e32 v4, 0x10000, v42
	v_cmp_eq_u32_sdwa vcc, v42, v2 src0_sel:WORD_0 src1_sel:DWORD
	v_cndmask_b32_e32 v4, v4, v42, vcc
; %bb.1793:                             ;   in Loop: Header=BB10_1721 Depth=3
	s_or_b64 exec, exec, s[90:91]
	v_and_b32_e32 v5, 0xffff0000, v5
	v_lshlrev_b32_e32 v32, 16, v41
	v_add_f32_e32 v41, v5, v32
	v_and_b32_e32 v5, 0x7f800000, v41
	v_cmp_ne_u32_e32 vcc, s64, v5
                                        ; implicit-def: $vgpr5
	s_and_saveexec_b64 s[90:91], vcc
	s_xor_b64 s[90:91], exec, s[90:91]
; %bb.1794:                             ;   in Loop: Header=BB10_1721 Depth=3
	v_bfe_u32 v5, v41, 16, 1
	v_add3_u32 v5, v41, v5, s65
                                        ; implicit-def: $vgpr41
; %bb.1795:                             ;   in Loop: Header=BB10_1721 Depth=3
	s_andn2_saveexec_b64 s[90:91], s[90:91]
; %bb.1796:                             ;   in Loop: Header=BB10_1721 Depth=3
	v_or_b32_e32 v5, 0x10000, v41
	v_cmp_eq_u32_sdwa vcc, v41, v2 src0_sel:WORD_0 src1_sel:DWORD
	v_cndmask_b32_e32 v5, v5, v41, vcc
; %bb.1797:                             ;   in Loop: Header=BB10_1721 Depth=3
	s_or_b64 exec, exec, s[90:91]
	v_and_b32_e32 v19, 0xffff0000, v19
	v_lshlrev_b32_e32 v32, 16, v40
	v_add_f32_e32 v40, v19, v32
	v_and_b32_e32 v19, 0x7f800000, v40
	v_cmp_ne_u32_e32 vcc, s64, v19
                                        ; implicit-def: $vgpr19
	s_and_saveexec_b64 s[90:91], vcc
	s_xor_b64 s[90:91], exec, s[90:91]
; %bb.1798:                             ;   in Loop: Header=BB10_1721 Depth=3
	v_bfe_u32 v19, v40, 16, 1
	v_add3_u32 v19, v40, v19, s65
                                        ; implicit-def: $vgpr40
; %bb.1799:                             ;   in Loop: Header=BB10_1721 Depth=3
	s_andn2_saveexec_b64 s[90:91], s[90:91]
; %bb.1800:                             ;   in Loop: Header=BB10_1721 Depth=3
	v_or_b32_e32 v19, 0x10000, v40
	v_cmp_eq_u32_sdwa vcc, v40, v2 src0_sel:WORD_0 src1_sel:DWORD
	v_cndmask_b32_e32 v19, v19, v40, vcc
; %bb.1801:                             ;   in Loop: Header=BB10_1721 Depth=3
	s_or_b64 exec, exec, s[90:91]
	v_and_b32_e32 v20, 0xffff0000, v20
	v_lshlrev_b32_e32 v32, 16, v55
	v_add_f32_e32 v55, v20, v32
	v_and_b32_e32 v20, 0x7f800000, v55
	v_cmp_ne_u32_e32 vcc, s64, v20
                                        ; implicit-def: $vgpr20
	s_and_saveexec_b64 s[90:91], vcc
	s_xor_b64 s[90:91], exec, s[90:91]
; %bb.1802:                             ;   in Loop: Header=BB10_1721 Depth=3
	v_bfe_u32 v20, v55, 16, 1
	v_add3_u32 v20, v55, v20, s65
                                        ; implicit-def: $vgpr55
; %bb.1803:                             ;   in Loop: Header=BB10_1721 Depth=3
	s_andn2_saveexec_b64 s[90:91], s[90:91]
; %bb.1804:                             ;   in Loop: Header=BB10_1721 Depth=3
	v_or_b32_e32 v20, 0x10000, v55
	v_cmp_eq_u32_sdwa vcc, v55, v2 src0_sel:WORD_0 src1_sel:DWORD
	v_cndmask_b32_e32 v20, v20, v55, vcc
; %bb.1805:                             ;   in Loop: Header=BB10_1721 Depth=3
	s_or_b64 exec, exec, s[90:91]
	v_and_b32_e32 v21, 0xffff0000, v21
	v_lshlrev_b32_e32 v32, 16, v54
	v_add_f32_e32 v54, v21, v32
	v_and_b32_e32 v21, 0x7f800000, v54
	v_cmp_ne_u32_e32 vcc, s64, v21
                                        ; implicit-def: $vgpr21
	s_and_saveexec_b64 s[90:91], vcc
	s_xor_b64 s[90:91], exec, s[90:91]
; %bb.1806:                             ;   in Loop: Header=BB10_1721 Depth=3
	v_bfe_u32 v21, v54, 16, 1
	v_add3_u32 v21, v54, v21, s65
                                        ; implicit-def: $vgpr54
; %bb.1807:                             ;   in Loop: Header=BB10_1721 Depth=3
	s_andn2_saveexec_b64 s[90:91], s[90:91]
; %bb.1808:                             ;   in Loop: Header=BB10_1721 Depth=3
	v_or_b32_e32 v21, 0x10000, v54
	v_cmp_eq_u32_sdwa vcc, v54, v2 src0_sel:WORD_0 src1_sel:DWORD
	v_cndmask_b32_e32 v21, v21, v54, vcc
; %bb.1809:                             ;   in Loop: Header=BB10_1721 Depth=3
	s_or_b64 exec, exec, s[90:91]
	v_and_b32_e32 v22, 0xffff0000, v22
	v_lshlrev_b32_e32 v32, 16, v53
	v_add_f32_e32 v53, v22, v32
	v_and_b32_e32 v22, 0x7f800000, v53
	v_cmp_ne_u32_e32 vcc, s64, v22
                                        ; implicit-def: $vgpr22
	s_and_saveexec_b64 s[90:91], vcc
	s_xor_b64 s[90:91], exec, s[90:91]
; %bb.1810:                             ;   in Loop: Header=BB10_1721 Depth=3
	v_bfe_u32 v22, v53, 16, 1
	v_add3_u32 v22, v53, v22, s65
                                        ; implicit-def: $vgpr53
; %bb.1811:                             ;   in Loop: Header=BB10_1721 Depth=3
	s_andn2_saveexec_b64 s[90:91], s[90:91]
; %bb.1812:                             ;   in Loop: Header=BB10_1721 Depth=3
	v_or_b32_e32 v22, 0x10000, v53
	v_cmp_eq_u32_sdwa vcc, v53, v2 src0_sel:WORD_0 src1_sel:DWORD
	v_cndmask_b32_e32 v22, v22, v53, vcc
; %bb.1813:                             ;   in Loop: Header=BB10_1721 Depth=3
	s_or_b64 exec, exec, s[90:91]
	v_and_b32_e32 v23, 0xffff0000, v23
	v_lshlrev_b32_e32 v32, 16, v52
	v_add_f32_e32 v52, v23, v32
	v_and_b32_e32 v23, 0x7f800000, v52
	v_cmp_ne_u32_e32 vcc, s64, v23
                                        ; implicit-def: $vgpr23
	s_and_saveexec_b64 s[90:91], vcc
	s_xor_b64 s[90:91], exec, s[90:91]
; %bb.1814:                             ;   in Loop: Header=BB10_1721 Depth=3
	v_bfe_u32 v23, v52, 16, 1
	v_add3_u32 v23, v52, v23, s65
                                        ; implicit-def: $vgpr52
; %bb.1815:                             ;   in Loop: Header=BB10_1721 Depth=3
	s_andn2_saveexec_b64 s[90:91], s[90:91]
; %bb.1816:                             ;   in Loop: Header=BB10_1721 Depth=3
	v_or_b32_e32 v23, 0x10000, v52
	v_cmp_eq_u32_sdwa vcc, v52, v2 src0_sel:WORD_0 src1_sel:DWORD
	v_cndmask_b32_e32 v23, v23, v52, vcc
; %bb.1817:                             ;   in Loop: Header=BB10_1721 Depth=3
	s_or_b64 exec, exec, s[90:91]
	v_and_b32_e32 v24, 0xffff0000, v24
	v_lshlrev_b32_e32 v32, 16, v51
	v_add_f32_e32 v51, v24, v32
	v_and_b32_e32 v24, 0x7f800000, v51
	v_cmp_ne_u32_e32 vcc, s64, v24
                                        ; implicit-def: $vgpr24
	s_and_saveexec_b64 s[90:91], vcc
	s_xor_b64 s[90:91], exec, s[90:91]
; %bb.1818:                             ;   in Loop: Header=BB10_1721 Depth=3
	v_bfe_u32 v24, v51, 16, 1
	v_add3_u32 v24, v51, v24, s65
                                        ; implicit-def: $vgpr51
; %bb.1819:                             ;   in Loop: Header=BB10_1721 Depth=3
	s_andn2_saveexec_b64 s[90:91], s[90:91]
; %bb.1820:                             ;   in Loop: Header=BB10_1721 Depth=3
	v_or_b32_e32 v24, 0x10000, v51
	v_cmp_eq_u32_sdwa vcc, v51, v2 src0_sel:WORD_0 src1_sel:DWORD
	v_cndmask_b32_e32 v24, v24, v51, vcc
; %bb.1821:                             ;   in Loop: Header=BB10_1721 Depth=3
	s_or_b64 exec, exec, s[90:91]
	v_and_b32_e32 v25, 0xffff0000, v25
	v_lshlrev_b32_e32 v32, 16, v50
	v_add_f32_e32 v50, v25, v32
	v_and_b32_e32 v25, 0x7f800000, v50
	v_cmp_ne_u32_e32 vcc, s64, v25
                                        ; implicit-def: $vgpr25
	s_and_saveexec_b64 s[90:91], vcc
	s_xor_b64 s[90:91], exec, s[90:91]
; %bb.1822:                             ;   in Loop: Header=BB10_1721 Depth=3
	v_bfe_u32 v25, v50, 16, 1
	v_add3_u32 v25, v50, v25, s65
                                        ; implicit-def: $vgpr50
; %bb.1823:                             ;   in Loop: Header=BB10_1721 Depth=3
	s_andn2_saveexec_b64 s[90:91], s[90:91]
; %bb.1824:                             ;   in Loop: Header=BB10_1721 Depth=3
	v_or_b32_e32 v25, 0x10000, v50
	v_cmp_eq_u32_sdwa vcc, v50, v2 src0_sel:WORD_0 src1_sel:DWORD
	v_cndmask_b32_e32 v25, v25, v50, vcc
; %bb.1825:                             ;   in Loop: Header=BB10_1721 Depth=3
	s_or_b64 exec, exec, s[90:91]
	v_and_b32_e32 v26, 0xffff0000, v26
	v_lshlrev_b32_e32 v32, 16, v39
	v_add_f32_e32 v39, v26, v32
	v_and_b32_e32 v26, 0x7f800000, v39
	v_cmp_ne_u32_e32 vcc, s64, v26
                                        ; implicit-def: $vgpr26
	s_and_saveexec_b64 s[90:91], vcc
	s_xor_b64 s[90:91], exec, s[90:91]
; %bb.1826:                             ;   in Loop: Header=BB10_1721 Depth=3
	v_bfe_u32 v26, v39, 16, 1
	v_add3_u32 v26, v39, v26, s65
                                        ; implicit-def: $vgpr39
; %bb.1827:                             ;   in Loop: Header=BB10_1721 Depth=3
	s_andn2_saveexec_b64 s[90:91], s[90:91]
; %bb.1828:                             ;   in Loop: Header=BB10_1721 Depth=3
	v_or_b32_e32 v26, 0x10000, v39
	v_cmp_eq_u32_sdwa vcc, v39, v2 src0_sel:WORD_0 src1_sel:DWORD
	v_cndmask_b32_e32 v26, v26, v39, vcc
; %bb.1829:                             ;   in Loop: Header=BB10_1721 Depth=3
	s_or_b64 exec, exec, s[90:91]
	v_and_b32_e32 v27, 0xffff0000, v27
	v_lshlrev_b32_e32 v32, 16, v38
	v_add_f32_e32 v38, v27, v32
	v_and_b32_e32 v27, 0x7f800000, v38
	v_cmp_ne_u32_e32 vcc, s64, v27
                                        ; implicit-def: $vgpr27
	s_and_saveexec_b64 s[90:91], vcc
	s_xor_b64 s[90:91], exec, s[90:91]
; %bb.1830:                             ;   in Loop: Header=BB10_1721 Depth=3
	v_bfe_u32 v27, v38, 16, 1
	v_add3_u32 v27, v38, v27, s65
                                        ; implicit-def: $vgpr38
; %bb.1831:                             ;   in Loop: Header=BB10_1721 Depth=3
	s_andn2_saveexec_b64 s[90:91], s[90:91]
; %bb.1832:                             ;   in Loop: Header=BB10_1721 Depth=3
	v_or_b32_e32 v27, 0x10000, v38
	v_cmp_eq_u32_sdwa vcc, v38, v2 src0_sel:WORD_0 src1_sel:DWORD
	v_cndmask_b32_e32 v27, v27, v38, vcc
; %bb.1833:                             ;   in Loop: Header=BB10_1721 Depth=3
	s_or_b64 exec, exec, s[90:91]
	v_and_b32_e32 v28, 0xffff0000, v28
	v_lshlrev_b32_e32 v32, 16, v37
	v_add_f32_e32 v37, v28, v32
	v_and_b32_e32 v28, 0x7f800000, v37
	v_cmp_ne_u32_e32 vcc, s64, v28
                                        ; implicit-def: $vgpr28
	s_and_saveexec_b64 s[90:91], vcc
	s_xor_b64 s[90:91], exec, s[90:91]
; %bb.1834:                             ;   in Loop: Header=BB10_1721 Depth=3
	v_bfe_u32 v28, v37, 16, 1
	v_add3_u32 v28, v37, v28, s65
                                        ; implicit-def: $vgpr37
; %bb.1835:                             ;   in Loop: Header=BB10_1721 Depth=3
	s_andn2_saveexec_b64 s[90:91], s[90:91]
; %bb.1836:                             ;   in Loop: Header=BB10_1721 Depth=3
	v_or_b32_e32 v28, 0x10000, v37
	v_cmp_eq_u32_sdwa vcc, v37, v2 src0_sel:WORD_0 src1_sel:DWORD
	v_cndmask_b32_e32 v28, v28, v37, vcc
; %bb.1837:                             ;   in Loop: Header=BB10_1721 Depth=3
	s_or_b64 exec, exec, s[90:91]
	v_and_b32_e32 v29, 0xffff0000, v29
	v_lshlrev_b32_e32 v32, 16, v36
	v_add_f32_e32 v36, v29, v32
	v_and_b32_e32 v29, 0x7f800000, v36
	v_cmp_ne_u32_e32 vcc, s64, v29
                                        ; implicit-def: $vgpr29
	s_and_saveexec_b64 s[90:91], vcc
	s_xor_b64 s[90:91], exec, s[90:91]
; %bb.1838:                             ;   in Loop: Header=BB10_1721 Depth=3
	v_bfe_u32 v29, v36, 16, 1
	v_add3_u32 v29, v36, v29, s65
                                        ; implicit-def: $vgpr36
; %bb.1839:                             ;   in Loop: Header=BB10_1721 Depth=3
	s_andn2_saveexec_b64 s[90:91], s[90:91]
; %bb.1840:                             ;   in Loop: Header=BB10_1721 Depth=3
	v_or_b32_e32 v29, 0x10000, v36
	v_cmp_eq_u32_sdwa vcc, v36, v2 src0_sel:WORD_0 src1_sel:DWORD
	v_cndmask_b32_e32 v29, v29, v36, vcc
; %bb.1841:                             ;   in Loop: Header=BB10_1721 Depth=3
	s_or_b64 exec, exec, s[90:91]
	v_and_b32_e32 v30, 0xffff0000, v30
	v_lshlrev_b32_e32 v32, 16, v35
	v_add_f32_e32 v35, v30, v32
	v_and_b32_e32 v30, 0x7f800000, v35
	v_cmp_ne_u32_e32 vcc, s64, v30
                                        ; implicit-def: $vgpr30
	s_and_saveexec_b64 s[90:91], vcc
	s_xor_b64 s[90:91], exec, s[90:91]
; %bb.1842:                             ;   in Loop: Header=BB10_1721 Depth=3
	v_bfe_u32 v30, v35, 16, 1
	v_add3_u32 v30, v35, v30, s65
                                        ; implicit-def: $vgpr35
; %bb.1843:                             ;   in Loop: Header=BB10_1721 Depth=3
	s_andn2_saveexec_b64 s[90:91], s[90:91]
; %bb.1844:                             ;   in Loop: Header=BB10_1721 Depth=3
	v_or_b32_e32 v30, 0x10000, v35
	v_cmp_eq_u32_sdwa vcc, v35, v2 src0_sel:WORD_0 src1_sel:DWORD
	v_cndmask_b32_e32 v30, v30, v35, vcc
; %bb.1845:                             ;   in Loop: Header=BB10_1721 Depth=3
	s_or_b64 exec, exec, s[90:91]
	v_and_b32_e32 v31, 0xffff0000, v31
	v_lshlrev_b32_e32 v32, 16, v34
	v_add_f32_e32 v34, v31, v32
	v_and_b32_e32 v31, 0x7f800000, v34
	v_cmp_ne_u32_e32 vcc, s64, v31
                                        ; implicit-def: $vgpr31
	s_and_saveexec_b64 s[90:91], vcc
	s_xor_b64 s[90:91], exec, s[90:91]
; %bb.1846:                             ;   in Loop: Header=BB10_1721 Depth=3
	v_bfe_u32 v31, v34, 16, 1
	v_add3_u32 v31, v34, v31, s65
                                        ; implicit-def: $vgpr34
; %bb.1847:                             ;   in Loop: Header=BB10_1721 Depth=3
	s_andn2_saveexec_b64 s[90:91], s[90:91]
	s_cbranch_execz .LBB10_1720
; %bb.1848:                             ;   in Loop: Header=BB10_1721 Depth=3
	v_or_b32_e32 v31, 0x10000, v34
	v_cmp_eq_u32_sdwa vcc, v34, v2 src0_sel:WORD_0 src1_sel:DWORD
	v_cndmask_b32_e32 v31, v31, v34, vcc
	s_branch .LBB10_1720
.LBB10_1849:                            ;   in Loop: Header=BB10_1303 Depth=2
	s_or_b64 exec, exec, s[40:41]
.LBB10_1850:                            ;   in Loop: Header=BB10_1303 Depth=2
	s_or_b64 exec, exec, s[28:29]
	v_lshlrev_b32_e32 v3, 11, v17
	v_cmp_ne_u32_e32 vcc, v1, v3
	s_and_b64 exec, exec, vcc
	s_cbranch_execz .LBB10_1864
; %bb.1851:                             ;   in Loop: Header=BB10_1303 Depth=2
	v_lshlrev_b32_e32 v4, 6, v7
	v_sub_u32_e32 v4, v6, v4
	v_lshlrev_b32_e32 v5, 6, v16
	v_sub_u32_e32 v4, v4, v5
	v_ashrrev_i32_e32 v5, 31, v4
	v_lshrrev_b32_e32 v5, 26, v5
	v_add_u32_e32 v5, v4, v5
	v_and_b32_e32 v6, 0x7fffffc0, v5
	v_sub_u32_e32 v4, v4, v6
	v_lshlrev_b32_e32 v5, 1, v5
	v_and_b32_e32 v5, 0xffffff80, v5
	v_lshlrev_b32_e32 v4, 1, v4
	v_add3_u32 v3, v5, v4, v3
	v_sub_u32_e32 v1, v1, v3
	v_cmp_lt_i32_e32 vcc, 1, v1
	s_and_b64 exec, exec, vcc
	s_cbranch_execz .LBB10_1864
; %bb.1852:                             ;   in Loop: Header=BB10_1303 Depth=2
	v_add_u32_e32 v10, v3, v0
	buffer_load_dword v3, off, s[0:3], s33 offset:224 ; 4-byte Folded Reload
	buffer_load_dword v4, off, s[0:3], s33 offset:228 ; 4-byte Folded Reload
	;; [unrolled: 1-line block ×4, first 2 shown]
	v_ashrrev_i32_e32 v11, 31, v10
	s_trap 2
	s_mov_b64 s[90:91], 0
	s_waitcnt vmcnt(0)
	v_add_co_u32_e32 v0, vcc, v10, v3
	v_addc_co_u32_e32 v3, vcc, v11, v4, vcc
	v_add_co_u32_e32 v4, vcc, v10, v44
	v_addc_co_u32_e32 v5, vcc, v11, v45, vcc
	;; [unrolled: 2-line block ×3, first 2 shown]
	ds_read_b64 v[6:7], v0
	s_waitcnt lgkmcnt(0)
	v_add_co_u32_e32 v10, vcc, v6, v10
	ds_read_b32 v6, v0
	v_addc_co_u32_e32 v11, vcc, v7, v11, vcc
	s_waitcnt lgkmcnt(0)
	v_lshlrev_b32_e32 v6, 16, v6
.LBB10_1853:                            ;   Parent Loop BB10_47 Depth=1
                                        ;     Parent Loop BB10_1303 Depth=2
                                        ; =>    This Loop Header: Depth=3
                                        ;         Child Loop BB10_1862 Depth 4
	flat_load_ushort v7, v[8:9] glc slc
	s_waitcnt vmcnt(0) lgkmcnt(0)
	v_lshlrev_b32_e32 v7, 16, v7
	v_mul_f32_e32 v7, v6, v7
	v_and_b32_e32 v12, 0x7f800000, v7
	v_cmp_ne_u32_e32 vcc, s64, v12
                                        ; implicit-def: $vgpr12
	s_and_saveexec_b64 s[28:29], vcc
	s_xor_b64 s[28:29], exec, s[28:29]
; %bb.1854:                             ;   in Loop: Header=BB10_1853 Depth=3
	v_bfe_u32 v12, v7, 16, 1
	v_add3_u32 v12, v7, v12, s65
                                        ; implicit-def: $vgpr7
; %bb.1855:                             ;   in Loop: Header=BB10_1853 Depth=3
	s_andn2_saveexec_b64 s[28:29], s[28:29]
; %bb.1856:                             ;   in Loop: Header=BB10_1853 Depth=3
	v_or_b32_e32 v12, 0x10000, v7
	v_cmp_eq_u32_sdwa vcc, v7, v2 src0_sel:WORD_0 src1_sel:DWORD
	v_cndmask_b32_e32 v12, v12, v7, vcc
; %bb.1857:                             ;   in Loop: Header=BB10_1853 Depth=3
	s_or_b64 exec, exec, s[28:29]
	flat_load_ushort v7, v[10:11] glc slc
	v_and_b32_e32 v12, 0xffff0000, v12
	s_waitcnt vmcnt(0) lgkmcnt(0)
	v_lshlrev_b32_e32 v7, 16, v7
	v_add_f32_e32 v7, v12, v7
	v_and_b32_e32 v12, 0x7f800000, v7
	v_cmp_ne_u32_e32 vcc, s64, v12
                                        ; implicit-def: $vgpr12
	s_and_saveexec_b64 s[28:29], vcc
	s_xor_b64 s[28:29], exec, s[28:29]
; %bb.1858:                             ;   in Loop: Header=BB10_1853 Depth=3
	v_bfe_u32 v12, v7, 16, 1
	v_add3_u32 v12, v7, v12, s65
                                        ; implicit-def: $vgpr7
; %bb.1859:                             ;   in Loop: Header=BB10_1853 Depth=3
	s_andn2_saveexec_b64 s[28:29], s[28:29]
; %bb.1860:                             ;   in Loop: Header=BB10_1853 Depth=3
	v_or_b32_e32 v12, 0x10000, v7
	v_cmp_eq_u32_sdwa vcc, v7, v2 src0_sel:WORD_0 src1_sel:DWORD
	v_cndmask_b32_e32 v12, v12, v7, vcc
; %bb.1861:                             ;   in Loop: Header=BB10_1853 Depth=3
	s_or_b64 exec, exec, s[28:29]
	v_lshrrev_b32_e32 v7, 16, v12
	s_mov_b64 s[94:95], 0
	s_mov_b64 s[92:93], -1
.LBB10_1862:                            ;   Parent Loop BB10_47 Depth=1
                                        ;     Parent Loop BB10_1303 Depth=2
                                        ;       Parent Loop BB10_1853 Depth=3
                                        ; =>      This Inner Loop Header: Depth=4
	s_cmp_eq_u32 s94, 1
	s_cselect_b64 s[28:29], -1, 0
	v_cndmask_b32_e64 v13, v3, v5, s[28:29]
	v_cndmask_b32_e64 v12, v0, v4, s[28:29]
	flat_store_short v[12:13], v7 glc slc
	v_add_co_u32_e32 v12, vcc, 0x80, v12
	s_cmp_eq_u32 s94, 0
	v_addc_co_u32_e32 v13, vcc, 0, v13, vcc
	s_cselect_b64 vcc, -1, 0
	s_and_b64 s[40:41], exec, s[92:93]
	s_mov_b64 s[94:95], 1
	v_cndmask_b32_e64 v4, v4, v12, s[28:29]
	s_mov_b64 s[92:93], 0
	v_cndmask_b32_e64 v5, v5, v13, s[28:29]
	v_cndmask_b32_e32 v3, v3, v13, vcc
	v_cndmask_b32_e32 v0, v0, v12, vcc
	s_mov_b64 vcc, s[40:41]
	s_cbranch_vccnz .LBB10_1862
; %bb.1863:                             ;   in Loop: Header=BB10_1853 Depth=3
	buffer_load_dword v7, off, s[0:3], s33 offset:152 ; 4-byte Folded Reload
	buffer_load_dword v12, off, s[0:3], s33 offset:156 ; 4-byte Folded Reload
	;; [unrolled: 1-line block ×3, first 2 shown]
	s_waitcnt vmcnt(0)
	v_add_co_u32_e32 v8, vcc, v8, v7
	v_addc_co_u32_e32 v9, vcc, v9, v12, vcc
	v_add_co_u32_e32 v10, vcc, v10, v7
	v_addc_co_u32_e32 v11, vcc, v11, v12, vcc
	buffer_load_dword v12, off, s[0:3], s33 offset:144 ; 4-byte Folded Reload
	buffer_load_dword v7, off, s[0:3], s33 offset:96 ; 4-byte Folded Reload
	s_waitcnt vmcnt(0)
	v_add_co_u32_e32 v0, vcc, v0, v12
	v_addc_co_u32_e32 v3, vcc, v3, v13, vcc
	v_sub_u32_e32 v1, v1, v7
	v_cmp_gt_i32_e32 vcc, 2, v1
	s_or_b64 s[90:91], vcc, s[90:91]
	v_add_co_u32_e32 v4, vcc, v4, v12
	v_addc_co_u32_e32 v5, vcc, v5, v13, vcc
	s_andn2_b64 exec, exec, s[90:91]
	s_cbranch_execnz .LBB10_1853
.LBB10_1864:                            ;   in Loop: Header=BB10_1303 Depth=2
	s_or_b64 exec, exec, s[42:43]
	buffer_load_dword v6, off, s[0:3], s33 offset:232 ; 4-byte Folded Reload
	s_branch .LBB10_1384
.LBB10_1865:                            ;   in Loop: Header=BB10_1303 Depth=2
	s_mov_b64 s[28:29], -1
	s_and_saveexec_b64 s[40:41], s[22:23]
	s_cbranch_execz .LBB10_1867
; %bb.1866:                             ;   in Loop: Header=BB10_1303 Depth=2
	ds_read_b32 v0, v0 offset:720
	s_waitcnt lgkmcnt(0)
	v_and_b32_e32 v0, 15, v0
	v_cmp_eq_u32_e32 vcc, 0, v0
	s_orn2_b64 s[28:29], vcc, exec
.LBB10_1867:                            ;   in Loop: Header=BB10_1303 Depth=2
	s_or_b64 exec, exec, s[40:41]
	s_and_saveexec_b64 s[40:41], s[18:19]
	s_cbranch_execz .LBB10_1869
; %bb.1868:                             ;   in Loop: Header=BB10_1303 Depth=2
	ds_read_b32 v0, v0 offset:784
	s_waitcnt lgkmcnt(0)
	v_and_b32_e32 v0, 15, v0
	v_cmp_eq_u32_e32 vcc, 0, v0
	s_and_b64 s[42:43], s[28:29], vcc
	s_andn2_b64 s[28:29], s[28:29], exec
	s_and_b64 s[42:43], s[42:43], exec
	s_or_b64 s[28:29], s[28:29], s[42:43]
.LBB10_1869:                            ;   in Loop: Header=BB10_1303 Depth=2
	s_or_b64 exec, exec, s[40:41]
	s_xor_b64 s[28:29], s[28:29], -1
	s_waitcnt vmcnt(0)
	v_cndmask_b32_e64 v1, 0, 1, s[28:29]
	s_mov_b64 s[42:43], -1
	v_mov_b32_e32 v0, 0
	v_cmp_ne_u32_e32 vcc, 0, v1
	s_cbranch_vccz .LBB10_1871
; %bb.1870:                             ;   in Loop: Header=BB10_1303 Depth=2
	buffer_load_dword v1, off, s[0:3], s33 offset:180 ; 4-byte Folded Reload
	s_and_saveexec_b64 s[28:29], s[42:43]
	s_cbranch_execnz .LBB10_2202
	s_branch .LBB10_2346
.LBB10_1871:                            ;   in Loop: Header=BB10_1303 Depth=2
	v_ashrrev_i32_e32 v0, 31, v6
	v_lshrrev_b32_e32 v0, 20, v0
	v_add_u32_e32 v0, v6, v0
	v_ashrrev_i32_e32 v1, 12, v0
	buffer_load_dword v0, off, s[0:3], s33 offset:216 ; 4-byte Folded Reload
	s_waitcnt vmcnt(0)
	v_sub_u32_e32 v3, v1, v0
	v_cmp_lt_i32_e32 vcc, 0, v3
	s_and_saveexec_b64 s[28:29], vcc
	s_cbranch_execz .LBB10_2131
; %bb.1872:                             ;   in Loop: Header=BB10_1303 Depth=2
	buffer_store_dword v1, off, s[0:3], s33 offset:220 ; 4-byte Folded Spill
	s_trap 2
	ds_read_b64 v[0:1], v0
	buffer_load_dword v5, off, s[0:3], s33 offset:316 ; 4-byte Folded Reload
	buffer_load_dword v6, off, s[0:3], s33 offset:240 ; 4-byte Folded Reload
	;; [unrolled: 1-line block ×3, first 2 shown]
	s_mov_b64 s[40:41], 0
	s_waitcnt lgkmcnt(0)
	ds_read_b32 v4, v0
	s_waitcnt vmcnt(1)
	v_add_co_u32_e32 v24, vcc, v6, v5
	s_waitcnt vmcnt(0)
	v_addc_co_u32_e32 v25, vcc, 0, v7, vcc
	v_add_co_u32_e32 v28, vcc, v0, v5
	v_addc_co_u32_e32 v29, vcc, 0, v1, vcc
	buffer_load_dword v0, off, s[0:3], s33 offset:224 ; 4-byte Folded Reload
	buffer_load_dword v1, off, s[0:3], s33 offset:228 ; 4-byte Folded Reload
	s_waitcnt vmcnt(1)
	v_add_co_u32_e32 v30, vcc, v0, v5
	s_waitcnt vmcnt(0)
	v_addc_co_u32_e32 v31, vcc, 0, v1, vcc
	s_waitcnt lgkmcnt(0)
	v_lshlrev_b32_e32 v0, 16, v4
	s_branch .LBB10_1874
.LBB10_1873:                            ;   in Loop: Header=BB10_1874 Depth=3
	s_or_b64 exec, exec, s[42:43]
	v_lshrrev_b32_e32 v1, 16, v1
	v_lshrrev_b32_e32 v5, 16, v5
	v_and_or_b32 v20, v20, s66, v1
	v_lshrrev_b32_e32 v1, 16, v39
	v_and_or_b32 v12, v12, s66, v5
	;; [unrolled: 2-line block ×6, first 2 shown]
	v_lshrrev_b32_e32 v5, 16, v50
	v_lshrrev_b32_e32 v4, 16, v4
	v_and_or_b32 v33, v9, s66, v1
	v_lshrrev_b32_e32 v1, 16, v51
	v_and_or_b32 v17, v17, s66, v5
	;; [unrolled: 2-line block ×4, first 2 shown]
	v_lshrrev_b32_e32 v1, 16, v37
	v_lshrrev_b32_e32 v11, 16, v27
	v_and_or_b32 v16, v16, s66, v5
	v_lshrrev_b32_e32 v5, 16, v26
	v_and_or_b32 v21, v21, s66, v4
	v_and_or_b32 v34, v7, s66, v1
	v_lshrrev_b32_e32 v1, 16, v10
	v_and_or_b32 v13, v13, s66, v11
	v_and_or_b32 v18, v18, s66, v5
	;; [unrolled: 1-line block ×3, first 2 shown]
	global_store_dwordx4 v[30:31], v[20:23], off glc slc
	global_store_dwordx4 v[30:31], v[16:19], off offset:1024 glc slc
	global_store_dwordx4 v[30:31], v[12:15], off offset:2048 glc slc
	;; [unrolled: 1-line block ×3, first 2 shown]
	buffer_load_dword v4, off, s[0:3], s33 offset:100 ; 4-byte Folded Reload
	buffer_load_dword v1, off, s[0:3], s33 offset:88 ; 4-byte Folded Reload
	s_waitcnt vmcnt(1)
	v_add_co_u32_e32 v24, vcc, v24, v4
	v_addc_co_u32_e32 v25, vcc, 0, v25, vcc
	v_add_co_u32_e32 v28, vcc, v28, v4
	v_addc_co_u32_e32 v29, vcc, 0, v29, vcc
	s_waitcnt vmcnt(0)
	v_sub_u32_e32 v3, v3, v1
	v_cmp_gt_i32_e32 vcc, 1, v3
	s_or_b64 s[40:41], vcc, s[40:41]
	v_add_co_u32_e32 v30, vcc, v30, v4
	v_addc_co_u32_e32 v31, vcc, 0, v31, vcc
	s_andn2_b64 exec, exec, s[40:41]
	s_cbranch_execz .LBB10_2130
.LBB10_1874:                            ;   Parent Loop BB10_47 Depth=1
                                        ;     Parent Loop BB10_1303 Depth=2
                                        ; =>    This Inner Loop Header: Depth=3
	global_load_dwordx4 v[8:11], v[24:25], off glc slc
	s_waitcnt vmcnt(0)
	v_lshlrev_b32_e32 v1, 16, v8
	v_mul_f32_e32 v4, v0, v1
	v_and_b32_e32 v1, 0x7f800000, v4
	v_cmp_ne_u32_e32 vcc, s64, v1
                                        ; implicit-def: $vgpr1
	s_and_saveexec_b64 s[42:43], vcc
	s_xor_b64 s[42:43], exec, s[42:43]
; %bb.1875:                             ;   in Loop: Header=BB10_1874 Depth=3
	v_bfe_u32 v1, v4, 16, 1
	v_add3_u32 v1, v4, v1, s65
                                        ; implicit-def: $vgpr4
; %bb.1876:                             ;   in Loop: Header=BB10_1874 Depth=3
	s_andn2_saveexec_b64 s[42:43], s[42:43]
; %bb.1877:                             ;   in Loop: Header=BB10_1874 Depth=3
	v_or_b32_e32 v1, 0x10000, v4
	v_cmp_eq_u32_sdwa vcc, v4, v2 src0_sel:WORD_0 src1_sel:DWORD
	v_cndmask_b32_e32 v1, v1, v4, vcc
; %bb.1878:                             ;   in Loop: Header=BB10_1874 Depth=3
	s_or_b64 exec, exec, s[42:43]
	v_and_b32_e32 v4, 0xffff0000, v8
	v_mul_f32_e32 v4, v0, v4
	v_and_b32_e32 v5, 0x7f800000, v4
	v_cmp_ne_u32_e32 vcc, s64, v5
                                        ; implicit-def: $vgpr38
	s_and_saveexec_b64 s[42:43], vcc
	s_xor_b64 s[42:43], exec, s[42:43]
; %bb.1879:                             ;   in Loop: Header=BB10_1874 Depth=3
	v_bfe_u32 v5, v4, 16, 1
	v_add3_u32 v38, v4, v5, s65
                                        ; implicit-def: $vgpr4
; %bb.1880:                             ;   in Loop: Header=BB10_1874 Depth=3
	s_andn2_saveexec_b64 s[42:43], s[42:43]
; %bb.1881:                             ;   in Loop: Header=BB10_1874 Depth=3
	v_or_b32_e32 v5, 0x10000, v4
	v_cmp_eq_u32_sdwa vcc, v4, v2 src0_sel:WORD_0 src1_sel:DWORD
	v_cndmask_b32_e32 v38, v5, v4, vcc
; %bb.1882:                             ;   in Loop: Header=BB10_1874 Depth=3
	s_or_b64 exec, exec, s[42:43]
	v_lshlrev_b32_e32 v4, 16, v9
	v_mul_f32_e32 v4, v0, v4
	v_and_b32_e32 v5, 0x7f800000, v4
	v_cmp_ne_u32_e32 vcc, s64, v5
                                        ; implicit-def: $vgpr39
	s_and_saveexec_b64 s[42:43], vcc
	s_xor_b64 s[42:43], exec, s[42:43]
; %bb.1883:                             ;   in Loop: Header=BB10_1874 Depth=3
	v_bfe_u32 v5, v4, 16, 1
	v_add3_u32 v39, v4, v5, s65
                                        ; implicit-def: $vgpr4
; %bb.1884:                             ;   in Loop: Header=BB10_1874 Depth=3
	s_andn2_saveexec_b64 s[42:43], s[42:43]
; %bb.1885:                             ;   in Loop: Header=BB10_1874 Depth=3
	v_or_b32_e32 v5, 0x10000, v4
	v_cmp_eq_u32_sdwa vcc, v4, v2 src0_sel:WORD_0 src1_sel:DWORD
	v_cndmask_b32_e32 v39, v5, v4, vcc
; %bb.1886:                             ;   in Loop: Header=BB10_1874 Depth=3
	s_or_b64 exec, exec, s[42:43]
	v_and_b32_e32 v4, 0xffff0000, v9
	v_mul_f32_e32 v4, v0, v4
	v_and_b32_e32 v5, 0x7f800000, v4
	v_cmp_ne_u32_e32 vcc, s64, v5
                                        ; implicit-def: $vgpr40
	s_and_saveexec_b64 s[42:43], vcc
	s_xor_b64 s[42:43], exec, s[42:43]
; %bb.1887:                             ;   in Loop: Header=BB10_1874 Depth=3
	v_bfe_u32 v5, v4, 16, 1
	v_add3_u32 v40, v4, v5, s65
                                        ; implicit-def: $vgpr4
; %bb.1888:                             ;   in Loop: Header=BB10_1874 Depth=3
	s_andn2_saveexec_b64 s[42:43], s[42:43]
; %bb.1889:                             ;   in Loop: Header=BB10_1874 Depth=3
	v_or_b32_e32 v5, 0x10000, v4
	v_cmp_eq_u32_sdwa vcc, v4, v2 src0_sel:WORD_0 src1_sel:DWORD
	v_cndmask_b32_e32 v40, v5, v4, vcc
; %bb.1890:                             ;   in Loop: Header=BB10_1874 Depth=3
	s_or_b64 exec, exec, s[42:43]
	v_lshlrev_b32_e32 v4, 16, v10
	v_mul_f32_e32 v4, v0, v4
	v_and_b32_e32 v5, 0x7f800000, v4
	v_cmp_ne_u32_e32 vcc, s64, v5
                                        ; implicit-def: $vgpr41
	s_and_saveexec_b64 s[42:43], vcc
	s_xor_b64 s[42:43], exec, s[42:43]
; %bb.1891:                             ;   in Loop: Header=BB10_1874 Depth=3
	v_bfe_u32 v5, v4, 16, 1
	v_add3_u32 v41, v4, v5, s65
                                        ; implicit-def: $vgpr4
; %bb.1892:                             ;   in Loop: Header=BB10_1874 Depth=3
	s_andn2_saveexec_b64 s[42:43], s[42:43]
; %bb.1893:                             ;   in Loop: Header=BB10_1874 Depth=3
	v_or_b32_e32 v5, 0x10000, v4
	v_cmp_eq_u32_sdwa vcc, v4, v2 src0_sel:WORD_0 src1_sel:DWORD
	v_cndmask_b32_e32 v41, v5, v4, vcc
; %bb.1894:                             ;   in Loop: Header=BB10_1874 Depth=3
	s_or_b64 exec, exec, s[42:43]
	v_and_b32_e32 v4, 0xffff0000, v10
	v_mul_f32_e32 v4, v0, v4
	v_and_b32_e32 v5, 0x7f800000, v4
	v_cmp_ne_u32_e32 vcc, s64, v5
                                        ; implicit-def: $vgpr46
	s_and_saveexec_b64 s[42:43], vcc
	s_xor_b64 s[42:43], exec, s[42:43]
; %bb.1895:                             ;   in Loop: Header=BB10_1874 Depth=3
	v_bfe_u32 v5, v4, 16, 1
	v_add3_u32 v46, v4, v5, s65
                                        ; implicit-def: $vgpr4
; %bb.1896:                             ;   in Loop: Header=BB10_1874 Depth=3
	s_andn2_saveexec_b64 s[42:43], s[42:43]
; %bb.1897:                             ;   in Loop: Header=BB10_1874 Depth=3
	v_or_b32_e32 v5, 0x10000, v4
	v_cmp_eq_u32_sdwa vcc, v4, v2 src0_sel:WORD_0 src1_sel:DWORD
	v_cndmask_b32_e32 v46, v5, v4, vcc
; %bb.1898:                             ;   in Loop: Header=BB10_1874 Depth=3
	s_or_b64 exec, exec, s[42:43]
	v_lshlrev_b32_e32 v4, 16, v11
	v_mul_f32_e32 v4, v0, v4
	v_and_b32_e32 v5, 0x7f800000, v4
	v_cmp_ne_u32_e32 vcc, s64, v5
                                        ; implicit-def: $vgpr59
	s_and_saveexec_b64 s[42:43], vcc
	s_xor_b64 s[42:43], exec, s[42:43]
; %bb.1899:                             ;   in Loop: Header=BB10_1874 Depth=3
	v_bfe_u32 v5, v4, 16, 1
	v_add3_u32 v59, v4, v5, s65
                                        ; implicit-def: $vgpr4
; %bb.1900:                             ;   in Loop: Header=BB10_1874 Depth=3
	s_andn2_saveexec_b64 s[42:43], s[42:43]
; %bb.1901:                             ;   in Loop: Header=BB10_1874 Depth=3
	v_or_b32_e32 v5, 0x10000, v4
	v_cmp_eq_u32_sdwa vcc, v4, v2 src0_sel:WORD_0 src1_sel:DWORD
	v_cndmask_b32_e32 v59, v5, v4, vcc
; %bb.1902:                             ;   in Loop: Header=BB10_1874 Depth=3
	s_or_b64 exec, exec, s[42:43]
	v_and_b32_e32 v4, 0xffff0000, v11
	v_mul_f32_e32 v4, v0, v4
	v_and_b32_e32 v5, 0x7f800000, v4
	v_cmp_ne_u32_e32 vcc, s64, v5
                                        ; implicit-def: $vgpr42
	s_and_saveexec_b64 s[42:43], vcc
	s_xor_b64 s[42:43], exec, s[42:43]
; %bb.1903:                             ;   in Loop: Header=BB10_1874 Depth=3
	v_bfe_u32 v5, v4, 16, 1
	v_add3_u32 v42, v4, v5, s65
                                        ; implicit-def: $vgpr4
; %bb.1904:                             ;   in Loop: Header=BB10_1874 Depth=3
	s_andn2_saveexec_b64 s[42:43], s[42:43]
; %bb.1905:                             ;   in Loop: Header=BB10_1874 Depth=3
	v_or_b32_e32 v5, 0x10000, v4
	v_cmp_eq_u32_sdwa vcc, v4, v2 src0_sel:WORD_0 src1_sel:DWORD
	v_cndmask_b32_e32 v42, v5, v4, vcc
; %bb.1906:                             ;   in Loop: Header=BB10_1874 Depth=3
	s_or_b64 exec, exec, s[42:43]
	global_load_dwordx4 v[8:11], v[24:25], off offset:1024 glc slc
                                        ; implicit-def: $vgpr58
	s_waitcnt vmcnt(0)
	v_lshlrev_b32_e32 v4, 16, v8
	v_mul_f32_e32 v4, v0, v4
	v_and_b32_e32 v5, 0x7f800000, v4
	v_cmp_ne_u32_e32 vcc, s64, v5
	s_and_saveexec_b64 s[42:43], vcc
	s_xor_b64 s[42:43], exec, s[42:43]
; %bb.1907:                             ;   in Loop: Header=BB10_1874 Depth=3
	v_bfe_u32 v5, v4, 16, 1
	v_add3_u32 v58, v4, v5, s65
                                        ; implicit-def: $vgpr4
; %bb.1908:                             ;   in Loop: Header=BB10_1874 Depth=3
	s_andn2_saveexec_b64 s[42:43], s[42:43]
; %bb.1909:                             ;   in Loop: Header=BB10_1874 Depth=3
	v_or_b32_e32 v5, 0x10000, v4
	v_cmp_eq_u32_sdwa vcc, v4, v2 src0_sel:WORD_0 src1_sel:DWORD
	v_cndmask_b32_e32 v58, v5, v4, vcc
; %bb.1910:                             ;   in Loop: Header=BB10_1874 Depth=3
	s_or_b64 exec, exec, s[42:43]
	v_and_b32_e32 v4, 0xffff0000, v8
	v_mul_f32_e32 v4, v0, v4
	v_and_b32_e32 v5, 0x7f800000, v4
	v_cmp_ne_u32_e32 vcc, s64, v5
                                        ; implicit-def: $vgpr50
	s_and_saveexec_b64 s[42:43], vcc
	s_xor_b64 s[42:43], exec, s[42:43]
; %bb.1911:                             ;   in Loop: Header=BB10_1874 Depth=3
	v_bfe_u32 v5, v4, 16, 1
	v_add3_u32 v50, v4, v5, s65
                                        ; implicit-def: $vgpr4
; %bb.1912:                             ;   in Loop: Header=BB10_1874 Depth=3
	s_andn2_saveexec_b64 s[42:43], s[42:43]
; %bb.1913:                             ;   in Loop: Header=BB10_1874 Depth=3
	v_or_b32_e32 v5, 0x10000, v4
	v_cmp_eq_u32_sdwa vcc, v4, v2 src0_sel:WORD_0 src1_sel:DWORD
	v_cndmask_b32_e32 v50, v5, v4, vcc
; %bb.1914:                             ;   in Loop: Header=BB10_1874 Depth=3
	s_or_b64 exec, exec, s[42:43]
	v_lshlrev_b32_e32 v4, 16, v9
	v_mul_f32_e32 v4, v0, v4
	v_and_b32_e32 v5, 0x7f800000, v4
	v_cmp_ne_u32_e32 vcc, s64, v5
                                        ; implicit-def: $vgpr51
	s_and_saveexec_b64 s[42:43], vcc
	s_xor_b64 s[42:43], exec, s[42:43]
; %bb.1915:                             ;   in Loop: Header=BB10_1874 Depth=3
	v_bfe_u32 v5, v4, 16, 1
	v_add3_u32 v51, v4, v5, s65
                                        ; implicit-def: $vgpr4
; %bb.1916:                             ;   in Loop: Header=BB10_1874 Depth=3
	s_andn2_saveexec_b64 s[42:43], s[42:43]
; %bb.1917:                             ;   in Loop: Header=BB10_1874 Depth=3
	v_or_b32_e32 v5, 0x10000, v4
	v_cmp_eq_u32_sdwa vcc, v4, v2 src0_sel:WORD_0 src1_sel:DWORD
	v_cndmask_b32_e32 v51, v5, v4, vcc
; %bb.1918:                             ;   in Loop: Header=BB10_1874 Depth=3
	s_or_b64 exec, exec, s[42:43]
	v_and_b32_e32 v4, 0xffff0000, v9
	v_mul_f32_e32 v4, v0, v4
	v_and_b32_e32 v5, 0x7f800000, v4
	v_cmp_ne_u32_e32 vcc, s64, v5
                                        ; implicit-def: $vgpr26
	s_and_saveexec_b64 s[42:43], vcc
	s_xor_b64 s[42:43], exec, s[42:43]
; %bb.1919:                             ;   in Loop: Header=BB10_1874 Depth=3
	v_bfe_u32 v5, v4, 16, 1
	v_add3_u32 v26, v4, v5, s65
                                        ; implicit-def: $vgpr4
; %bb.1920:                             ;   in Loop: Header=BB10_1874 Depth=3
	s_andn2_saveexec_b64 s[42:43], s[42:43]
; %bb.1921:                             ;   in Loop: Header=BB10_1874 Depth=3
	v_or_b32_e32 v5, 0x10000, v4
	v_cmp_eq_u32_sdwa vcc, v4, v2 src0_sel:WORD_0 src1_sel:DWORD
	v_cndmask_b32_e32 v26, v5, v4, vcc
; %bb.1922:                             ;   in Loop: Header=BB10_1874 Depth=3
	s_or_b64 exec, exec, s[42:43]
	v_lshlrev_b32_e32 v4, 16, v10
	v_mul_f32_e32 v4, v0, v4
	v_and_b32_e32 v5, 0x7f800000, v4
	v_cmp_ne_u32_e32 vcc, s64, v5
                                        ; implicit-def: $vgpr27
	s_and_saveexec_b64 s[42:43], vcc
	s_xor_b64 s[42:43], exec, s[42:43]
; %bb.1923:                             ;   in Loop: Header=BB10_1874 Depth=3
	v_bfe_u32 v5, v4, 16, 1
	v_add3_u32 v27, v4, v5, s65
                                        ; implicit-def: $vgpr4
; %bb.1924:                             ;   in Loop: Header=BB10_1874 Depth=3
	s_andn2_saveexec_b64 s[42:43], s[42:43]
; %bb.1925:                             ;   in Loop: Header=BB10_1874 Depth=3
	v_or_b32_e32 v5, 0x10000, v4
	v_cmp_eq_u32_sdwa vcc, v4, v2 src0_sel:WORD_0 src1_sel:DWORD
	v_cndmask_b32_e32 v27, v5, v4, vcc
; %bb.1926:                             ;   in Loop: Header=BB10_1874 Depth=3
	s_or_b64 exec, exec, s[42:43]
	v_and_b32_e32 v4, 0xffff0000, v10
	v_mul_f32_e32 v4, v0, v4
	v_and_b32_e32 v5, 0x7f800000, v4
	v_cmp_ne_u32_e32 vcc, s64, v5
                                        ; implicit-def: $vgpr44
	s_and_saveexec_b64 s[42:43], vcc
	s_xor_b64 s[42:43], exec, s[42:43]
; %bb.1927:                             ;   in Loop: Header=BB10_1874 Depth=3
	v_bfe_u32 v5, v4, 16, 1
	v_add3_u32 v44, v4, v5, s65
                                        ; implicit-def: $vgpr4
; %bb.1928:                             ;   in Loop: Header=BB10_1874 Depth=3
	s_andn2_saveexec_b64 s[42:43], s[42:43]
; %bb.1929:                             ;   in Loop: Header=BB10_1874 Depth=3
	v_or_b32_e32 v5, 0x10000, v4
	v_cmp_eq_u32_sdwa vcc, v4, v2 src0_sel:WORD_0 src1_sel:DWORD
	v_cndmask_b32_e32 v44, v5, v4, vcc
; %bb.1930:                             ;   in Loop: Header=BB10_1874 Depth=3
	s_or_b64 exec, exec, s[42:43]
	v_lshlrev_b32_e32 v4, 16, v11
	v_mul_f32_e32 v5, v0, v4
	v_and_b32_e32 v4, 0x7f800000, v5
	v_cmp_ne_u32_e32 vcc, s64, v4
                                        ; implicit-def: $vgpr4
	s_and_saveexec_b64 s[42:43], vcc
	s_xor_b64 s[42:43], exec, s[42:43]
; %bb.1931:                             ;   in Loop: Header=BB10_1874 Depth=3
	v_bfe_u32 v4, v5, 16, 1
	v_add3_u32 v4, v5, v4, s65
                                        ; implicit-def: $vgpr5
; %bb.1932:                             ;   in Loop: Header=BB10_1874 Depth=3
	s_andn2_saveexec_b64 s[42:43], s[42:43]
; %bb.1933:                             ;   in Loop: Header=BB10_1874 Depth=3
	v_or_b32_e32 v4, 0x10000, v5
	v_cmp_eq_u32_sdwa vcc, v5, v2 src0_sel:WORD_0 src1_sel:DWORD
	v_cndmask_b32_e32 v4, v4, v5, vcc
; %bb.1934:                             ;   in Loop: Header=BB10_1874 Depth=3
	s_or_b64 exec, exec, s[42:43]
	v_and_b32_e32 v5, 0xffff0000, v11
	v_mul_f32_e32 v5, v0, v5
	v_and_b32_e32 v6, 0x7f800000, v5
	v_cmp_ne_u32_e32 vcc, s64, v6
                                        ; implicit-def: $vgpr61
	s_and_saveexec_b64 s[42:43], vcc
	s_xor_b64 s[42:43], exec, s[42:43]
; %bb.1935:                             ;   in Loop: Header=BB10_1874 Depth=3
	v_bfe_u32 v6, v5, 16, 1
	v_add3_u32 v61, v5, v6, s65
                                        ; implicit-def: $vgpr5
; %bb.1936:                             ;   in Loop: Header=BB10_1874 Depth=3
	s_andn2_saveexec_b64 s[42:43], s[42:43]
; %bb.1937:                             ;   in Loop: Header=BB10_1874 Depth=3
	v_or_b32_e32 v6, 0x10000, v5
	v_cmp_eq_u32_sdwa vcc, v5, v2 src0_sel:WORD_0 src1_sel:DWORD
	v_cndmask_b32_e32 v61, v6, v5, vcc
; %bb.1938:                             ;   in Loop: Header=BB10_1874 Depth=3
	s_or_b64 exec, exec, s[42:43]
	global_load_dwordx4 v[8:11], v[24:25], off offset:2048 glc slc
	s_waitcnt vmcnt(0)
	v_lshlrev_b32_e32 v5, 16, v8
	v_mul_f32_e32 v6, v0, v5
	v_and_b32_e32 v5, 0x7f800000, v6
	v_cmp_ne_u32_e32 vcc, s64, v5
                                        ; implicit-def: $vgpr5
	s_and_saveexec_b64 s[42:43], vcc
	s_xor_b64 s[42:43], exec, s[42:43]
; %bb.1939:                             ;   in Loop: Header=BB10_1874 Depth=3
	v_bfe_u32 v5, v6, 16, 1
	v_add3_u32 v5, v6, v5, s65
                                        ; implicit-def: $vgpr6
; %bb.1940:                             ;   in Loop: Header=BB10_1874 Depth=3
	s_andn2_saveexec_b64 s[42:43], s[42:43]
; %bb.1941:                             ;   in Loop: Header=BB10_1874 Depth=3
	v_or_b32_e32 v5, 0x10000, v6
	v_cmp_eq_u32_sdwa vcc, v6, v2 src0_sel:WORD_0 src1_sel:DWORD
	v_cndmask_b32_e32 v5, v5, v6, vcc
; %bb.1942:                             ;   in Loop: Header=BB10_1874 Depth=3
	s_or_b64 exec, exec, s[42:43]
	v_and_b32_e32 v6, 0xffff0000, v8
	v_mul_f32_e32 v6, v0, v6
	v_and_b32_e32 v7, 0x7f800000, v6
	v_cmp_ne_u32_e32 vcc, s64, v7
                                        ; implicit-def: $vgpr57
	s_and_saveexec_b64 s[42:43], vcc
	s_xor_b64 s[42:43], exec, s[42:43]
; %bb.1943:                             ;   in Loop: Header=BB10_1874 Depth=3
	v_bfe_u32 v7, v6, 16, 1
	v_add3_u32 v57, v6, v7, s65
                                        ; implicit-def: $vgpr6
; %bb.1944:                             ;   in Loop: Header=BB10_1874 Depth=3
	s_andn2_saveexec_b64 s[42:43], s[42:43]
; %bb.1945:                             ;   in Loop: Header=BB10_1874 Depth=3
	v_or_b32_e32 v7, 0x10000, v6
	v_cmp_eq_u32_sdwa vcc, v6, v2 src0_sel:WORD_0 src1_sel:DWORD
	v_cndmask_b32_e32 v57, v7, v6, vcc
; %bb.1946:                             ;   in Loop: Header=BB10_1874 Depth=3
	s_or_b64 exec, exec, s[42:43]
	v_lshlrev_b32_e32 v6, 16, v9
	v_mul_f32_e32 v6, v0, v6
	v_and_b32_e32 v7, 0x7f800000, v6
	v_cmp_ne_u32_e32 vcc, s64, v7
                                        ; implicit-def: $vgpr60
	s_and_saveexec_b64 s[42:43], vcc
	s_xor_b64 s[42:43], exec, s[42:43]
; %bb.1947:                             ;   in Loop: Header=BB10_1874 Depth=3
	v_bfe_u32 v7, v6, 16, 1
	v_add3_u32 v60, v6, v7, s65
                                        ; implicit-def: $vgpr6
; %bb.1948:                             ;   in Loop: Header=BB10_1874 Depth=3
	s_andn2_saveexec_b64 s[42:43], s[42:43]
; %bb.1949:                             ;   in Loop: Header=BB10_1874 Depth=3
	v_or_b32_e32 v7, 0x10000, v6
	v_cmp_eq_u32_sdwa vcc, v6, v2 src0_sel:WORD_0 src1_sel:DWORD
	v_cndmask_b32_e32 v60, v7, v6, vcc
; %bb.1950:                             ;   in Loop: Header=BB10_1874 Depth=3
	s_or_b64 exec, exec, s[42:43]
	v_and_b32_e32 v6, 0xffff0000, v9
	v_mul_f32_e32 v6, v0, v6
	v_and_b32_e32 v7, 0x7f800000, v6
	v_cmp_ne_u32_e32 vcc, s64, v7
                                        ; implicit-def: $vgpr34
	s_and_saveexec_b64 s[42:43], vcc
	s_xor_b64 s[42:43], exec, s[42:43]
; %bb.1951:                             ;   in Loop: Header=BB10_1874 Depth=3
	v_bfe_u32 v7, v6, 16, 1
	v_add3_u32 v34, v6, v7, s65
                                        ; implicit-def: $vgpr6
; %bb.1952:                             ;   in Loop: Header=BB10_1874 Depth=3
	s_andn2_saveexec_b64 s[42:43], s[42:43]
; %bb.1953:                             ;   in Loop: Header=BB10_1874 Depth=3
	v_or_b32_e32 v7, 0x10000, v6
	v_cmp_eq_u32_sdwa vcc, v6, v2 src0_sel:WORD_0 src1_sel:DWORD
	v_cndmask_b32_e32 v34, v7, v6, vcc
; %bb.1954:                             ;   in Loop: Header=BB10_1874 Depth=3
	s_or_b64 exec, exec, s[42:43]
	v_lshlrev_b32_e32 v6, 16, v10
	v_mul_f32_e32 v6, v0, v6
	v_and_b32_e32 v7, 0x7f800000, v6
	v_cmp_ne_u32_e32 vcc, s64, v7
                                        ; implicit-def: $vgpr35
	s_and_saveexec_b64 s[42:43], vcc
	s_xor_b64 s[42:43], exec, s[42:43]
; %bb.1955:                             ;   in Loop: Header=BB10_1874 Depth=3
	v_bfe_u32 v7, v6, 16, 1
	v_add3_u32 v35, v6, v7, s65
                                        ; implicit-def: $vgpr6
; %bb.1956:                             ;   in Loop: Header=BB10_1874 Depth=3
	s_andn2_saveexec_b64 s[42:43], s[42:43]
; %bb.1957:                             ;   in Loop: Header=BB10_1874 Depth=3
	v_or_b32_e32 v7, 0x10000, v6
	v_cmp_eq_u32_sdwa vcc, v6, v2 src0_sel:WORD_0 src1_sel:DWORD
	v_cndmask_b32_e32 v35, v7, v6, vcc
; %bb.1958:                             ;   in Loop: Header=BB10_1874 Depth=3
	s_or_b64 exec, exec, s[42:43]
	v_and_b32_e32 v6, 0xffff0000, v10
	v_mul_f32_e32 v6, v0, v6
	v_and_b32_e32 v7, 0x7f800000, v6
	v_cmp_ne_u32_e32 vcc, s64, v7
                                        ; implicit-def: $vgpr45
	s_and_saveexec_b64 s[42:43], vcc
	s_xor_b64 s[42:43], exec, s[42:43]
; %bb.1959:                             ;   in Loop: Header=BB10_1874 Depth=3
	v_bfe_u32 v7, v6, 16, 1
	v_add3_u32 v45, v6, v7, s65
                                        ; implicit-def: $vgpr6
; %bb.1960:                             ;   in Loop: Header=BB10_1874 Depth=3
	s_andn2_saveexec_b64 s[42:43], s[42:43]
; %bb.1961:                             ;   in Loop: Header=BB10_1874 Depth=3
	v_or_b32_e32 v7, 0x10000, v6
	v_cmp_eq_u32_sdwa vcc, v6, v2 src0_sel:WORD_0 src1_sel:DWORD
	v_cndmask_b32_e32 v45, v7, v6, vcc
; %bb.1962:                             ;   in Loop: Header=BB10_1874 Depth=3
	s_or_b64 exec, exec, s[42:43]
	v_lshlrev_b32_e32 v6, 16, v11
	v_mul_f32_e32 v6, v0, v6
	v_and_b32_e32 v7, 0x7f800000, v6
	v_cmp_ne_u32_e32 vcc, s64, v7
                                        ; implicit-def: $vgpr47
	s_and_saveexec_b64 s[42:43], vcc
	s_xor_b64 s[42:43], exec, s[42:43]
; %bb.1963:                             ;   in Loop: Header=BB10_1874 Depth=3
	v_bfe_u32 v7, v6, 16, 1
	v_add3_u32 v47, v6, v7, s65
                                        ; implicit-def: $vgpr6
; %bb.1964:                             ;   in Loop: Header=BB10_1874 Depth=3
	s_andn2_saveexec_b64 s[42:43], s[42:43]
; %bb.1965:                             ;   in Loop: Header=BB10_1874 Depth=3
	v_or_b32_e32 v7, 0x10000, v6
	v_cmp_eq_u32_sdwa vcc, v6, v2 src0_sel:WORD_0 src1_sel:DWORD
	v_cndmask_b32_e32 v47, v7, v6, vcc
; %bb.1966:                             ;   in Loop: Header=BB10_1874 Depth=3
	s_or_b64 exec, exec, s[42:43]
	v_and_b32_e32 v6, 0xffff0000, v11
	v_mul_f32_e32 v6, v0, v6
	v_and_b32_e32 v7, 0x7f800000, v6
	v_cmp_ne_u32_e32 vcc, s64, v7
                                        ; implicit-def: $vgpr55
	s_and_saveexec_b64 s[42:43], vcc
	s_xor_b64 s[42:43], exec, s[42:43]
; %bb.1967:                             ;   in Loop: Header=BB10_1874 Depth=3
	v_bfe_u32 v7, v6, 16, 1
	v_add3_u32 v55, v6, v7, s65
                                        ; implicit-def: $vgpr6
; %bb.1968:                             ;   in Loop: Header=BB10_1874 Depth=3
	s_andn2_saveexec_b64 s[42:43], s[42:43]
; %bb.1969:                             ;   in Loop: Header=BB10_1874 Depth=3
	v_or_b32_e32 v7, 0x10000, v6
	v_cmp_eq_u32_sdwa vcc, v6, v2 src0_sel:WORD_0 src1_sel:DWORD
	v_cndmask_b32_e32 v55, v7, v6, vcc
; %bb.1970:                             ;   in Loop: Header=BB10_1874 Depth=3
	s_or_b64 exec, exec, s[42:43]
	global_load_dwordx4 v[8:11], v[24:25], off offset:3072 glc slc
                                        ; implicit-def: $vgpr43
	s_waitcnt vmcnt(0)
	v_lshlrev_b32_e32 v6, 16, v8
	v_mul_f32_e32 v6, v0, v6
	v_and_b32_e32 v7, 0x7f800000, v6
	v_cmp_ne_u32_e32 vcc, s64, v7
	s_and_saveexec_b64 s[42:43], vcc
	s_xor_b64 s[42:43], exec, s[42:43]
; %bb.1971:                             ;   in Loop: Header=BB10_1874 Depth=3
	v_bfe_u32 v7, v6, 16, 1
	v_add3_u32 v43, v6, v7, s65
                                        ; implicit-def: $vgpr6
; %bb.1972:                             ;   in Loop: Header=BB10_1874 Depth=3
	s_andn2_saveexec_b64 s[42:43], s[42:43]
; %bb.1973:                             ;   in Loop: Header=BB10_1874 Depth=3
	v_or_b32_e32 v7, 0x10000, v6
	v_cmp_eq_u32_sdwa vcc, v6, v2 src0_sel:WORD_0 src1_sel:DWORD
	v_cndmask_b32_e32 v43, v7, v6, vcc
; %bb.1974:                             ;   in Loop: Header=BB10_1874 Depth=3
	s_or_b64 exec, exec, s[42:43]
	v_and_b32_e32 v6, 0xffff0000, v8
	v_mul_f32_e32 v6, v0, v6
	v_and_b32_e32 v7, 0x7f800000, v6
	v_cmp_ne_u32_e32 vcc, s64, v7
                                        ; implicit-def: $vgpr53
	s_and_saveexec_b64 s[42:43], vcc
	s_xor_b64 s[42:43], exec, s[42:43]
; %bb.1975:                             ;   in Loop: Header=BB10_1874 Depth=3
	v_bfe_u32 v7, v6, 16, 1
	v_add3_u32 v53, v6, v7, s65
                                        ; implicit-def: $vgpr6
; %bb.1976:                             ;   in Loop: Header=BB10_1874 Depth=3
	s_andn2_saveexec_b64 s[42:43], s[42:43]
; %bb.1977:                             ;   in Loop: Header=BB10_1874 Depth=3
	v_or_b32_e32 v7, 0x10000, v6
	v_cmp_eq_u32_sdwa vcc, v6, v2 src0_sel:WORD_0 src1_sel:DWORD
	v_cndmask_b32_e32 v53, v7, v6, vcc
; %bb.1978:                             ;   in Loop: Header=BB10_1874 Depth=3
	s_or_b64 exec, exec, s[42:43]
	v_lshlrev_b32_e32 v6, 16, v9
	v_mul_f32_e32 v6, v0, v6
	v_and_b32_e32 v7, 0x7f800000, v6
	v_cmp_ne_u32_e32 vcc, s64, v7
                                        ; implicit-def: $vgpr54
	s_and_saveexec_b64 s[42:43], vcc
	s_xor_b64 s[42:43], exec, s[42:43]
; %bb.1979:                             ;   in Loop: Header=BB10_1874 Depth=3
	v_bfe_u32 v7, v6, 16, 1
	v_add3_u32 v54, v6, v7, s65
                                        ; implicit-def: $vgpr6
; %bb.1980:                             ;   in Loop: Header=BB10_1874 Depth=3
	s_andn2_saveexec_b64 s[42:43], s[42:43]
; %bb.1981:                             ;   in Loop: Header=BB10_1874 Depth=3
	v_or_b32_e32 v7, 0x10000, v6
	v_cmp_eq_u32_sdwa vcc, v6, v2 src0_sel:WORD_0 src1_sel:DWORD
	v_cndmask_b32_e32 v54, v7, v6, vcc
; %bb.1982:                             ;   in Loop: Header=BB10_1874 Depth=3
	s_or_b64 exec, exec, s[42:43]
	v_and_b32_e32 v6, 0xffff0000, v9
	v_mul_f32_e32 v6, v0, v6
	v_and_b32_e32 v7, 0x7f800000, v6
	v_cmp_ne_u32_e32 vcc, s64, v7
                                        ; implicit-def: $vgpr37
	s_and_saveexec_b64 s[42:43], vcc
	s_xor_b64 s[42:43], exec, s[42:43]
; %bb.1983:                             ;   in Loop: Header=BB10_1874 Depth=3
	v_bfe_u32 v7, v6, 16, 1
	v_add3_u32 v37, v6, v7, s65
                                        ; implicit-def: $vgpr6
; %bb.1984:                             ;   in Loop: Header=BB10_1874 Depth=3
	s_andn2_saveexec_b64 s[42:43], s[42:43]
; %bb.1985:                             ;   in Loop: Header=BB10_1874 Depth=3
	v_or_b32_e32 v7, 0x10000, v6
	v_cmp_eq_u32_sdwa vcc, v6, v2 src0_sel:WORD_0 src1_sel:DWORD
	v_cndmask_b32_e32 v37, v7, v6, vcc
; %bb.1986:                             ;   in Loop: Header=BB10_1874 Depth=3
	s_or_b64 exec, exec, s[42:43]
	v_lshlrev_b32_e32 v6, 16, v10
	v_mul_f32_e32 v6, v0, v6
	v_and_b32_e32 v7, 0x7f800000, v6
	v_cmp_ne_u32_e32 vcc, s64, v7
                                        ; implicit-def: $vgpr52
	s_and_saveexec_b64 s[42:43], vcc
	s_xor_b64 s[42:43], exec, s[42:43]
; %bb.1987:                             ;   in Loop: Header=BB10_1874 Depth=3
	v_bfe_u32 v7, v6, 16, 1
	v_add3_u32 v52, v6, v7, s65
                                        ; implicit-def: $vgpr6
; %bb.1988:                             ;   in Loop: Header=BB10_1874 Depth=3
	s_andn2_saveexec_b64 s[42:43], s[42:43]
; %bb.1989:                             ;   in Loop: Header=BB10_1874 Depth=3
	v_or_b32_e32 v7, 0x10000, v6
	v_cmp_eq_u32_sdwa vcc, v6, v2 src0_sel:WORD_0 src1_sel:DWORD
	v_cndmask_b32_e32 v52, v7, v6, vcc
; %bb.1990:                             ;   in Loop: Header=BB10_1874 Depth=3
	s_or_b64 exec, exec, s[42:43]
	v_and_b32_e32 v6, 0xffff0000, v10
	v_mul_f32_e32 v6, v0, v6
	v_and_b32_e32 v7, 0x7f800000, v6
	v_cmp_ne_u32_e32 vcc, s64, v7
                                        ; implicit-def: $vgpr7
	s_and_saveexec_b64 s[42:43], vcc
	s_xor_b64 s[42:43], exec, s[42:43]
; %bb.1991:                             ;   in Loop: Header=BB10_1874 Depth=3
	v_bfe_u32 v7, v6, 16, 1
	v_add3_u32 v7, v6, v7, s65
                                        ; implicit-def: $vgpr6
; %bb.1992:                             ;   in Loop: Header=BB10_1874 Depth=3
	s_andn2_saveexec_b64 s[42:43], s[42:43]
; %bb.1993:                             ;   in Loop: Header=BB10_1874 Depth=3
	v_or_b32_e32 v7, 0x10000, v6
	v_cmp_eq_u32_sdwa vcc, v6, v2 src0_sel:WORD_0 src1_sel:DWORD
	v_cndmask_b32_e32 v7, v7, v6, vcc
; %bb.1994:                             ;   in Loop: Header=BB10_1874 Depth=3
	s_or_b64 exec, exec, s[42:43]
	v_lshlrev_b32_e32 v6, 16, v11
	v_mul_f32_e32 v6, v0, v6
	v_and_b32_e32 v8, 0x7f800000, v6
	v_cmp_ne_u32_e32 vcc, s64, v8
                                        ; implicit-def: $vgpr36
	s_and_saveexec_b64 s[42:43], vcc
	s_xor_b64 s[42:43], exec, s[42:43]
; %bb.1995:                             ;   in Loop: Header=BB10_1874 Depth=3
	v_bfe_u32 v8, v6, 16, 1
	v_add3_u32 v36, v6, v8, s65
                                        ; implicit-def: $vgpr6
; %bb.1996:                             ;   in Loop: Header=BB10_1874 Depth=3
	s_andn2_saveexec_b64 s[42:43], s[42:43]
; %bb.1997:                             ;   in Loop: Header=BB10_1874 Depth=3
	v_or_b32_e32 v8, 0x10000, v6
	v_cmp_eq_u32_sdwa vcc, v6, v2 src0_sel:WORD_0 src1_sel:DWORD
	v_cndmask_b32_e32 v36, v8, v6, vcc
; %bb.1998:                             ;   in Loop: Header=BB10_1874 Depth=3
	s_or_b64 exec, exec, s[42:43]
	v_and_b32_e32 v6, 0xffff0000, v11
	v_mul_f32_e32 v8, v0, v6
	v_and_b32_e32 v6, 0x7f800000, v8
	v_cmp_ne_u32_e32 vcc, s64, v6
                                        ; implicit-def: $vgpr6
	s_and_saveexec_b64 s[42:43], vcc
	s_xor_b64 s[42:43], exec, s[42:43]
; %bb.1999:                             ;   in Loop: Header=BB10_1874 Depth=3
	v_bfe_u32 v6, v8, 16, 1
	v_add3_u32 v6, v8, v6, s65
                                        ; implicit-def: $vgpr8
; %bb.2000:                             ;   in Loop: Header=BB10_1874 Depth=3
	s_andn2_saveexec_b64 s[42:43], s[42:43]
; %bb.2001:                             ;   in Loop: Header=BB10_1874 Depth=3
	v_or_b32_e32 v6, 0x10000, v8
	v_cmp_eq_u32_sdwa vcc, v8, v2 src0_sel:WORD_0 src1_sel:DWORD
	v_cndmask_b32_e32 v6, v6, v8, vcc
; %bb.2002:                             ;   in Loop: Header=BB10_1874 Depth=3
	s_or_b64 exec, exec, s[42:43]
	global_load_dwordx4 v[20:23], v[28:29], off glc slc
	global_load_dwordx4 v[16:19], v[28:29], off offset:1024 glc slc
	global_load_dwordx4 v[12:15], v[28:29], off offset:2048 glc slc
	;; [unrolled: 1-line block ×3, first 2 shown]
	v_and_b32_e32 v1, 0xffff0000, v1
	s_waitcnt vmcnt(3)
	v_lshlrev_b32_e32 v32, 16, v20
	v_add_f32_e32 v56, v1, v32
	v_and_b32_e32 v1, 0x7f800000, v56
	v_cmp_ne_u32_e32 vcc, s64, v1
                                        ; implicit-def: $vgpr1
	s_and_saveexec_b64 s[42:43], vcc
	s_xor_b64 s[42:43], exec, s[42:43]
; %bb.2003:                             ;   in Loop: Header=BB10_1874 Depth=3
	v_bfe_u32 v1, v56, 16, 1
	v_add3_u32 v1, v56, v1, s65
                                        ; implicit-def: $vgpr56
; %bb.2004:                             ;   in Loop: Header=BB10_1874 Depth=3
	s_andn2_saveexec_b64 s[42:43], s[42:43]
; %bb.2005:                             ;   in Loop: Header=BB10_1874 Depth=3
	v_or_b32_e32 v1, 0x10000, v56
	v_cmp_eq_u32_sdwa vcc, v56, v2 src0_sel:WORD_0 src1_sel:DWORD
	v_cndmask_b32_e32 v1, v1, v56, vcc
; %bb.2006:                             ;   in Loop: Header=BB10_1874 Depth=3
	s_or_b64 exec, exec, s[42:43]
	v_and_b32_e32 v20, 0xffff0000, v20
	v_and_b32_e32 v32, 0xffff0000, v38
	v_add_f32_e32 v38, v32, v20
	v_and_b32_e32 v20, 0x7f800000, v38
	v_cmp_ne_u32_e32 vcc, s64, v20
                                        ; implicit-def: $vgpr20
	s_and_saveexec_b64 s[42:43], vcc
	s_xor_b64 s[42:43], exec, s[42:43]
; %bb.2007:                             ;   in Loop: Header=BB10_1874 Depth=3
	v_bfe_u32 v20, v38, 16, 1
	v_add3_u32 v20, v38, v20, s65
                                        ; implicit-def: $vgpr38
; %bb.2008:                             ;   in Loop: Header=BB10_1874 Depth=3
	s_andn2_saveexec_b64 s[42:43], s[42:43]
; %bb.2009:                             ;   in Loop: Header=BB10_1874 Depth=3
	v_or_b32_e32 v20, 0x10000, v38
	v_cmp_eq_u32_sdwa vcc, v38, v2 src0_sel:WORD_0 src1_sel:DWORD
	v_cndmask_b32_e32 v20, v20, v38, vcc
; %bb.2010:                             ;   in Loop: Header=BB10_1874 Depth=3
	s_or_b64 exec, exec, s[42:43]
	v_and_b32_e32 v32, 0xffff0000, v39
	v_lshlrev_b32_e32 v33, 16, v21
	v_add_f32_e32 v39, v32, v33
	v_and_b32_e32 v32, 0x7f800000, v39
	v_cmp_ne_u32_e32 vcc, s64, v32
                                        ; implicit-def: $vgpr38
	s_and_saveexec_b64 s[42:43], vcc
	s_xor_b64 s[42:43], exec, s[42:43]
; %bb.2011:                             ;   in Loop: Header=BB10_1874 Depth=3
	v_bfe_u32 v32, v39, 16, 1
	v_add3_u32 v38, v39, v32, s65
                                        ; implicit-def: $vgpr39
; %bb.2012:                             ;   in Loop: Header=BB10_1874 Depth=3
	s_andn2_saveexec_b64 s[42:43], s[42:43]
; %bb.2013:                             ;   in Loop: Header=BB10_1874 Depth=3
	v_or_b32_e32 v32, 0x10000, v39
	v_cmp_eq_u32_sdwa vcc, v39, v2 src0_sel:WORD_0 src1_sel:DWORD
	v_cndmask_b32_e32 v38, v32, v39, vcc
; %bb.2014:                             ;   in Loop: Header=BB10_1874 Depth=3
	s_or_b64 exec, exec, s[42:43]
	v_and_b32_e32 v21, 0xffff0000, v21
	v_and_b32_e32 v32, 0xffff0000, v40
	v_add_f32_e32 v39, v32, v21
	v_and_b32_e32 v21, 0x7f800000, v39
	v_cmp_ne_u32_e32 vcc, s64, v21
                                        ; implicit-def: $vgpr21
	s_and_saveexec_b64 s[42:43], vcc
	s_xor_b64 s[42:43], exec, s[42:43]
; %bb.2015:                             ;   in Loop: Header=BB10_1874 Depth=3
	v_bfe_u32 v21, v39, 16, 1
	v_add3_u32 v21, v39, v21, s65
                                        ; implicit-def: $vgpr39
; %bb.2016:                             ;   in Loop: Header=BB10_1874 Depth=3
	s_andn2_saveexec_b64 s[42:43], s[42:43]
; %bb.2017:                             ;   in Loop: Header=BB10_1874 Depth=3
	v_or_b32_e32 v21, 0x10000, v39
	v_cmp_eq_u32_sdwa vcc, v39, v2 src0_sel:WORD_0 src1_sel:DWORD
	v_cndmask_b32_e32 v21, v21, v39, vcc
; %bb.2018:                             ;   in Loop: Header=BB10_1874 Depth=3
	s_or_b64 exec, exec, s[42:43]
	v_and_b32_e32 v32, 0xffff0000, v41
	v_lshlrev_b32_e32 v33, 16, v22
	v_add_f32_e32 v40, v32, v33
	v_and_b32_e32 v32, 0x7f800000, v40
	v_cmp_ne_u32_e32 vcc, s64, v32
                                        ; implicit-def: $vgpr39
	s_and_saveexec_b64 s[42:43], vcc
	s_xor_b64 s[42:43], exec, s[42:43]
; %bb.2019:                             ;   in Loop: Header=BB10_1874 Depth=3
	v_bfe_u32 v32, v40, 16, 1
	v_add3_u32 v39, v40, v32, s65
                                        ; implicit-def: $vgpr40
; %bb.2020:                             ;   in Loop: Header=BB10_1874 Depth=3
	s_andn2_saveexec_b64 s[42:43], s[42:43]
; %bb.2021:                             ;   in Loop: Header=BB10_1874 Depth=3
	v_or_b32_e32 v32, 0x10000, v40
	v_cmp_eq_u32_sdwa vcc, v40, v2 src0_sel:WORD_0 src1_sel:DWORD
	v_cndmask_b32_e32 v39, v32, v40, vcc
; %bb.2022:                             ;   in Loop: Header=BB10_1874 Depth=3
	s_or_b64 exec, exec, s[42:43]
	v_and_b32_e32 v22, 0xffff0000, v22
	v_and_b32_e32 v32, 0xffff0000, v46
	v_add_f32_e32 v40, v32, v22
	v_and_b32_e32 v22, 0x7f800000, v40
	v_cmp_ne_u32_e32 vcc, s64, v22
                                        ; implicit-def: $vgpr22
	s_and_saveexec_b64 s[42:43], vcc
	s_xor_b64 s[42:43], exec, s[42:43]
; %bb.2023:                             ;   in Loop: Header=BB10_1874 Depth=3
	v_bfe_u32 v22, v40, 16, 1
	v_add3_u32 v22, v40, v22, s65
                                        ; implicit-def: $vgpr40
; %bb.2024:                             ;   in Loop: Header=BB10_1874 Depth=3
	s_andn2_saveexec_b64 s[42:43], s[42:43]
; %bb.2025:                             ;   in Loop: Header=BB10_1874 Depth=3
	v_or_b32_e32 v22, 0x10000, v40
	v_cmp_eq_u32_sdwa vcc, v40, v2 src0_sel:WORD_0 src1_sel:DWORD
	v_cndmask_b32_e32 v22, v22, v40, vcc
; %bb.2026:                             ;   in Loop: Header=BB10_1874 Depth=3
	s_or_b64 exec, exec, s[42:43]
	v_and_b32_e32 v32, 0xffff0000, v59
	v_lshlrev_b32_e32 v33, 16, v23
	v_add_f32_e32 v41, v32, v33
	v_and_b32_e32 v32, 0x7f800000, v41
	v_cmp_ne_u32_e32 vcc, s64, v32
                                        ; implicit-def: $vgpr40
	s_and_saveexec_b64 s[42:43], vcc
	s_xor_b64 s[42:43], exec, s[42:43]
; %bb.2027:                             ;   in Loop: Header=BB10_1874 Depth=3
	v_bfe_u32 v32, v41, 16, 1
	v_add3_u32 v40, v41, v32, s65
                                        ; implicit-def: $vgpr41
; %bb.2028:                             ;   in Loop: Header=BB10_1874 Depth=3
	s_andn2_saveexec_b64 s[42:43], s[42:43]
; %bb.2029:                             ;   in Loop: Header=BB10_1874 Depth=3
	v_or_b32_e32 v32, 0x10000, v41
	v_cmp_eq_u32_sdwa vcc, v41, v2 src0_sel:WORD_0 src1_sel:DWORD
	v_cndmask_b32_e32 v40, v32, v41, vcc
; %bb.2030:                             ;   in Loop: Header=BB10_1874 Depth=3
	s_or_b64 exec, exec, s[42:43]
	v_and_b32_e32 v23, 0xffff0000, v23
	v_and_b32_e32 v32, 0xffff0000, v42
	v_add_f32_e32 v41, v32, v23
	v_and_b32_e32 v23, 0x7f800000, v41
	v_cmp_ne_u32_e32 vcc, s64, v23
                                        ; implicit-def: $vgpr23
	s_and_saveexec_b64 s[42:43], vcc
	s_xor_b64 s[42:43], exec, s[42:43]
; %bb.2031:                             ;   in Loop: Header=BB10_1874 Depth=3
	v_bfe_u32 v23, v41, 16, 1
	v_add3_u32 v23, v41, v23, s65
                                        ; implicit-def: $vgpr41
; %bb.2032:                             ;   in Loop: Header=BB10_1874 Depth=3
	s_andn2_saveexec_b64 s[42:43], s[42:43]
; %bb.2033:                             ;   in Loop: Header=BB10_1874 Depth=3
	v_or_b32_e32 v23, 0x10000, v41
	v_cmp_eq_u32_sdwa vcc, v41, v2 src0_sel:WORD_0 src1_sel:DWORD
	v_cndmask_b32_e32 v23, v23, v41, vcc
; %bb.2034:                             ;   in Loop: Header=BB10_1874 Depth=3
	s_or_b64 exec, exec, s[42:43]
	v_and_b32_e32 v32, 0xffff0000, v58
	s_waitcnt vmcnt(2)
	v_lshlrev_b32_e32 v33, 16, v16
	v_add_f32_e32 v42, v32, v33
	v_and_b32_e32 v32, 0x7f800000, v42
	v_cmp_ne_u32_e32 vcc, s64, v32
                                        ; implicit-def: $vgpr41
	s_and_saveexec_b64 s[42:43], vcc
	s_xor_b64 s[42:43], exec, s[42:43]
; %bb.2035:                             ;   in Loop: Header=BB10_1874 Depth=3
	v_bfe_u32 v32, v42, 16, 1
	v_add3_u32 v41, v42, v32, s65
                                        ; implicit-def: $vgpr42
; %bb.2036:                             ;   in Loop: Header=BB10_1874 Depth=3
	s_andn2_saveexec_b64 s[42:43], s[42:43]
; %bb.2037:                             ;   in Loop: Header=BB10_1874 Depth=3
	v_or_b32_e32 v32, 0x10000, v42
	v_cmp_eq_u32_sdwa vcc, v42, v2 src0_sel:WORD_0 src1_sel:DWORD
	v_cndmask_b32_e32 v41, v32, v42, vcc
; %bb.2038:                             ;   in Loop: Header=BB10_1874 Depth=3
	s_or_b64 exec, exec, s[42:43]
	v_and_b32_e32 v16, 0xffff0000, v16
	v_and_b32_e32 v32, 0xffff0000, v50
	v_add_f32_e32 v50, v32, v16
	v_and_b32_e32 v16, 0x7f800000, v50
	v_cmp_ne_u32_e32 vcc, s64, v16
                                        ; implicit-def: $vgpr16
	s_and_saveexec_b64 s[42:43], vcc
	s_xor_b64 s[42:43], exec, s[42:43]
; %bb.2039:                             ;   in Loop: Header=BB10_1874 Depth=3
	v_bfe_u32 v16, v50, 16, 1
	v_add3_u32 v16, v50, v16, s65
                                        ; implicit-def: $vgpr50
; %bb.2040:                             ;   in Loop: Header=BB10_1874 Depth=3
	s_andn2_saveexec_b64 s[42:43], s[42:43]
; %bb.2041:                             ;   in Loop: Header=BB10_1874 Depth=3
	v_or_b32_e32 v16, 0x10000, v50
	v_cmp_eq_u32_sdwa vcc, v50, v2 src0_sel:WORD_0 src1_sel:DWORD
	v_cndmask_b32_e32 v16, v16, v50, vcc
; %bb.2042:                             ;   in Loop: Header=BB10_1874 Depth=3
	s_or_b64 exec, exec, s[42:43]
	v_and_b32_e32 v32, 0xffff0000, v51
	v_lshlrev_b32_e32 v33, 16, v17
	v_add_f32_e32 v51, v32, v33
	v_and_b32_e32 v32, 0x7f800000, v51
	v_cmp_ne_u32_e32 vcc, s64, v32
                                        ; implicit-def: $vgpr50
	s_and_saveexec_b64 s[42:43], vcc
	s_xor_b64 s[42:43], exec, s[42:43]
; %bb.2043:                             ;   in Loop: Header=BB10_1874 Depth=3
	v_bfe_u32 v32, v51, 16, 1
	v_add3_u32 v50, v51, v32, s65
                                        ; implicit-def: $vgpr51
; %bb.2044:                             ;   in Loop: Header=BB10_1874 Depth=3
	s_andn2_saveexec_b64 s[42:43], s[42:43]
; %bb.2045:                             ;   in Loop: Header=BB10_1874 Depth=3
	v_or_b32_e32 v32, 0x10000, v51
	v_cmp_eq_u32_sdwa vcc, v51, v2 src0_sel:WORD_0 src1_sel:DWORD
	v_cndmask_b32_e32 v50, v32, v51, vcc
; %bb.2046:                             ;   in Loop: Header=BB10_1874 Depth=3
	s_or_b64 exec, exec, s[42:43]
	v_and_b32_e32 v17, 0xffff0000, v17
	v_and_b32_e32 v26, 0xffff0000, v26
	v_add_f32_e32 v26, v26, v17
	v_and_b32_e32 v17, 0x7f800000, v26
	v_cmp_ne_u32_e32 vcc, s64, v17
                                        ; implicit-def: $vgpr17
	s_and_saveexec_b64 s[42:43], vcc
	s_xor_b64 s[42:43], exec, s[42:43]
; %bb.2047:                             ;   in Loop: Header=BB10_1874 Depth=3
	v_bfe_u32 v17, v26, 16, 1
	v_add3_u32 v17, v26, v17, s65
                                        ; implicit-def: $vgpr26
; %bb.2048:                             ;   in Loop: Header=BB10_1874 Depth=3
	s_andn2_saveexec_b64 s[42:43], s[42:43]
; %bb.2049:                             ;   in Loop: Header=BB10_1874 Depth=3
	v_or_b32_e32 v17, 0x10000, v26
	v_cmp_eq_u32_sdwa vcc, v26, v2 src0_sel:WORD_0 src1_sel:DWORD
	v_cndmask_b32_e32 v17, v17, v26, vcc
; %bb.2050:                             ;   in Loop: Header=BB10_1874 Depth=3
	s_or_b64 exec, exec, s[42:43]
	v_and_b32_e32 v26, 0xffff0000, v27
	v_lshlrev_b32_e32 v27, 16, v18
	v_add_f32_e32 v27, v26, v27
	v_and_b32_e32 v26, 0x7f800000, v27
	v_cmp_ne_u32_e32 vcc, s64, v26
                                        ; implicit-def: $vgpr26
	s_and_saveexec_b64 s[42:43], vcc
	s_xor_b64 s[42:43], exec, s[42:43]
; %bb.2051:                             ;   in Loop: Header=BB10_1874 Depth=3
	v_bfe_u32 v26, v27, 16, 1
	v_add3_u32 v26, v27, v26, s65
                                        ; implicit-def: $vgpr27
; %bb.2052:                             ;   in Loop: Header=BB10_1874 Depth=3
	s_andn2_saveexec_b64 s[42:43], s[42:43]
; %bb.2053:                             ;   in Loop: Header=BB10_1874 Depth=3
	v_or_b32_e32 v26, 0x10000, v27
	v_cmp_eq_u32_sdwa vcc, v27, v2 src0_sel:WORD_0 src1_sel:DWORD
	v_cndmask_b32_e32 v26, v26, v27, vcc
; %bb.2054:                             ;   in Loop: Header=BB10_1874 Depth=3
	s_or_b64 exec, exec, s[42:43]
	v_and_b32_e32 v18, 0xffff0000, v18
	v_and_b32_e32 v27, 0xffff0000, v44
	v_add_f32_e32 v27, v27, v18
	v_and_b32_e32 v18, 0x7f800000, v27
	v_cmp_ne_u32_e32 vcc, s64, v18
                                        ; implicit-def: $vgpr18
	s_and_saveexec_b64 s[42:43], vcc
	s_xor_b64 s[42:43], exec, s[42:43]
; %bb.2055:                             ;   in Loop: Header=BB10_1874 Depth=3
	v_bfe_u32 v18, v27, 16, 1
	v_add3_u32 v18, v27, v18, s65
                                        ; implicit-def: $vgpr27
; %bb.2056:                             ;   in Loop: Header=BB10_1874 Depth=3
	s_andn2_saveexec_b64 s[42:43], s[42:43]
; %bb.2057:                             ;   in Loop: Header=BB10_1874 Depth=3
	v_or_b32_e32 v18, 0x10000, v27
	v_cmp_eq_u32_sdwa vcc, v27, v2 src0_sel:WORD_0 src1_sel:DWORD
	v_cndmask_b32_e32 v18, v18, v27, vcc
; %bb.2058:                             ;   in Loop: Header=BB10_1874 Depth=3
	s_or_b64 exec, exec, s[42:43]
	v_and_b32_e32 v4, 0xffff0000, v4
	v_lshlrev_b32_e32 v27, 16, v19
	v_add_f32_e32 v27, v4, v27
	v_and_b32_e32 v4, 0x7f800000, v27
	v_cmp_ne_u32_e32 vcc, s64, v4
                                        ; implicit-def: $vgpr4
	s_and_saveexec_b64 s[42:43], vcc
	s_xor_b64 s[42:43], exec, s[42:43]
; %bb.2059:                             ;   in Loop: Header=BB10_1874 Depth=3
	v_bfe_u32 v4, v27, 16, 1
	v_add3_u32 v4, v27, v4, s65
                                        ; implicit-def: $vgpr27
; %bb.2060:                             ;   in Loop: Header=BB10_1874 Depth=3
	s_andn2_saveexec_b64 s[42:43], s[42:43]
; %bb.2061:                             ;   in Loop: Header=BB10_1874 Depth=3
	v_or_b32_e32 v4, 0x10000, v27
	v_cmp_eq_u32_sdwa vcc, v27, v2 src0_sel:WORD_0 src1_sel:DWORD
	v_cndmask_b32_e32 v4, v4, v27, vcc
; %bb.2062:                             ;   in Loop: Header=BB10_1874 Depth=3
	s_or_b64 exec, exec, s[42:43]
	v_and_b32_e32 v19, 0xffff0000, v19
	v_and_b32_e32 v27, 0xffff0000, v61
	v_add_f32_e32 v27, v27, v19
	v_and_b32_e32 v19, 0x7f800000, v27
	v_cmp_ne_u32_e32 vcc, s64, v19
                                        ; implicit-def: $vgpr19
	s_and_saveexec_b64 s[42:43], vcc
	s_xor_b64 s[42:43], exec, s[42:43]
; %bb.2063:                             ;   in Loop: Header=BB10_1874 Depth=3
	v_bfe_u32 v19, v27, 16, 1
	v_add3_u32 v19, v27, v19, s65
                                        ; implicit-def: $vgpr27
; %bb.2064:                             ;   in Loop: Header=BB10_1874 Depth=3
	s_andn2_saveexec_b64 s[42:43], s[42:43]
; %bb.2065:                             ;   in Loop: Header=BB10_1874 Depth=3
	v_or_b32_e32 v19, 0x10000, v27
	v_cmp_eq_u32_sdwa vcc, v27, v2 src0_sel:WORD_0 src1_sel:DWORD
	v_cndmask_b32_e32 v19, v19, v27, vcc
; %bb.2066:                             ;   in Loop: Header=BB10_1874 Depth=3
	s_or_b64 exec, exec, s[42:43]
	v_and_b32_e32 v5, 0xffff0000, v5
	s_waitcnt vmcnt(1)
	v_lshlrev_b32_e32 v27, 16, v12
	v_add_f32_e32 v27, v5, v27
	v_and_b32_e32 v5, 0x7f800000, v27
	v_cmp_ne_u32_e32 vcc, s64, v5
                                        ; implicit-def: $vgpr5
	s_and_saveexec_b64 s[42:43], vcc
	s_xor_b64 s[42:43], exec, s[42:43]
; %bb.2067:                             ;   in Loop: Header=BB10_1874 Depth=3
	v_bfe_u32 v5, v27, 16, 1
	v_add3_u32 v5, v27, v5, s65
                                        ; implicit-def: $vgpr27
; %bb.2068:                             ;   in Loop: Header=BB10_1874 Depth=3
	s_andn2_saveexec_b64 s[42:43], s[42:43]
; %bb.2069:                             ;   in Loop: Header=BB10_1874 Depth=3
	v_or_b32_e32 v5, 0x10000, v27
	v_cmp_eq_u32_sdwa vcc, v27, v2 src0_sel:WORD_0 src1_sel:DWORD
	v_cndmask_b32_e32 v5, v5, v27, vcc
; %bb.2070:                             ;   in Loop: Header=BB10_1874 Depth=3
	s_or_b64 exec, exec, s[42:43]
	v_and_b32_e32 v12, 0xffff0000, v12
	v_and_b32_e32 v27, 0xffff0000, v57
	v_add_f32_e32 v27, v27, v12
	v_and_b32_e32 v12, 0x7f800000, v27
	v_cmp_ne_u32_e32 vcc, s64, v12
                                        ; implicit-def: $vgpr12
	s_and_saveexec_b64 s[42:43], vcc
	s_xor_b64 s[42:43], exec, s[42:43]
; %bb.2071:                             ;   in Loop: Header=BB10_1874 Depth=3
	v_bfe_u32 v12, v27, 16, 1
	v_add3_u32 v12, v27, v12, s65
                                        ; implicit-def: $vgpr27
; %bb.2072:                             ;   in Loop: Header=BB10_1874 Depth=3
	s_andn2_saveexec_b64 s[42:43], s[42:43]
; %bb.2073:                             ;   in Loop: Header=BB10_1874 Depth=3
	v_or_b32_e32 v12, 0x10000, v27
	v_cmp_eq_u32_sdwa vcc, v27, v2 src0_sel:WORD_0 src1_sel:DWORD
	v_cndmask_b32_e32 v12, v12, v27, vcc
; %bb.2074:                             ;   in Loop: Header=BB10_1874 Depth=3
	s_or_b64 exec, exec, s[42:43]
	v_and_b32_e32 v27, 0xffff0000, v60
	v_lshlrev_b32_e32 v32, 16, v13
	v_add_f32_e32 v51, v27, v32
	v_and_b32_e32 v27, 0x7f800000, v51
	v_cmp_ne_u32_e32 vcc, s64, v27
                                        ; implicit-def: $vgpr27
	s_and_saveexec_b64 s[42:43], vcc
	s_xor_b64 s[42:43], exec, s[42:43]
; %bb.2075:                             ;   in Loop: Header=BB10_1874 Depth=3
	v_bfe_u32 v27, v51, 16, 1
	v_add3_u32 v27, v51, v27, s65
                                        ; implicit-def: $vgpr51
; %bb.2076:                             ;   in Loop: Header=BB10_1874 Depth=3
	s_andn2_saveexec_b64 s[42:43], s[42:43]
; %bb.2077:                             ;   in Loop: Header=BB10_1874 Depth=3
	v_or_b32_e32 v27, 0x10000, v51
	v_cmp_eq_u32_sdwa vcc, v51, v2 src0_sel:WORD_0 src1_sel:DWORD
	v_cndmask_b32_e32 v27, v27, v51, vcc
; %bb.2078:                             ;   in Loop: Header=BB10_1874 Depth=3
	s_or_b64 exec, exec, s[42:43]
	v_and_b32_e32 v13, 0xffff0000, v13
	v_and_b32_e32 v32, 0xffff0000, v34
	v_add_f32_e32 v34, v32, v13
	v_and_b32_e32 v13, 0x7f800000, v34
	v_cmp_ne_u32_e32 vcc, s64, v13
                                        ; implicit-def: $vgpr13
	s_and_saveexec_b64 s[42:43], vcc
	s_xor_b64 s[42:43], exec, s[42:43]
; %bb.2079:                             ;   in Loop: Header=BB10_1874 Depth=3
	v_bfe_u32 v13, v34, 16, 1
	v_add3_u32 v13, v34, v13, s65
                                        ; implicit-def: $vgpr34
; %bb.2080:                             ;   in Loop: Header=BB10_1874 Depth=3
	s_andn2_saveexec_b64 s[42:43], s[42:43]
; %bb.2081:                             ;   in Loop: Header=BB10_1874 Depth=3
	v_or_b32_e32 v13, 0x10000, v34
	v_cmp_eq_u32_sdwa vcc, v34, v2 src0_sel:WORD_0 src1_sel:DWORD
	v_cndmask_b32_e32 v13, v13, v34, vcc
; %bb.2082:                             ;   in Loop: Header=BB10_1874 Depth=3
	s_or_b64 exec, exec, s[42:43]
	v_and_b32_e32 v32, 0xffff0000, v35
	v_lshlrev_b32_e32 v33, 16, v14
	v_add_f32_e32 v35, v32, v33
	v_and_b32_e32 v32, 0x7f800000, v35
	v_cmp_ne_u32_e32 vcc, s64, v32
                                        ; implicit-def: $vgpr34
	s_and_saveexec_b64 s[42:43], vcc
	s_xor_b64 s[42:43], exec, s[42:43]
; %bb.2083:                             ;   in Loop: Header=BB10_1874 Depth=3
	v_bfe_u32 v32, v35, 16, 1
	v_add3_u32 v34, v35, v32, s65
                                        ; implicit-def: $vgpr35
; %bb.2084:                             ;   in Loop: Header=BB10_1874 Depth=3
	s_andn2_saveexec_b64 s[42:43], s[42:43]
; %bb.2085:                             ;   in Loop: Header=BB10_1874 Depth=3
	v_or_b32_e32 v32, 0x10000, v35
	v_cmp_eq_u32_sdwa vcc, v35, v2 src0_sel:WORD_0 src1_sel:DWORD
	v_cndmask_b32_e32 v34, v32, v35, vcc
; %bb.2086:                             ;   in Loop: Header=BB10_1874 Depth=3
	s_or_b64 exec, exec, s[42:43]
	v_and_b32_e32 v14, 0xffff0000, v14
	v_and_b32_e32 v32, 0xffff0000, v45
	v_add_f32_e32 v35, v32, v14
	v_and_b32_e32 v14, 0x7f800000, v35
	v_cmp_ne_u32_e32 vcc, s64, v14
                                        ; implicit-def: $vgpr14
	s_and_saveexec_b64 s[42:43], vcc
	s_xor_b64 s[42:43], exec, s[42:43]
; %bb.2087:                             ;   in Loop: Header=BB10_1874 Depth=3
	v_bfe_u32 v14, v35, 16, 1
	v_add3_u32 v14, v35, v14, s65
                                        ; implicit-def: $vgpr35
; %bb.2088:                             ;   in Loop: Header=BB10_1874 Depth=3
	s_andn2_saveexec_b64 s[42:43], s[42:43]
; %bb.2089:                             ;   in Loop: Header=BB10_1874 Depth=3
	v_or_b32_e32 v14, 0x10000, v35
	v_cmp_eq_u32_sdwa vcc, v35, v2 src0_sel:WORD_0 src1_sel:DWORD
	v_cndmask_b32_e32 v14, v14, v35, vcc
; %bb.2090:                             ;   in Loop: Header=BB10_1874 Depth=3
	s_or_b64 exec, exec, s[42:43]
	v_and_b32_e32 v32, 0xffff0000, v47
	v_lshlrev_b32_e32 v33, 16, v15
	v_add_f32_e32 v51, v32, v33
	v_and_b32_e32 v32, 0x7f800000, v51
	v_cmp_ne_u32_e32 vcc, s64, v32
                                        ; implicit-def: $vgpr35
	s_and_saveexec_b64 s[42:43], vcc
	s_xor_b64 s[42:43], exec, s[42:43]
; %bb.2091:                             ;   in Loop: Header=BB10_1874 Depth=3
	v_bfe_u32 v32, v51, 16, 1
	v_add3_u32 v35, v51, v32, s65
                                        ; implicit-def: $vgpr51
; %bb.2092:                             ;   in Loop: Header=BB10_1874 Depth=3
	s_andn2_saveexec_b64 s[42:43], s[42:43]
; %bb.2093:                             ;   in Loop: Header=BB10_1874 Depth=3
	v_or_b32_e32 v32, 0x10000, v51
	v_cmp_eq_u32_sdwa vcc, v51, v2 src0_sel:WORD_0 src1_sel:DWORD
	v_cndmask_b32_e32 v35, v32, v51, vcc
; %bb.2094:                             ;   in Loop: Header=BB10_1874 Depth=3
	s_or_b64 exec, exec, s[42:43]
	v_and_b32_e32 v15, 0xffff0000, v15
	v_and_b32_e32 v32, 0xffff0000, v55
	v_add_f32_e32 v51, v32, v15
	v_and_b32_e32 v15, 0x7f800000, v51
	v_cmp_ne_u32_e32 vcc, s64, v15
                                        ; implicit-def: $vgpr15
	s_and_saveexec_b64 s[42:43], vcc
	s_xor_b64 s[42:43], exec, s[42:43]
; %bb.2095:                             ;   in Loop: Header=BB10_1874 Depth=3
	v_bfe_u32 v15, v51, 16, 1
	v_add3_u32 v15, v51, v15, s65
                                        ; implicit-def: $vgpr51
; %bb.2096:                             ;   in Loop: Header=BB10_1874 Depth=3
	s_andn2_saveexec_b64 s[42:43], s[42:43]
; %bb.2097:                             ;   in Loop: Header=BB10_1874 Depth=3
	v_or_b32_e32 v15, 0x10000, v51
	v_cmp_eq_u32_sdwa vcc, v51, v2 src0_sel:WORD_0 src1_sel:DWORD
	v_cndmask_b32_e32 v15, v15, v51, vcc
; %bb.2098:                             ;   in Loop: Header=BB10_1874 Depth=3
	s_or_b64 exec, exec, s[42:43]
	v_and_b32_e32 v32, 0xffff0000, v43
	s_waitcnt vmcnt(0)
	v_lshlrev_b32_e32 v33, 16, v8
	v_add_f32_e32 v55, v32, v33
	v_and_b32_e32 v32, 0x7f800000, v55
	v_cmp_ne_u32_e32 vcc, s64, v32
                                        ; implicit-def: $vgpr51
	s_and_saveexec_b64 s[42:43], vcc
	s_xor_b64 s[42:43], exec, s[42:43]
; %bb.2099:                             ;   in Loop: Header=BB10_1874 Depth=3
	v_bfe_u32 v32, v55, 16, 1
	v_add3_u32 v51, v55, v32, s65
                                        ; implicit-def: $vgpr55
; %bb.2100:                             ;   in Loop: Header=BB10_1874 Depth=3
	s_andn2_saveexec_b64 s[42:43], s[42:43]
; %bb.2101:                             ;   in Loop: Header=BB10_1874 Depth=3
	v_or_b32_e32 v32, 0x10000, v55
	v_cmp_eq_u32_sdwa vcc, v55, v2 src0_sel:WORD_0 src1_sel:DWORD
	v_cndmask_b32_e32 v51, v32, v55, vcc
; %bb.2102:                             ;   in Loop: Header=BB10_1874 Depth=3
	s_or_b64 exec, exec, s[42:43]
	v_and_b32_e32 v8, 0xffff0000, v8
	v_and_b32_e32 v32, 0xffff0000, v53
	v_add_f32_e32 v53, v32, v8
	v_and_b32_e32 v8, 0x7f800000, v53
	v_cmp_ne_u32_e32 vcc, s64, v8
                                        ; implicit-def: $vgpr8
	s_and_saveexec_b64 s[42:43], vcc
	s_xor_b64 s[42:43], exec, s[42:43]
; %bb.2103:                             ;   in Loop: Header=BB10_1874 Depth=3
	v_bfe_u32 v8, v53, 16, 1
	v_add3_u32 v8, v53, v8, s65
                                        ; implicit-def: $vgpr53
; %bb.2104:                             ;   in Loop: Header=BB10_1874 Depth=3
	s_andn2_saveexec_b64 s[42:43], s[42:43]
; %bb.2105:                             ;   in Loop: Header=BB10_1874 Depth=3
	v_or_b32_e32 v8, 0x10000, v53
	v_cmp_eq_u32_sdwa vcc, v53, v2 src0_sel:WORD_0 src1_sel:DWORD
	v_cndmask_b32_e32 v8, v8, v53, vcc
; %bb.2106:                             ;   in Loop: Header=BB10_1874 Depth=3
	s_or_b64 exec, exec, s[42:43]
	v_and_b32_e32 v32, 0xffff0000, v54
	v_lshlrev_b32_e32 v33, 16, v9
	v_add_f32_e32 v54, v32, v33
	v_and_b32_e32 v32, 0x7f800000, v54
	v_cmp_ne_u32_e32 vcc, s64, v32
                                        ; implicit-def: $vgpr53
	s_and_saveexec_b64 s[42:43], vcc
	s_xor_b64 s[42:43], exec, s[42:43]
; %bb.2107:                             ;   in Loop: Header=BB10_1874 Depth=3
	v_bfe_u32 v32, v54, 16, 1
	v_add3_u32 v53, v54, v32, s65
                                        ; implicit-def: $vgpr54
; %bb.2108:                             ;   in Loop: Header=BB10_1874 Depth=3
	s_andn2_saveexec_b64 s[42:43], s[42:43]
; %bb.2109:                             ;   in Loop: Header=BB10_1874 Depth=3
	v_or_b32_e32 v32, 0x10000, v54
	v_cmp_eq_u32_sdwa vcc, v54, v2 src0_sel:WORD_0 src1_sel:DWORD
	v_cndmask_b32_e32 v53, v32, v54, vcc
; %bb.2110:                             ;   in Loop: Header=BB10_1874 Depth=3
	s_or_b64 exec, exec, s[42:43]
	v_and_b32_e32 v9, 0xffff0000, v9
	v_and_b32_e32 v32, 0xffff0000, v37
	v_add_f32_e32 v37, v32, v9
	v_and_b32_e32 v9, 0x7f800000, v37
	v_cmp_ne_u32_e32 vcc, s64, v9
                                        ; implicit-def: $vgpr9
	s_and_saveexec_b64 s[42:43], vcc
	s_xor_b64 s[42:43], exec, s[42:43]
; %bb.2111:                             ;   in Loop: Header=BB10_1874 Depth=3
	v_bfe_u32 v9, v37, 16, 1
	v_add3_u32 v9, v37, v9, s65
                                        ; implicit-def: $vgpr37
; %bb.2112:                             ;   in Loop: Header=BB10_1874 Depth=3
	s_andn2_saveexec_b64 s[42:43], s[42:43]
; %bb.2113:                             ;   in Loop: Header=BB10_1874 Depth=3
	v_or_b32_e32 v9, 0x10000, v37
	v_cmp_eq_u32_sdwa vcc, v37, v2 src0_sel:WORD_0 src1_sel:DWORD
	v_cndmask_b32_e32 v9, v9, v37, vcc
; %bb.2114:                             ;   in Loop: Header=BB10_1874 Depth=3
	s_or_b64 exec, exec, s[42:43]
	v_and_b32_e32 v32, 0xffff0000, v52
	v_lshlrev_b32_e32 v33, 16, v10
	v_add_f32_e32 v52, v32, v33
	v_and_b32_e32 v32, 0x7f800000, v52
	v_cmp_ne_u32_e32 vcc, s64, v32
                                        ; implicit-def: $vgpr37
	s_and_saveexec_b64 s[42:43], vcc
	s_xor_b64 s[42:43], exec, s[42:43]
; %bb.2115:                             ;   in Loop: Header=BB10_1874 Depth=3
	v_bfe_u32 v32, v52, 16, 1
	v_add3_u32 v37, v52, v32, s65
                                        ; implicit-def: $vgpr52
; %bb.2116:                             ;   in Loop: Header=BB10_1874 Depth=3
	s_andn2_saveexec_b64 s[42:43], s[42:43]
; %bb.2117:                             ;   in Loop: Header=BB10_1874 Depth=3
	v_or_b32_e32 v32, 0x10000, v52
	v_cmp_eq_u32_sdwa vcc, v52, v2 src0_sel:WORD_0 src1_sel:DWORD
	v_cndmask_b32_e32 v37, v32, v52, vcc
; %bb.2118:                             ;   in Loop: Header=BB10_1874 Depth=3
	s_or_b64 exec, exec, s[42:43]
	v_and_b32_e32 v10, 0xffff0000, v10
	v_and_b32_e32 v7, 0xffff0000, v7
	v_add_f32_e32 v10, v7, v10
	v_and_b32_e32 v7, 0x7f800000, v10
	v_cmp_ne_u32_e32 vcc, s64, v7
                                        ; implicit-def: $vgpr7
	s_and_saveexec_b64 s[42:43], vcc
	s_xor_b64 s[42:43], exec, s[42:43]
; %bb.2119:                             ;   in Loop: Header=BB10_1874 Depth=3
	v_bfe_u32 v7, v10, 16, 1
	v_add3_u32 v7, v10, v7, s65
                                        ; implicit-def: $vgpr10
; %bb.2120:                             ;   in Loop: Header=BB10_1874 Depth=3
	s_andn2_saveexec_b64 s[42:43], s[42:43]
; %bb.2121:                             ;   in Loop: Header=BB10_1874 Depth=3
	v_or_b32_e32 v7, 0x10000, v10
	v_cmp_eq_u32_sdwa vcc, v10, v2 src0_sel:WORD_0 src1_sel:DWORD
	v_cndmask_b32_e32 v7, v7, v10, vcc
; %bb.2122:                             ;   in Loop: Header=BB10_1874 Depth=3
	s_or_b64 exec, exec, s[42:43]
	v_and_b32_e32 v10, 0xffff0000, v36
	v_lshlrev_b32_e32 v32, 16, v11
	v_add_f32_e32 v36, v10, v32
	v_and_b32_e32 v10, 0x7f800000, v36
	v_cmp_ne_u32_e32 vcc, s64, v10
                                        ; implicit-def: $vgpr10
	s_and_saveexec_b64 s[42:43], vcc
	s_xor_b64 s[42:43], exec, s[42:43]
; %bb.2123:                             ;   in Loop: Header=BB10_1874 Depth=3
	v_bfe_u32 v10, v36, 16, 1
	v_add3_u32 v10, v36, v10, s65
                                        ; implicit-def: $vgpr36
; %bb.2124:                             ;   in Loop: Header=BB10_1874 Depth=3
	s_andn2_saveexec_b64 s[42:43], s[42:43]
; %bb.2125:                             ;   in Loop: Header=BB10_1874 Depth=3
	v_or_b32_e32 v10, 0x10000, v36
	v_cmp_eq_u32_sdwa vcc, v36, v2 src0_sel:WORD_0 src1_sel:DWORD
	v_cndmask_b32_e32 v10, v10, v36, vcc
; %bb.2126:                             ;   in Loop: Header=BB10_1874 Depth=3
	s_or_b64 exec, exec, s[42:43]
	v_and_b32_e32 v11, 0xffff0000, v11
	v_and_b32_e32 v6, 0xffff0000, v6
	v_add_f32_e32 v11, v6, v11
	v_and_b32_e32 v6, 0x7f800000, v11
	v_cmp_ne_u32_e32 vcc, s64, v6
                                        ; implicit-def: $vgpr6
	s_and_saveexec_b64 s[42:43], vcc
	s_xor_b64 s[42:43], exec, s[42:43]
; %bb.2127:                             ;   in Loop: Header=BB10_1874 Depth=3
	v_bfe_u32 v6, v11, 16, 1
	v_add3_u32 v6, v11, v6, s65
                                        ; implicit-def: $vgpr11
; %bb.2128:                             ;   in Loop: Header=BB10_1874 Depth=3
	s_andn2_saveexec_b64 s[42:43], s[42:43]
	s_cbranch_execz .LBB10_1873
; %bb.2129:                             ;   in Loop: Header=BB10_1874 Depth=3
	v_or_b32_e32 v6, 0x10000, v11
	v_cmp_eq_u32_sdwa vcc, v11, v2 src0_sel:WORD_0 src1_sel:DWORD
	v_cndmask_b32_e32 v6, v6, v11, vcc
	s_branch .LBB10_1873
.LBB10_2130:                            ;   in Loop: Header=BB10_1303 Depth=2
	s_or_b64 exec, exec, s[40:41]
	buffer_load_dword v6, off, s[0:3], s33 offset:232 ; 4-byte Folded Reload
	buffer_load_dword v1, off, s[0:3], s33 offset:220 ; 4-byte Folded Reload
.LBB10_2131:                            ;   in Loop: Header=BB10_1303 Depth=2
	s_or_b64 exec, exec, s[28:29]
	s_waitcnt vmcnt(0)
	v_lshlrev_b32_e32 v4, 12, v1
	v_cmp_ne_u32_e32 vcc, v6, v4
	s_mov_b64 s[42:43], 0
	v_mov_b32_e32 v0, 0
                                        ; implicit-def: $vgpr1
	s_and_saveexec_b64 s[40:41], vcc
	s_cbranch_execz .LBB10_2201
; %bb.2132:                             ;   in Loop: Header=BB10_1303 Depth=2
	buffer_load_dword v1, off, s[0:3], s33 offset:328 ; 4-byte Folded Reload
	v_lshlrev_b32_e32 v0, 6, v3
	v_sub_u32_e32 v5, v6, v4
	s_waitcnt vmcnt(0)
	v_sub_u32_e32 v0, v1, v0
	v_ashrrev_i32_e32 v1, 31, v0
	v_lshrrev_b32_e32 v1, 26, v1
	v_add_u32_e32 v1, v0, v1
	v_ashrrev_i32_e32 v8, 6, v1
	v_and_b32_e32 v1, 0xffffffc0, v1
	v_sub_u32_e32 v1, v0, v1
	v_lshlrev_b32_e32 v0, 4, v1
	v_lshl_add_u32 v7, v8, 10, v0
	v_ashrrev_i32_e32 v0, 31, v5
	v_lshrrev_b32_e32 v0, 22, v0
	v_add_u32_e32 v0, v5, v0
	v_ashrrev_i32_e32 v9, 10, v0
	v_and_b32_e32 v0, 0xfffffc00, v0
	v_sub_u32_e32 v3, v5, v0
	v_cmp_lt_i32_e32 vcc, 15, v3
	v_sub_u32_e32 v6, v5, v7
	v_addc_co_u32_e64 v5, s[28:29], 0, v9, vcc
	v_sub_u32_e32 v5, v5, v8
	v_cmp_lt_i32_e64 s[28:29], 15, v6
	s_and_saveexec_b64 s[42:43], s[28:29]
	s_cbranch_execz .LBB10_2200
; %bb.2133:                             ;   in Loop: Header=BB10_1303 Depth=2
	v_add_u32_e32 v9, v7, v4
	s_trap 2
	ds_read_b64 v[7:8], v0
	buffer_load_dword v12, off, s[0:3], s33 offset:240 ; 4-byte Folded Reload
	buffer_load_dword v13, off, s[0:3], s33 offset:244 ; 4-byte Folded Reload
	v_ashrrev_i32_e32 v10, 31, v9
	ds_read_b32 v11, v0
	s_mov_b64 s[90:91], 0
	s_waitcnt vmcnt(0)
	v_add_co_u32_e64 v12, s[28:29], v9, v12
	v_addc_co_u32_e64 v13, s[28:29], v10, v13, s[28:29]
	s_waitcnt lgkmcnt(0)
	v_add_co_u32_e64 v14, s[28:29], v7, v9
	v_addc_co_u32_e64 v15, s[28:29], v8, v10, s[28:29]
	buffer_load_dword v7, off, s[0:3], s33 offset:224 ; 4-byte Folded Reload
	buffer_load_dword v8, off, s[0:3], s33 offset:228 ; 4-byte Folded Reload
	s_waitcnt vmcnt(1)
	v_add_co_u32_e64 v16, s[28:29], v9, v7
	s_waitcnt vmcnt(0)
	v_addc_co_u32_e64 v17, s[28:29], v10, v8, s[28:29]
	v_lshlrev_b32_e32 v7, 16, v11
	s_branch .LBB10_2135
.LBB10_2134:                            ;   in Loop: Header=BB10_2135 Depth=3
	s_or_b64 exec, exec, s[92:93]
	v_lshrrev_b32_e32 v18, 16, v24
	v_and_or_b32 v9, v9, s66, v18
	v_lshrrev_b32_e32 v18, 16, v19
	v_and_or_b32 v8, v8, s66, v18
	;; [unrolled: 2-line block ×4, first 2 shown]
	global_store_dwordx4 v[16:17], v[8:11], off glc slc
	buffer_load_dword v8, off, s[0:3], s33 offset:136 ; 4-byte Folded Reload
	s_waitcnt vmcnt(0)
	v_add_co_u32_e64 v12, s[28:29], v12, v8
	v_addc_co_u32_e64 v13, s[28:29], 0, v13, s[28:29]
	v_add_co_u32_e64 v14, s[28:29], v14, v8
	v_addc_co_u32_e64 v15, s[28:29], 0, v15, s[28:29]
	v_add_co_u32_e64 v16, s[28:29], v16, v8
	v_sub_u32_e32 v6, v6, v8
	buffer_load_dword v8, off, s[0:3], s33 offset:88 ; 4-byte Folded Reload
	v_addc_co_u32_e64 v17, s[28:29], 0, v17, s[28:29]
	v_cmp_gt_i32_e64 s[28:29], 16, v6
	s_or_b64 s[90:91], s[28:29], s[90:91]
	s_waitcnt vmcnt(0)
	v_sub_u32_e32 v5, v5, v8
	s_andn2_b64 exec, exec, s[90:91]
	s_cbranch_execz .LBB10_2199
.LBB10_2135:                            ;   Parent Loop BB10_47 Depth=1
                                        ;     Parent Loop BB10_1303 Depth=2
                                        ; =>    This Inner Loop Header: Depth=3
	global_load_dwordx4 v[8:11], v[12:13], off glc slc
	s_waitcnt vmcnt(0)
	v_lshlrev_b32_e32 v18, 16, v8
	v_mul_f32_e32 v18, v7, v18
	v_and_b32_e32 v19, 0x7f800000, v18
	v_cmp_ne_u32_e64 s[28:29], s64, v19
                                        ; implicit-def: $vgpr19
	s_and_saveexec_b64 s[92:93], s[28:29]
	s_xor_b64 s[28:29], exec, s[92:93]
; %bb.2136:                             ;   in Loop: Header=BB10_2135 Depth=3
	v_bfe_u32 v19, v18, 16, 1
	v_add3_u32 v19, v18, v19, s65
                                        ; implicit-def: $vgpr18
; %bb.2137:                             ;   in Loop: Header=BB10_2135 Depth=3
	s_andn2_saveexec_b64 s[92:93], s[28:29]
; %bb.2138:                             ;   in Loop: Header=BB10_2135 Depth=3
	v_or_b32_e32 v19, 0x10000, v18
	v_cmp_eq_u32_sdwa s[28:29], v18, v2 src0_sel:WORD_0 src1_sel:DWORD
	v_cndmask_b32_e64 v19, v19, v18, s[28:29]
; %bb.2139:                             ;   in Loop: Header=BB10_2135 Depth=3
	s_or_b64 exec, exec, s[92:93]
	v_and_b32_e32 v8, 0xffff0000, v8
	v_mul_f32_e32 v8, v7, v8
	v_and_b32_e32 v18, 0x7f800000, v8
	v_cmp_ne_u32_e64 s[28:29], s64, v18
                                        ; implicit-def: $vgpr25
	s_and_saveexec_b64 s[92:93], s[28:29]
	s_xor_b64 s[28:29], exec, s[92:93]
; %bb.2140:                             ;   in Loop: Header=BB10_2135 Depth=3
	v_bfe_u32 v18, v8, 16, 1
	v_add3_u32 v25, v8, v18, s65
                                        ; implicit-def: $vgpr8
; %bb.2141:                             ;   in Loop: Header=BB10_2135 Depth=3
	s_andn2_saveexec_b64 s[92:93], s[28:29]
; %bb.2142:                             ;   in Loop: Header=BB10_2135 Depth=3
	v_or_b32_e32 v18, 0x10000, v8
	v_cmp_eq_u32_sdwa s[28:29], v8, v2 src0_sel:WORD_0 src1_sel:DWORD
	v_cndmask_b32_e64 v25, v18, v8, s[28:29]
; %bb.2143:                             ;   in Loop: Header=BB10_2135 Depth=3
	s_or_b64 exec, exec, s[92:93]
	v_lshlrev_b32_e32 v8, 16, v9
	v_mul_f32_e32 v8, v7, v8
	v_and_b32_e32 v18, 0x7f800000, v8
	v_cmp_ne_u32_e64 s[28:29], s64, v18
                                        ; implicit-def: $vgpr24
	s_and_saveexec_b64 s[92:93], s[28:29]
	s_xor_b64 s[28:29], exec, s[92:93]
; %bb.2144:                             ;   in Loop: Header=BB10_2135 Depth=3
	v_bfe_u32 v18, v8, 16, 1
	v_add3_u32 v24, v8, v18, s65
                                        ; implicit-def: $vgpr8
; %bb.2145:                             ;   in Loop: Header=BB10_2135 Depth=3
	s_andn2_saveexec_b64 s[92:93], s[28:29]
; %bb.2146:                             ;   in Loop: Header=BB10_2135 Depth=3
	v_or_b32_e32 v18, 0x10000, v8
	v_cmp_eq_u32_sdwa s[28:29], v8, v2 src0_sel:WORD_0 src1_sel:DWORD
	v_cndmask_b32_e64 v24, v18, v8, s[28:29]
; %bb.2147:                             ;   in Loop: Header=BB10_2135 Depth=3
	s_or_b64 exec, exec, s[92:93]
	v_and_b32_e32 v8, 0xffff0000, v9
	v_mul_f32_e32 v8, v7, v8
	v_and_b32_e32 v9, 0x7f800000, v8
	v_cmp_ne_u32_e64 s[28:29], s64, v9
                                        ; implicit-def: $vgpr23
	s_and_saveexec_b64 s[92:93], s[28:29]
	s_xor_b64 s[28:29], exec, s[92:93]
; %bb.2148:                             ;   in Loop: Header=BB10_2135 Depth=3
	v_bfe_u32 v9, v8, 16, 1
	v_add3_u32 v23, v8, v9, s65
                                        ; implicit-def: $vgpr8
; %bb.2149:                             ;   in Loop: Header=BB10_2135 Depth=3
	s_andn2_saveexec_b64 s[92:93], s[28:29]
; %bb.2150:                             ;   in Loop: Header=BB10_2135 Depth=3
	v_or_b32_e32 v9, 0x10000, v8
	v_cmp_eq_u32_sdwa s[28:29], v8, v2 src0_sel:WORD_0 src1_sel:DWORD
	v_cndmask_b32_e64 v23, v9, v8, s[28:29]
; %bb.2151:                             ;   in Loop: Header=BB10_2135 Depth=3
	s_or_b64 exec, exec, s[92:93]
	v_lshlrev_b32_e32 v8, 16, v10
	v_mul_f32_e32 v8, v7, v8
	v_and_b32_e32 v9, 0x7f800000, v8
	v_cmp_ne_u32_e64 s[28:29], s64, v9
                                        ; implicit-def: $vgpr22
	s_and_saveexec_b64 s[92:93], s[28:29]
	s_xor_b64 s[28:29], exec, s[92:93]
; %bb.2152:                             ;   in Loop: Header=BB10_2135 Depth=3
	v_bfe_u32 v9, v8, 16, 1
	v_add3_u32 v22, v8, v9, s65
                                        ; implicit-def: $vgpr8
; %bb.2153:                             ;   in Loop: Header=BB10_2135 Depth=3
	s_andn2_saveexec_b64 s[92:93], s[28:29]
; %bb.2154:                             ;   in Loop: Header=BB10_2135 Depth=3
	v_or_b32_e32 v9, 0x10000, v8
	v_cmp_eq_u32_sdwa s[28:29], v8, v2 src0_sel:WORD_0 src1_sel:DWORD
	v_cndmask_b32_e64 v22, v9, v8, s[28:29]
; %bb.2155:                             ;   in Loop: Header=BB10_2135 Depth=3
	s_or_b64 exec, exec, s[92:93]
	v_and_b32_e32 v8, 0xffff0000, v10
	v_mul_f32_e32 v8, v7, v8
	v_and_b32_e32 v9, 0x7f800000, v8
	v_cmp_ne_u32_e64 s[28:29], s64, v9
                                        ; implicit-def: $vgpr21
	s_and_saveexec_b64 s[92:93], s[28:29]
	s_xor_b64 s[28:29], exec, s[92:93]
; %bb.2156:                             ;   in Loop: Header=BB10_2135 Depth=3
	v_bfe_u32 v9, v8, 16, 1
	v_add3_u32 v21, v8, v9, s65
                                        ; implicit-def: $vgpr8
; %bb.2157:                             ;   in Loop: Header=BB10_2135 Depth=3
	s_andn2_saveexec_b64 s[92:93], s[28:29]
; %bb.2158:                             ;   in Loop: Header=BB10_2135 Depth=3
	v_or_b32_e32 v9, 0x10000, v8
	v_cmp_eq_u32_sdwa s[28:29], v8, v2 src0_sel:WORD_0 src1_sel:DWORD
	v_cndmask_b32_e64 v21, v9, v8, s[28:29]
; %bb.2159:                             ;   in Loop: Header=BB10_2135 Depth=3
	s_or_b64 exec, exec, s[92:93]
	v_lshlrev_b32_e32 v8, 16, v11
	v_mul_f32_e32 v8, v7, v8
	v_and_b32_e32 v9, 0x7f800000, v8
	v_cmp_ne_u32_e64 s[28:29], s64, v9
                                        ; implicit-def: $vgpr20
	s_and_saveexec_b64 s[92:93], s[28:29]
	s_xor_b64 s[28:29], exec, s[92:93]
; %bb.2160:                             ;   in Loop: Header=BB10_2135 Depth=3
	v_bfe_u32 v9, v8, 16, 1
	v_add3_u32 v20, v8, v9, s65
                                        ; implicit-def: $vgpr8
; %bb.2161:                             ;   in Loop: Header=BB10_2135 Depth=3
	s_andn2_saveexec_b64 s[92:93], s[28:29]
; %bb.2162:                             ;   in Loop: Header=BB10_2135 Depth=3
	v_or_b32_e32 v9, 0x10000, v8
	v_cmp_eq_u32_sdwa s[28:29], v8, v2 src0_sel:WORD_0 src1_sel:DWORD
	v_cndmask_b32_e64 v20, v9, v8, s[28:29]
; %bb.2163:                             ;   in Loop: Header=BB10_2135 Depth=3
	s_or_b64 exec, exec, s[92:93]
	v_and_b32_e32 v8, 0xffff0000, v11
	v_mul_f32_e32 v8, v7, v8
	v_and_b32_e32 v9, 0x7f800000, v8
	v_cmp_ne_u32_e64 s[28:29], s64, v9
                                        ; implicit-def: $vgpr18
	s_and_saveexec_b64 s[92:93], s[28:29]
	s_xor_b64 s[28:29], exec, s[92:93]
; %bb.2164:                             ;   in Loop: Header=BB10_2135 Depth=3
	v_bfe_u32 v9, v8, 16, 1
	v_add3_u32 v18, v8, v9, s65
                                        ; implicit-def: $vgpr8
; %bb.2165:                             ;   in Loop: Header=BB10_2135 Depth=3
	s_andn2_saveexec_b64 s[92:93], s[28:29]
; %bb.2166:                             ;   in Loop: Header=BB10_2135 Depth=3
	v_or_b32_e32 v9, 0x10000, v8
	v_cmp_eq_u32_sdwa s[28:29], v8, v2 src0_sel:WORD_0 src1_sel:DWORD
	v_cndmask_b32_e64 v18, v9, v8, s[28:29]
; %bb.2167:                             ;   in Loop: Header=BB10_2135 Depth=3
	s_or_b64 exec, exec, s[92:93]
	global_load_dwordx4 v[8:11], v[14:15], off glc slc
	v_and_b32_e32 v19, 0xffff0000, v19
	s_waitcnt vmcnt(0)
	v_lshlrev_b32_e32 v26, 16, v8
	v_add_f32_e32 v26, v19, v26
	v_and_b32_e32 v19, 0x7f800000, v26
	v_cmp_ne_u32_e64 s[28:29], s64, v19
                                        ; implicit-def: $vgpr19
	s_and_saveexec_b64 s[92:93], s[28:29]
	s_xor_b64 s[28:29], exec, s[92:93]
; %bb.2168:                             ;   in Loop: Header=BB10_2135 Depth=3
	v_bfe_u32 v19, v26, 16, 1
	v_add3_u32 v19, v26, v19, s65
                                        ; implicit-def: $vgpr26
; %bb.2169:                             ;   in Loop: Header=BB10_2135 Depth=3
	s_andn2_saveexec_b64 s[92:93], s[28:29]
; %bb.2170:                             ;   in Loop: Header=BB10_2135 Depth=3
	v_or_b32_e32 v19, 0x10000, v26
	v_cmp_eq_u32_sdwa s[28:29], v26, v2 src0_sel:WORD_0 src1_sel:DWORD
	v_cndmask_b32_e64 v19, v19, v26, s[28:29]
; %bb.2171:                             ;   in Loop: Header=BB10_2135 Depth=3
	s_or_b64 exec, exec, s[92:93]
	v_and_b32_e32 v25, 0xffff0000, v25
	v_and_b32_e32 v8, 0xffff0000, v8
	v_add_f32_e32 v25, v25, v8
	v_and_b32_e32 v8, 0x7f800000, v25
	v_cmp_ne_u32_e64 s[28:29], s64, v8
                                        ; implicit-def: $vgpr8
	s_and_saveexec_b64 s[92:93], s[28:29]
	s_xor_b64 s[28:29], exec, s[92:93]
; %bb.2172:                             ;   in Loop: Header=BB10_2135 Depth=3
	v_bfe_u32 v8, v25, 16, 1
	v_add3_u32 v8, v25, v8, s65
                                        ; implicit-def: $vgpr25
; %bb.2173:                             ;   in Loop: Header=BB10_2135 Depth=3
	s_andn2_saveexec_b64 s[92:93], s[28:29]
; %bb.2174:                             ;   in Loop: Header=BB10_2135 Depth=3
	v_or_b32_e32 v8, 0x10000, v25
	v_cmp_eq_u32_sdwa s[28:29], v25, v2 src0_sel:WORD_0 src1_sel:DWORD
	v_cndmask_b32_e64 v8, v8, v25, s[28:29]
; %bb.2175:                             ;   in Loop: Header=BB10_2135 Depth=3
	s_or_b64 exec, exec, s[92:93]
	v_and_b32_e32 v24, 0xffff0000, v24
	v_lshlrev_b32_e32 v25, 16, v9
	v_add_f32_e32 v25, v24, v25
	v_and_b32_e32 v24, 0x7f800000, v25
	v_cmp_ne_u32_e64 s[28:29], s64, v24
                                        ; implicit-def: $vgpr24
	s_and_saveexec_b64 s[92:93], s[28:29]
	s_xor_b64 s[28:29], exec, s[92:93]
; %bb.2176:                             ;   in Loop: Header=BB10_2135 Depth=3
	v_bfe_u32 v24, v25, 16, 1
	v_add3_u32 v24, v25, v24, s65
                                        ; implicit-def: $vgpr25
; %bb.2177:                             ;   in Loop: Header=BB10_2135 Depth=3
	s_andn2_saveexec_b64 s[92:93], s[28:29]
; %bb.2178:                             ;   in Loop: Header=BB10_2135 Depth=3
	v_or_b32_e32 v24, 0x10000, v25
	v_cmp_eq_u32_sdwa s[28:29], v25, v2 src0_sel:WORD_0 src1_sel:DWORD
	v_cndmask_b32_e64 v24, v24, v25, s[28:29]
; %bb.2179:                             ;   in Loop: Header=BB10_2135 Depth=3
	s_or_b64 exec, exec, s[92:93]
	v_and_b32_e32 v23, 0xffff0000, v23
	v_and_b32_e32 v9, 0xffff0000, v9
	v_add_f32_e32 v23, v23, v9
	v_and_b32_e32 v9, 0x7f800000, v23
	v_cmp_ne_u32_e64 s[28:29], s64, v9
                                        ; implicit-def: $vgpr9
	s_and_saveexec_b64 s[92:93], s[28:29]
	s_xor_b64 s[28:29], exec, s[92:93]
; %bb.2180:                             ;   in Loop: Header=BB10_2135 Depth=3
	v_bfe_u32 v9, v23, 16, 1
	v_add3_u32 v9, v23, v9, s65
                                        ; implicit-def: $vgpr23
; %bb.2181:                             ;   in Loop: Header=BB10_2135 Depth=3
	s_andn2_saveexec_b64 s[92:93], s[28:29]
; %bb.2182:                             ;   in Loop: Header=BB10_2135 Depth=3
	v_or_b32_e32 v9, 0x10000, v23
	v_cmp_eq_u32_sdwa s[28:29], v23, v2 src0_sel:WORD_0 src1_sel:DWORD
	v_cndmask_b32_e64 v9, v9, v23, s[28:29]
; %bb.2183:                             ;   in Loop: Header=BB10_2135 Depth=3
	s_or_b64 exec, exec, s[92:93]
	v_and_b32_e32 v22, 0xffff0000, v22
	v_lshlrev_b32_e32 v23, 16, v10
	v_add_f32_e32 v23, v22, v23
	v_and_b32_e32 v22, 0x7f800000, v23
	v_cmp_ne_u32_e64 s[28:29], s64, v22
                                        ; implicit-def: $vgpr22
	s_and_saveexec_b64 s[92:93], s[28:29]
	s_xor_b64 s[28:29], exec, s[92:93]
; %bb.2184:                             ;   in Loop: Header=BB10_2135 Depth=3
	v_bfe_u32 v22, v23, 16, 1
	v_add3_u32 v22, v23, v22, s65
                                        ; implicit-def: $vgpr23
; %bb.2185:                             ;   in Loop: Header=BB10_2135 Depth=3
	s_andn2_saveexec_b64 s[92:93], s[28:29]
; %bb.2186:                             ;   in Loop: Header=BB10_2135 Depth=3
	v_or_b32_e32 v22, 0x10000, v23
	v_cmp_eq_u32_sdwa s[28:29], v23, v2 src0_sel:WORD_0 src1_sel:DWORD
	v_cndmask_b32_e64 v22, v22, v23, s[28:29]
; %bb.2187:                             ;   in Loop: Header=BB10_2135 Depth=3
	s_or_b64 exec, exec, s[92:93]
	v_and_b32_e32 v21, 0xffff0000, v21
	v_and_b32_e32 v10, 0xffff0000, v10
	v_add_f32_e32 v21, v21, v10
	v_and_b32_e32 v10, 0x7f800000, v21
	v_cmp_ne_u32_e64 s[28:29], s64, v10
                                        ; implicit-def: $vgpr10
	s_and_saveexec_b64 s[92:93], s[28:29]
	s_xor_b64 s[28:29], exec, s[92:93]
; %bb.2188:                             ;   in Loop: Header=BB10_2135 Depth=3
	v_bfe_u32 v10, v21, 16, 1
	v_add3_u32 v10, v21, v10, s65
                                        ; implicit-def: $vgpr21
; %bb.2189:                             ;   in Loop: Header=BB10_2135 Depth=3
	s_andn2_saveexec_b64 s[92:93], s[28:29]
; %bb.2190:                             ;   in Loop: Header=BB10_2135 Depth=3
	v_or_b32_e32 v10, 0x10000, v21
	v_cmp_eq_u32_sdwa s[28:29], v21, v2 src0_sel:WORD_0 src1_sel:DWORD
	v_cndmask_b32_e64 v10, v10, v21, s[28:29]
; %bb.2191:                             ;   in Loop: Header=BB10_2135 Depth=3
	s_or_b64 exec, exec, s[92:93]
	v_and_b32_e32 v20, 0xffff0000, v20
	v_lshlrev_b32_e32 v21, 16, v11
	v_add_f32_e32 v21, v20, v21
	v_and_b32_e32 v20, 0x7f800000, v21
	v_cmp_ne_u32_e64 s[28:29], s64, v20
                                        ; implicit-def: $vgpr20
	s_and_saveexec_b64 s[92:93], s[28:29]
	s_xor_b64 s[28:29], exec, s[92:93]
; %bb.2192:                             ;   in Loop: Header=BB10_2135 Depth=3
	v_bfe_u32 v20, v21, 16, 1
	v_add3_u32 v20, v21, v20, s65
                                        ; implicit-def: $vgpr21
; %bb.2193:                             ;   in Loop: Header=BB10_2135 Depth=3
	s_andn2_saveexec_b64 s[92:93], s[28:29]
; %bb.2194:                             ;   in Loop: Header=BB10_2135 Depth=3
	v_or_b32_e32 v20, 0x10000, v21
	v_cmp_eq_u32_sdwa s[28:29], v21, v2 src0_sel:WORD_0 src1_sel:DWORD
	v_cndmask_b32_e64 v20, v20, v21, s[28:29]
; %bb.2195:                             ;   in Loop: Header=BB10_2135 Depth=3
	s_or_b64 exec, exec, s[92:93]
	v_and_b32_e32 v18, 0xffff0000, v18
	v_and_b32_e32 v11, 0xffff0000, v11
	v_add_f32_e32 v18, v18, v11
	v_and_b32_e32 v11, 0x7f800000, v18
	v_cmp_ne_u32_e64 s[28:29], s64, v11
                                        ; implicit-def: $vgpr11
	s_and_saveexec_b64 s[92:93], s[28:29]
	s_xor_b64 s[28:29], exec, s[92:93]
; %bb.2196:                             ;   in Loop: Header=BB10_2135 Depth=3
	v_bfe_u32 v11, v18, 16, 1
	v_add3_u32 v11, v18, v11, s65
                                        ; implicit-def: $vgpr18
; %bb.2197:                             ;   in Loop: Header=BB10_2135 Depth=3
	s_andn2_saveexec_b64 s[92:93], s[28:29]
	s_cbranch_execz .LBB10_2134
; %bb.2198:                             ;   in Loop: Header=BB10_2135 Depth=3
	v_or_b32_e32 v11, 0x10000, v18
	v_cmp_eq_u32_sdwa s[28:29], v18, v2 src0_sel:WORD_0 src1_sel:DWORD
	v_cndmask_b32_e64 v11, v11, v18, s[28:29]
	s_branch .LBB10_2134
.LBB10_2199:                            ;   in Loop: Header=BB10_1303 Depth=2
	s_or_b64 exec, exec, s[90:91]
.LBB10_2200:                            ;   in Loop: Header=BB10_1303 Depth=2
	s_or_b64 exec, exec, s[42:43]
	buffer_load_dword v6, off, s[0:3], s33 offset:232 ; 4-byte Folded Reload
	s_waitcnt vmcnt(0)
	v_and_b32_e32 v6, 14, v6
	v_sub_u32_e32 v7, v3, v6
	v_cndmask_b32_e32 v6, v3, v6, vcc
	buffer_load_dword v3, off, s[0:3], s33 offset:88 ; 4-byte Folded Reload
	v_cndmask_b32_e32 v7, 0, v7, vcc
	v_cmp_lt_i32_e32 vcc, 0, v5
	v_add3_u32 v0, v0, v4, v7
	s_waitcnt vmcnt(0)
	v_cndmask_b32_e32 v3, 0, v3, vcc
	v_sub_u32_e32 v3, v3, v5
	v_cmp_ne_u32_e32 vcc, 0, v6
	v_lshl_add_u32 v1, v3, 6, v1
	s_and_b64 s[42:43], vcc, exec
.LBB10_2201:                            ;   in Loop: Header=BB10_1303 Depth=2
	s_or_b64 exec, exec, s[40:41]
	s_and_saveexec_b64 s[28:29], s[42:43]
	s_cbranch_execz .LBB10_2346
.LBB10_2202:                            ;   in Loop: Header=BB10_1303 Depth=2
	s_waitcnt vmcnt(0)
	v_ashrrev_i32_e32 v3, 31, v1
	v_ashrrev_i32_e32 v4, 31, v6
	v_lshrrev_b32_e32 v3, 26, v3
	v_lshrrev_b32_e32 v4, 21, v4
	v_add_u32_e32 v5, v1, v3
	v_add_u32_e32 v4, v6, v4
	v_ashrrev_i32_e32 v3, 6, v5
	v_mov_b32_e32 v33, v6
	v_ashrrev_i32_e32 v6, 11, v4
	v_sub_u32_e32 v4, v6, v3
	v_cmp_lt_i32_e32 vcc, 0, v4
	s_and_saveexec_b64 s[40:41], vcc
	s_cbranch_execz .LBB10_2334
; %bb.2203:                             ;   in Loop: Header=BB10_1303 Depth=2
	s_trap 2
	ds_read_b64 v[10:11], v0
	buffer_load_dword v8, off, s[0:3], s33 offset:240 ; 4-byte Folded Reload
	buffer_load_dword v9, off, s[0:3], s33 offset:244 ; 4-byte Folded Reload
	v_and_b32_e32 v5, 0x7fffffc0, v5
	v_sub_u32_e32 v5, v1, v5
	v_lshlrev_b32_e32 v5, 1, v5
	v_lshlrev_b32_e32 v7, 11, v3
	v_add3_u32 v5, v5, v0, v7
	ds_read_b32 v7, v0
	buffer_load_dword v14, off, s[0:3], s33 offset:224 ; 4-byte Folded Reload
	buffer_load_dword v15, off, s[0:3], s33 offset:228 ; 4-byte Folded Reload
	v_ashrrev_i32_e32 v13, 31, v5
	s_mov_b64 s[42:43], 0
	s_waitcnt lgkmcnt(0)
	v_lshlrev_b32_e32 v7, 16, v7
	s_waitcnt vmcnt(3)
	v_add_co_u32_e32 v8, vcc, v5, v8
	s_waitcnt vmcnt(2)
	v_addc_co_u32_e32 v9, vcc, v13, v9, vcc
	v_add_co_u32_e32 v10, vcc, v10, v5
	v_addc_co_u32_e32 v11, vcc, v11, v13, vcc
	s_waitcnt vmcnt(1)
	v_add_co_u32_e32 v12, vcc, 0x780, v14
	s_waitcnt vmcnt(0)
	v_addc_co_u32_e32 v14, vcc, 0, v15, vcc
	v_add_co_u32_e32 v12, vcc, v12, v5
	v_addc_co_u32_e32 v13, vcc, v14, v13, vcc
	s_branch .LBB10_2205
.LBB10_2204:                            ;   in Loop: Header=BB10_2205 Depth=3
	s_or_b64 exec, exec, s[90:91]
	v_add_co_u32_e32 v29, vcc, 0xfffff880, v12
	v_addc_co_u32_e32 v30, vcc, -1, v13, vcc
	flat_store_short_d16_hi v[29:30], v5 glc slc
	v_add_co_u32_e32 v29, vcc, 0xfffff900, v12
	v_addc_co_u32_e32 v30, vcc, -1, v13, vcc
	flat_store_short_d16_hi v[29:30], v14 glc slc
	v_add_co_u32_e32 v29, vcc, 0xfffff980, v12
	v_addc_co_u32_e32 v30, vcc, -1, v13, vcc
	v_add_co_u32_e32 v14, vcc, 0xfffffa00, v12
	flat_store_short_d16_hi v[29:30], v15 glc slc
	v_addc_co_u32_e32 v15, vcc, -1, v13, vcc
	flat_store_short_d16_hi v[14:15], v16 glc slc
	v_add_co_u32_e32 v14, vcc, 0xfffffa80, v12
	v_addc_co_u32_e32 v15, vcc, -1, v13, vcc
	flat_store_short_d16_hi v[14:15], v17 glc slc
	v_add_co_u32_e32 v14, vcc, 0xfffffb00, v12
	;; [unrolled: 3-line block ×11, first 2 shown]
	v_addc_co_u32_e32 v15, vcc, -1, v13, vcc
	flat_store_short_d16_hi v[14:15], v27 glc slc
	flat_store_short_d16_hi v[12:13], v28 glc slc
	buffer_load_dword v14, off, s[0:3], s33 offset:92 ; 4-byte Folded Reload
	s_nop 0
	buffer_load_dword v5, off, s[0:3], s33 offset:88 ; 4-byte Folded Reload
	s_waitcnt vmcnt(0)
	v_add_co_u32_e32 v8, vcc, v8, v14
	v_addc_co_u32_e32 v9, vcc, 0, v9, vcc
	v_add_co_u32_e32 v10, vcc, v10, v14
	v_addc_co_u32_e32 v11, vcc, 0, v11, vcc
	v_sub_u32_e32 v4, v4, v5
	v_cmp_gt_i32_e32 vcc, 1, v4
	s_or_b64 s[42:43], vcc, s[42:43]
	v_add_co_u32_e32 v12, vcc, v12, v14
	v_addc_co_u32_e32 v13, vcc, 0, v13, vcc
	s_andn2_b64 exec, exec, s[42:43]
	s_cbranch_execz .LBB10_2333
.LBB10_2205:                            ;   Parent Loop BB10_47 Depth=1
                                        ;     Parent Loop BB10_1303 Depth=2
                                        ; =>    This Inner Loop Header: Depth=3
	flat_load_ushort v5, v[8:9] glc slc
	s_waitcnt vmcnt(0) lgkmcnt(0)
	v_lshlrev_b32_e32 v5, 16, v5
	v_mul_f32_e32 v14, v7, v5
	v_and_b32_e32 v5, 0x7f800000, v14
	v_cmp_ne_u32_e32 vcc, s64, v5
                                        ; implicit-def: $vgpr5
	s_and_saveexec_b64 s[90:91], vcc
	s_xor_b64 s[90:91], exec, s[90:91]
; %bb.2206:                             ;   in Loop: Header=BB10_2205 Depth=3
	v_bfe_u32 v5, v14, 16, 1
	v_add3_u32 v5, v14, v5, s65
                                        ; implicit-def: $vgpr14
; %bb.2207:                             ;   in Loop: Header=BB10_2205 Depth=3
	s_andn2_saveexec_b64 s[90:91], s[90:91]
; %bb.2208:                             ;   in Loop: Header=BB10_2205 Depth=3
	v_or_b32_e32 v5, 0x10000, v14
	v_cmp_eq_u32_sdwa vcc, v14, v2 src0_sel:WORD_0 src1_sel:DWORD
	v_cndmask_b32_e32 v5, v5, v14, vcc
; %bb.2209:                             ;   in Loop: Header=BB10_2205 Depth=3
	s_or_b64 exec, exec, s[90:91]
	flat_load_ushort v14, v[8:9] offset:128 glc slc
	s_waitcnt vmcnt(0) lgkmcnt(0)
	v_lshlrev_b32_e32 v14, 16, v14
	v_mul_f32_e32 v15, v7, v14
	v_and_b32_e32 v14, 0x7f800000, v15
	v_cmp_ne_u32_e32 vcc, s64, v14
                                        ; implicit-def: $vgpr14
	s_and_saveexec_b64 s[90:91], vcc
	s_xor_b64 s[90:91], exec, s[90:91]
; %bb.2210:                             ;   in Loop: Header=BB10_2205 Depth=3
	v_bfe_u32 v14, v15, 16, 1
	v_add3_u32 v14, v15, v14, s65
                                        ; implicit-def: $vgpr15
; %bb.2211:                             ;   in Loop: Header=BB10_2205 Depth=3
	s_andn2_saveexec_b64 s[90:91], s[90:91]
; %bb.2212:                             ;   in Loop: Header=BB10_2205 Depth=3
	v_or_b32_e32 v14, 0x10000, v15
	v_cmp_eq_u32_sdwa vcc, v15, v2 src0_sel:WORD_0 src1_sel:DWORD
	v_cndmask_b32_e32 v14, v14, v15, vcc
; %bb.2213:                             ;   in Loop: Header=BB10_2205 Depth=3
	s_or_b64 exec, exec, s[90:91]
	flat_load_ushort v15, v[8:9] offset:256 glc slc
	s_waitcnt vmcnt(0) lgkmcnt(0)
	v_lshlrev_b32_e32 v15, 16, v15
	v_mul_f32_e32 v16, v7, v15
	v_and_b32_e32 v15, 0x7f800000, v16
	v_cmp_ne_u32_e32 vcc, s64, v15
                                        ; implicit-def: $vgpr15
	s_and_saveexec_b64 s[90:91], vcc
	s_xor_b64 s[90:91], exec, s[90:91]
; %bb.2214:                             ;   in Loop: Header=BB10_2205 Depth=3
	v_bfe_u32 v15, v16, 16, 1
	v_add3_u32 v15, v16, v15, s65
                                        ; implicit-def: $vgpr16
; %bb.2215:                             ;   in Loop: Header=BB10_2205 Depth=3
	s_andn2_saveexec_b64 s[90:91], s[90:91]
; %bb.2216:                             ;   in Loop: Header=BB10_2205 Depth=3
	v_or_b32_e32 v15, 0x10000, v16
	v_cmp_eq_u32_sdwa vcc, v16, v2 src0_sel:WORD_0 src1_sel:DWORD
	v_cndmask_b32_e32 v15, v15, v16, vcc
; %bb.2217:                             ;   in Loop: Header=BB10_2205 Depth=3
	s_or_b64 exec, exec, s[90:91]
	flat_load_ushort v16, v[8:9] offset:384 glc slc
	s_waitcnt vmcnt(0) lgkmcnt(0)
	v_lshlrev_b32_e32 v16, 16, v16
	v_mul_f32_e32 v17, v7, v16
	v_and_b32_e32 v16, 0x7f800000, v17
	v_cmp_ne_u32_e32 vcc, s64, v16
                                        ; implicit-def: $vgpr16
	s_and_saveexec_b64 s[90:91], vcc
	s_xor_b64 s[90:91], exec, s[90:91]
; %bb.2218:                             ;   in Loop: Header=BB10_2205 Depth=3
	v_bfe_u32 v16, v17, 16, 1
	v_add3_u32 v16, v17, v16, s65
                                        ; implicit-def: $vgpr17
; %bb.2219:                             ;   in Loop: Header=BB10_2205 Depth=3
	s_andn2_saveexec_b64 s[90:91], s[90:91]
; %bb.2220:                             ;   in Loop: Header=BB10_2205 Depth=3
	v_or_b32_e32 v16, 0x10000, v17
	v_cmp_eq_u32_sdwa vcc, v17, v2 src0_sel:WORD_0 src1_sel:DWORD
	v_cndmask_b32_e32 v16, v16, v17, vcc
; %bb.2221:                             ;   in Loop: Header=BB10_2205 Depth=3
	s_or_b64 exec, exec, s[90:91]
	flat_load_ushort v17, v[8:9] offset:512 glc slc
	s_waitcnt vmcnt(0) lgkmcnt(0)
	v_lshlrev_b32_e32 v17, 16, v17
	v_mul_f32_e32 v18, v7, v17
	v_and_b32_e32 v17, 0x7f800000, v18
	v_cmp_ne_u32_e32 vcc, s64, v17
                                        ; implicit-def: $vgpr17
	s_and_saveexec_b64 s[90:91], vcc
	s_xor_b64 s[90:91], exec, s[90:91]
; %bb.2222:                             ;   in Loop: Header=BB10_2205 Depth=3
	v_bfe_u32 v17, v18, 16, 1
	v_add3_u32 v17, v18, v17, s65
                                        ; implicit-def: $vgpr18
; %bb.2223:                             ;   in Loop: Header=BB10_2205 Depth=3
	s_andn2_saveexec_b64 s[90:91], s[90:91]
; %bb.2224:                             ;   in Loop: Header=BB10_2205 Depth=3
	v_or_b32_e32 v17, 0x10000, v18
	v_cmp_eq_u32_sdwa vcc, v18, v2 src0_sel:WORD_0 src1_sel:DWORD
	v_cndmask_b32_e32 v17, v17, v18, vcc
; %bb.2225:                             ;   in Loop: Header=BB10_2205 Depth=3
	s_or_b64 exec, exec, s[90:91]
	flat_load_ushort v18, v[8:9] offset:640 glc slc
	s_waitcnt vmcnt(0) lgkmcnt(0)
	v_lshlrev_b32_e32 v18, 16, v18
	v_mul_f32_e32 v19, v7, v18
	v_and_b32_e32 v18, 0x7f800000, v19
	v_cmp_ne_u32_e32 vcc, s64, v18
                                        ; implicit-def: $vgpr18
	s_and_saveexec_b64 s[90:91], vcc
	s_xor_b64 s[90:91], exec, s[90:91]
; %bb.2226:                             ;   in Loop: Header=BB10_2205 Depth=3
	v_bfe_u32 v18, v19, 16, 1
	v_add3_u32 v18, v19, v18, s65
                                        ; implicit-def: $vgpr19
; %bb.2227:                             ;   in Loop: Header=BB10_2205 Depth=3
	s_andn2_saveexec_b64 s[90:91], s[90:91]
; %bb.2228:                             ;   in Loop: Header=BB10_2205 Depth=3
	v_or_b32_e32 v18, 0x10000, v19
	v_cmp_eq_u32_sdwa vcc, v19, v2 src0_sel:WORD_0 src1_sel:DWORD
	v_cndmask_b32_e32 v18, v18, v19, vcc
; %bb.2229:                             ;   in Loop: Header=BB10_2205 Depth=3
	s_or_b64 exec, exec, s[90:91]
	flat_load_ushort v19, v[8:9] offset:768 glc slc
	s_waitcnt vmcnt(0) lgkmcnt(0)
	v_lshlrev_b32_e32 v19, 16, v19
	v_mul_f32_e32 v20, v7, v19
	v_and_b32_e32 v19, 0x7f800000, v20
	v_cmp_ne_u32_e32 vcc, s64, v19
                                        ; implicit-def: $vgpr19
	s_and_saveexec_b64 s[90:91], vcc
	s_xor_b64 s[90:91], exec, s[90:91]
; %bb.2230:                             ;   in Loop: Header=BB10_2205 Depth=3
	v_bfe_u32 v19, v20, 16, 1
	v_add3_u32 v19, v20, v19, s65
                                        ; implicit-def: $vgpr20
; %bb.2231:                             ;   in Loop: Header=BB10_2205 Depth=3
	s_andn2_saveexec_b64 s[90:91], s[90:91]
; %bb.2232:                             ;   in Loop: Header=BB10_2205 Depth=3
	v_or_b32_e32 v19, 0x10000, v20
	v_cmp_eq_u32_sdwa vcc, v20, v2 src0_sel:WORD_0 src1_sel:DWORD
	v_cndmask_b32_e32 v19, v19, v20, vcc
; %bb.2233:                             ;   in Loop: Header=BB10_2205 Depth=3
	s_or_b64 exec, exec, s[90:91]
	flat_load_ushort v20, v[8:9] offset:896 glc slc
	s_waitcnt vmcnt(0) lgkmcnt(0)
	v_lshlrev_b32_e32 v20, 16, v20
	v_mul_f32_e32 v21, v7, v20
	v_and_b32_e32 v20, 0x7f800000, v21
	v_cmp_ne_u32_e32 vcc, s64, v20
                                        ; implicit-def: $vgpr20
	s_and_saveexec_b64 s[90:91], vcc
	s_xor_b64 s[90:91], exec, s[90:91]
; %bb.2234:                             ;   in Loop: Header=BB10_2205 Depth=3
	v_bfe_u32 v20, v21, 16, 1
	v_add3_u32 v20, v21, v20, s65
                                        ; implicit-def: $vgpr21
; %bb.2235:                             ;   in Loop: Header=BB10_2205 Depth=3
	s_andn2_saveexec_b64 s[90:91], s[90:91]
; %bb.2236:                             ;   in Loop: Header=BB10_2205 Depth=3
	v_or_b32_e32 v20, 0x10000, v21
	v_cmp_eq_u32_sdwa vcc, v21, v2 src0_sel:WORD_0 src1_sel:DWORD
	v_cndmask_b32_e32 v20, v20, v21, vcc
; %bb.2237:                             ;   in Loop: Header=BB10_2205 Depth=3
	s_or_b64 exec, exec, s[90:91]
	flat_load_ushort v21, v[8:9] offset:1024 glc slc
	s_waitcnt vmcnt(0) lgkmcnt(0)
	v_lshlrev_b32_e32 v21, 16, v21
	v_mul_f32_e32 v22, v7, v21
	v_and_b32_e32 v21, 0x7f800000, v22
	v_cmp_ne_u32_e32 vcc, s64, v21
                                        ; implicit-def: $vgpr21
	s_and_saveexec_b64 s[90:91], vcc
	s_xor_b64 s[90:91], exec, s[90:91]
; %bb.2238:                             ;   in Loop: Header=BB10_2205 Depth=3
	v_bfe_u32 v21, v22, 16, 1
	v_add3_u32 v21, v22, v21, s65
                                        ; implicit-def: $vgpr22
; %bb.2239:                             ;   in Loop: Header=BB10_2205 Depth=3
	s_andn2_saveexec_b64 s[90:91], s[90:91]
; %bb.2240:                             ;   in Loop: Header=BB10_2205 Depth=3
	v_or_b32_e32 v21, 0x10000, v22
	v_cmp_eq_u32_sdwa vcc, v22, v2 src0_sel:WORD_0 src1_sel:DWORD
	v_cndmask_b32_e32 v21, v21, v22, vcc
; %bb.2241:                             ;   in Loop: Header=BB10_2205 Depth=3
	s_or_b64 exec, exec, s[90:91]
	flat_load_ushort v22, v[8:9] offset:1152 glc slc
	s_waitcnt vmcnt(0) lgkmcnt(0)
	v_lshlrev_b32_e32 v22, 16, v22
	v_mul_f32_e32 v23, v7, v22
	v_and_b32_e32 v22, 0x7f800000, v23
	v_cmp_ne_u32_e32 vcc, s64, v22
                                        ; implicit-def: $vgpr22
	s_and_saveexec_b64 s[90:91], vcc
	s_xor_b64 s[90:91], exec, s[90:91]
; %bb.2242:                             ;   in Loop: Header=BB10_2205 Depth=3
	v_bfe_u32 v22, v23, 16, 1
	v_add3_u32 v22, v23, v22, s65
                                        ; implicit-def: $vgpr23
; %bb.2243:                             ;   in Loop: Header=BB10_2205 Depth=3
	s_andn2_saveexec_b64 s[90:91], s[90:91]
; %bb.2244:                             ;   in Loop: Header=BB10_2205 Depth=3
	v_or_b32_e32 v22, 0x10000, v23
	v_cmp_eq_u32_sdwa vcc, v23, v2 src0_sel:WORD_0 src1_sel:DWORD
	v_cndmask_b32_e32 v22, v22, v23, vcc
; %bb.2245:                             ;   in Loop: Header=BB10_2205 Depth=3
	s_or_b64 exec, exec, s[90:91]
	flat_load_ushort v23, v[8:9] offset:1280 glc slc
	s_waitcnt vmcnt(0) lgkmcnt(0)
	v_lshlrev_b32_e32 v23, 16, v23
	v_mul_f32_e32 v24, v7, v23
	v_and_b32_e32 v23, 0x7f800000, v24
	v_cmp_ne_u32_e32 vcc, s64, v23
                                        ; implicit-def: $vgpr23
	s_and_saveexec_b64 s[90:91], vcc
	s_xor_b64 s[90:91], exec, s[90:91]
; %bb.2246:                             ;   in Loop: Header=BB10_2205 Depth=3
	v_bfe_u32 v23, v24, 16, 1
	v_add3_u32 v23, v24, v23, s65
                                        ; implicit-def: $vgpr24
; %bb.2247:                             ;   in Loop: Header=BB10_2205 Depth=3
	s_andn2_saveexec_b64 s[90:91], s[90:91]
; %bb.2248:                             ;   in Loop: Header=BB10_2205 Depth=3
	v_or_b32_e32 v23, 0x10000, v24
	v_cmp_eq_u32_sdwa vcc, v24, v2 src0_sel:WORD_0 src1_sel:DWORD
	v_cndmask_b32_e32 v23, v23, v24, vcc
; %bb.2249:                             ;   in Loop: Header=BB10_2205 Depth=3
	s_or_b64 exec, exec, s[90:91]
	flat_load_ushort v24, v[8:9] offset:1408 glc slc
	s_waitcnt vmcnt(0) lgkmcnt(0)
	v_lshlrev_b32_e32 v24, 16, v24
	v_mul_f32_e32 v25, v7, v24
	v_and_b32_e32 v24, 0x7f800000, v25
	v_cmp_ne_u32_e32 vcc, s64, v24
                                        ; implicit-def: $vgpr24
	s_and_saveexec_b64 s[90:91], vcc
	s_xor_b64 s[90:91], exec, s[90:91]
; %bb.2250:                             ;   in Loop: Header=BB10_2205 Depth=3
	v_bfe_u32 v24, v25, 16, 1
	v_add3_u32 v24, v25, v24, s65
                                        ; implicit-def: $vgpr25
; %bb.2251:                             ;   in Loop: Header=BB10_2205 Depth=3
	s_andn2_saveexec_b64 s[90:91], s[90:91]
; %bb.2252:                             ;   in Loop: Header=BB10_2205 Depth=3
	v_or_b32_e32 v24, 0x10000, v25
	v_cmp_eq_u32_sdwa vcc, v25, v2 src0_sel:WORD_0 src1_sel:DWORD
	v_cndmask_b32_e32 v24, v24, v25, vcc
; %bb.2253:                             ;   in Loop: Header=BB10_2205 Depth=3
	s_or_b64 exec, exec, s[90:91]
	flat_load_ushort v25, v[8:9] offset:1536 glc slc
	s_waitcnt vmcnt(0) lgkmcnt(0)
	v_lshlrev_b32_e32 v25, 16, v25
	v_mul_f32_e32 v26, v7, v25
	v_and_b32_e32 v25, 0x7f800000, v26
	v_cmp_ne_u32_e32 vcc, s64, v25
                                        ; implicit-def: $vgpr25
	s_and_saveexec_b64 s[90:91], vcc
	s_xor_b64 s[90:91], exec, s[90:91]
; %bb.2254:                             ;   in Loop: Header=BB10_2205 Depth=3
	v_bfe_u32 v25, v26, 16, 1
	v_add3_u32 v25, v26, v25, s65
                                        ; implicit-def: $vgpr26
; %bb.2255:                             ;   in Loop: Header=BB10_2205 Depth=3
	s_andn2_saveexec_b64 s[90:91], s[90:91]
; %bb.2256:                             ;   in Loop: Header=BB10_2205 Depth=3
	v_or_b32_e32 v25, 0x10000, v26
	v_cmp_eq_u32_sdwa vcc, v26, v2 src0_sel:WORD_0 src1_sel:DWORD
	v_cndmask_b32_e32 v25, v25, v26, vcc
; %bb.2257:                             ;   in Loop: Header=BB10_2205 Depth=3
	s_or_b64 exec, exec, s[90:91]
	flat_load_ushort v26, v[8:9] offset:1664 glc slc
	s_waitcnt vmcnt(0) lgkmcnt(0)
	v_lshlrev_b32_e32 v26, 16, v26
	v_mul_f32_e32 v27, v7, v26
	v_and_b32_e32 v26, 0x7f800000, v27
	v_cmp_ne_u32_e32 vcc, s64, v26
                                        ; implicit-def: $vgpr26
	s_and_saveexec_b64 s[90:91], vcc
	s_xor_b64 s[90:91], exec, s[90:91]
; %bb.2258:                             ;   in Loop: Header=BB10_2205 Depth=3
	v_bfe_u32 v26, v27, 16, 1
	v_add3_u32 v26, v27, v26, s65
                                        ; implicit-def: $vgpr27
; %bb.2259:                             ;   in Loop: Header=BB10_2205 Depth=3
	s_andn2_saveexec_b64 s[90:91], s[90:91]
; %bb.2260:                             ;   in Loop: Header=BB10_2205 Depth=3
	v_or_b32_e32 v26, 0x10000, v27
	v_cmp_eq_u32_sdwa vcc, v27, v2 src0_sel:WORD_0 src1_sel:DWORD
	v_cndmask_b32_e32 v26, v26, v27, vcc
; %bb.2261:                             ;   in Loop: Header=BB10_2205 Depth=3
	s_or_b64 exec, exec, s[90:91]
	flat_load_ushort v27, v[8:9] offset:1792 glc slc
	s_waitcnt vmcnt(0) lgkmcnt(0)
	v_lshlrev_b32_e32 v27, 16, v27
	v_mul_f32_e32 v28, v7, v27
	v_and_b32_e32 v27, 0x7f800000, v28
	v_cmp_ne_u32_e32 vcc, s64, v27
                                        ; implicit-def: $vgpr27
	s_and_saveexec_b64 s[90:91], vcc
	s_xor_b64 s[90:91], exec, s[90:91]
; %bb.2262:                             ;   in Loop: Header=BB10_2205 Depth=3
	v_bfe_u32 v27, v28, 16, 1
	v_add3_u32 v27, v28, v27, s65
                                        ; implicit-def: $vgpr28
; %bb.2263:                             ;   in Loop: Header=BB10_2205 Depth=3
	s_andn2_saveexec_b64 s[90:91], s[90:91]
; %bb.2264:                             ;   in Loop: Header=BB10_2205 Depth=3
	v_or_b32_e32 v27, 0x10000, v28
	v_cmp_eq_u32_sdwa vcc, v28, v2 src0_sel:WORD_0 src1_sel:DWORD
	v_cndmask_b32_e32 v27, v27, v28, vcc
; %bb.2265:                             ;   in Loop: Header=BB10_2205 Depth=3
	s_or_b64 exec, exec, s[90:91]
	flat_load_ushort v28, v[8:9] offset:1920 glc slc
	s_waitcnt vmcnt(0) lgkmcnt(0)
	v_lshlrev_b32_e32 v28, 16, v28
	v_mul_f32_e32 v29, v7, v28
	v_and_b32_e32 v28, 0x7f800000, v29
	v_cmp_ne_u32_e32 vcc, s64, v28
                                        ; implicit-def: $vgpr28
	s_and_saveexec_b64 s[90:91], vcc
	s_xor_b64 s[90:91], exec, s[90:91]
; %bb.2266:                             ;   in Loop: Header=BB10_2205 Depth=3
	v_bfe_u32 v28, v29, 16, 1
	v_add3_u32 v28, v29, v28, s65
                                        ; implicit-def: $vgpr29
; %bb.2267:                             ;   in Loop: Header=BB10_2205 Depth=3
	s_andn2_saveexec_b64 s[90:91], s[90:91]
; %bb.2268:                             ;   in Loop: Header=BB10_2205 Depth=3
	v_or_b32_e32 v28, 0x10000, v29
	v_cmp_eq_u32_sdwa vcc, v29, v2 src0_sel:WORD_0 src1_sel:DWORD
	v_cndmask_b32_e32 v28, v28, v29, vcc
; %bb.2269:                             ;   in Loop: Header=BB10_2205 Depth=3
	s_or_b64 exec, exec, s[90:91]
	flat_load_ushort v55, v[10:11] offset:128 glc slc
	flat_load_ushort v54, v[10:11] offset:256 glc slc
	;; [unrolled: 1-line block ×7, first 2 shown]
	flat_load_ushort v32, v[10:11] glc slc
	flat_load_ushort v38, v[10:11] offset:1024 glc slc
	flat_load_ushort v37, v[10:11] offset:1152 glc slc
	flat_load_ushort v36, v[10:11] offset:1280 glc slc
	flat_load_ushort v35, v[10:11] offset:1408 glc slc
	flat_load_ushort v34, v[10:11] offset:1536 glc slc
	flat_load_ushort v31, v[10:11] offset:1664 glc slc
	flat_load_ushort v30, v[10:11] offset:1792 glc slc
	flat_load_ushort v29, v[10:11] offset:1920 glc slc
	v_and_b32_e32 v5, 0xffff0000, v5
	s_waitcnt vmcnt(0) lgkmcnt(0)
	v_lshlrev_b32_e32 v32, 16, v32
	v_add_f32_e32 v40, v5, v32
	v_and_b32_e32 v5, 0x7f800000, v40
	v_cmp_ne_u32_e32 vcc, s64, v5
                                        ; implicit-def: $vgpr5
	s_and_saveexec_b64 s[90:91], vcc
	s_xor_b64 s[90:91], exec, s[90:91]
; %bb.2270:                             ;   in Loop: Header=BB10_2205 Depth=3
	v_bfe_u32 v5, v40, 16, 1
	v_add3_u32 v5, v40, v5, s65
                                        ; implicit-def: $vgpr40
; %bb.2271:                             ;   in Loop: Header=BB10_2205 Depth=3
	s_andn2_saveexec_b64 s[90:91], s[90:91]
; %bb.2272:                             ;   in Loop: Header=BB10_2205 Depth=3
	v_or_b32_e32 v5, 0x10000, v40
	v_cmp_eq_u32_sdwa vcc, v40, v2 src0_sel:WORD_0 src1_sel:DWORD
	v_cndmask_b32_e32 v5, v5, v40, vcc
; %bb.2273:                             ;   in Loop: Header=BB10_2205 Depth=3
	s_or_b64 exec, exec, s[90:91]
	v_and_b32_e32 v14, 0xffff0000, v14
	v_lshlrev_b32_e32 v32, 16, v55
	v_add_f32_e32 v55, v14, v32
	v_and_b32_e32 v14, 0x7f800000, v55
	v_cmp_ne_u32_e32 vcc, s64, v14
                                        ; implicit-def: $vgpr14
	s_and_saveexec_b64 s[90:91], vcc
	s_xor_b64 s[90:91], exec, s[90:91]
; %bb.2274:                             ;   in Loop: Header=BB10_2205 Depth=3
	v_bfe_u32 v14, v55, 16, 1
	v_add3_u32 v14, v55, v14, s65
                                        ; implicit-def: $vgpr55
; %bb.2275:                             ;   in Loop: Header=BB10_2205 Depth=3
	s_andn2_saveexec_b64 s[90:91], s[90:91]
; %bb.2276:                             ;   in Loop: Header=BB10_2205 Depth=3
	v_or_b32_e32 v14, 0x10000, v55
	v_cmp_eq_u32_sdwa vcc, v55, v2 src0_sel:WORD_0 src1_sel:DWORD
	v_cndmask_b32_e32 v14, v14, v55, vcc
; %bb.2277:                             ;   in Loop: Header=BB10_2205 Depth=3
	s_or_b64 exec, exec, s[90:91]
	v_and_b32_e32 v15, 0xffff0000, v15
	v_lshlrev_b32_e32 v32, 16, v54
	v_add_f32_e32 v54, v15, v32
	v_and_b32_e32 v15, 0x7f800000, v54
	v_cmp_ne_u32_e32 vcc, s64, v15
                                        ; implicit-def: $vgpr15
	s_and_saveexec_b64 s[90:91], vcc
	s_xor_b64 s[90:91], exec, s[90:91]
; %bb.2278:                             ;   in Loop: Header=BB10_2205 Depth=3
	v_bfe_u32 v15, v54, 16, 1
	v_add3_u32 v15, v54, v15, s65
                                        ; implicit-def: $vgpr54
; %bb.2279:                             ;   in Loop: Header=BB10_2205 Depth=3
	s_andn2_saveexec_b64 s[90:91], s[90:91]
; %bb.2280:                             ;   in Loop: Header=BB10_2205 Depth=3
	v_or_b32_e32 v15, 0x10000, v54
	v_cmp_eq_u32_sdwa vcc, v54, v2 src0_sel:WORD_0 src1_sel:DWORD
	v_cndmask_b32_e32 v15, v15, v54, vcc
; %bb.2281:                             ;   in Loop: Header=BB10_2205 Depth=3
	s_or_b64 exec, exec, s[90:91]
	v_and_b32_e32 v16, 0xffff0000, v16
	v_lshlrev_b32_e32 v32, 16, v53
	v_add_f32_e32 v53, v16, v32
	v_and_b32_e32 v16, 0x7f800000, v53
	v_cmp_ne_u32_e32 vcc, s64, v16
                                        ; implicit-def: $vgpr16
	s_and_saveexec_b64 s[90:91], vcc
	s_xor_b64 s[90:91], exec, s[90:91]
; %bb.2282:                             ;   in Loop: Header=BB10_2205 Depth=3
	v_bfe_u32 v16, v53, 16, 1
	v_add3_u32 v16, v53, v16, s65
                                        ; implicit-def: $vgpr53
; %bb.2283:                             ;   in Loop: Header=BB10_2205 Depth=3
	s_andn2_saveexec_b64 s[90:91], s[90:91]
; %bb.2284:                             ;   in Loop: Header=BB10_2205 Depth=3
	v_or_b32_e32 v16, 0x10000, v53
	v_cmp_eq_u32_sdwa vcc, v53, v2 src0_sel:WORD_0 src1_sel:DWORD
	v_cndmask_b32_e32 v16, v16, v53, vcc
; %bb.2285:                             ;   in Loop: Header=BB10_2205 Depth=3
	s_or_b64 exec, exec, s[90:91]
	v_and_b32_e32 v17, 0xffff0000, v17
	v_lshlrev_b32_e32 v32, 16, v52
	v_add_f32_e32 v52, v17, v32
	v_and_b32_e32 v17, 0x7f800000, v52
	v_cmp_ne_u32_e32 vcc, s64, v17
                                        ; implicit-def: $vgpr17
	s_and_saveexec_b64 s[90:91], vcc
	s_xor_b64 s[90:91], exec, s[90:91]
; %bb.2286:                             ;   in Loop: Header=BB10_2205 Depth=3
	v_bfe_u32 v17, v52, 16, 1
	v_add3_u32 v17, v52, v17, s65
                                        ; implicit-def: $vgpr52
; %bb.2287:                             ;   in Loop: Header=BB10_2205 Depth=3
	s_andn2_saveexec_b64 s[90:91], s[90:91]
; %bb.2288:                             ;   in Loop: Header=BB10_2205 Depth=3
	v_or_b32_e32 v17, 0x10000, v52
	v_cmp_eq_u32_sdwa vcc, v52, v2 src0_sel:WORD_0 src1_sel:DWORD
	v_cndmask_b32_e32 v17, v17, v52, vcc
; %bb.2289:                             ;   in Loop: Header=BB10_2205 Depth=3
	s_or_b64 exec, exec, s[90:91]
	v_and_b32_e32 v18, 0xffff0000, v18
	v_lshlrev_b32_e32 v32, 16, v51
	v_add_f32_e32 v51, v18, v32
	v_and_b32_e32 v18, 0x7f800000, v51
	v_cmp_ne_u32_e32 vcc, s64, v18
                                        ; implicit-def: $vgpr18
	s_and_saveexec_b64 s[90:91], vcc
	s_xor_b64 s[90:91], exec, s[90:91]
; %bb.2290:                             ;   in Loop: Header=BB10_2205 Depth=3
	v_bfe_u32 v18, v51, 16, 1
	v_add3_u32 v18, v51, v18, s65
                                        ; implicit-def: $vgpr51
; %bb.2291:                             ;   in Loop: Header=BB10_2205 Depth=3
	s_andn2_saveexec_b64 s[90:91], s[90:91]
; %bb.2292:                             ;   in Loop: Header=BB10_2205 Depth=3
	v_or_b32_e32 v18, 0x10000, v51
	v_cmp_eq_u32_sdwa vcc, v51, v2 src0_sel:WORD_0 src1_sel:DWORD
	v_cndmask_b32_e32 v18, v18, v51, vcc
; %bb.2293:                             ;   in Loop: Header=BB10_2205 Depth=3
	s_or_b64 exec, exec, s[90:91]
	v_and_b32_e32 v19, 0xffff0000, v19
	v_lshlrev_b32_e32 v32, 16, v50
	v_add_f32_e32 v50, v19, v32
	v_and_b32_e32 v19, 0x7f800000, v50
	v_cmp_ne_u32_e32 vcc, s64, v19
                                        ; implicit-def: $vgpr19
	s_and_saveexec_b64 s[90:91], vcc
	s_xor_b64 s[90:91], exec, s[90:91]
; %bb.2294:                             ;   in Loop: Header=BB10_2205 Depth=3
	v_bfe_u32 v19, v50, 16, 1
	v_add3_u32 v19, v50, v19, s65
                                        ; implicit-def: $vgpr50
; %bb.2295:                             ;   in Loop: Header=BB10_2205 Depth=3
	s_andn2_saveexec_b64 s[90:91], s[90:91]
; %bb.2296:                             ;   in Loop: Header=BB10_2205 Depth=3
	v_or_b32_e32 v19, 0x10000, v50
	v_cmp_eq_u32_sdwa vcc, v50, v2 src0_sel:WORD_0 src1_sel:DWORD
	v_cndmask_b32_e32 v19, v19, v50, vcc
; %bb.2297:                             ;   in Loop: Header=BB10_2205 Depth=3
	s_or_b64 exec, exec, s[90:91]
	v_and_b32_e32 v20, 0xffff0000, v20
	v_lshlrev_b32_e32 v32, 16, v39
	v_add_f32_e32 v39, v20, v32
	v_and_b32_e32 v20, 0x7f800000, v39
	v_cmp_ne_u32_e32 vcc, s64, v20
                                        ; implicit-def: $vgpr20
	s_and_saveexec_b64 s[90:91], vcc
	s_xor_b64 s[90:91], exec, s[90:91]
; %bb.2298:                             ;   in Loop: Header=BB10_2205 Depth=3
	v_bfe_u32 v20, v39, 16, 1
	v_add3_u32 v20, v39, v20, s65
                                        ; implicit-def: $vgpr39
; %bb.2299:                             ;   in Loop: Header=BB10_2205 Depth=3
	s_andn2_saveexec_b64 s[90:91], s[90:91]
; %bb.2300:                             ;   in Loop: Header=BB10_2205 Depth=3
	v_or_b32_e32 v20, 0x10000, v39
	v_cmp_eq_u32_sdwa vcc, v39, v2 src0_sel:WORD_0 src1_sel:DWORD
	v_cndmask_b32_e32 v20, v20, v39, vcc
; %bb.2301:                             ;   in Loop: Header=BB10_2205 Depth=3
	s_or_b64 exec, exec, s[90:91]
	v_and_b32_e32 v21, 0xffff0000, v21
	v_lshlrev_b32_e32 v32, 16, v38
	v_add_f32_e32 v38, v21, v32
	v_and_b32_e32 v21, 0x7f800000, v38
	v_cmp_ne_u32_e32 vcc, s64, v21
                                        ; implicit-def: $vgpr21
	s_and_saveexec_b64 s[90:91], vcc
	s_xor_b64 s[90:91], exec, s[90:91]
; %bb.2302:                             ;   in Loop: Header=BB10_2205 Depth=3
	v_bfe_u32 v21, v38, 16, 1
	v_add3_u32 v21, v38, v21, s65
                                        ; implicit-def: $vgpr38
; %bb.2303:                             ;   in Loop: Header=BB10_2205 Depth=3
	s_andn2_saveexec_b64 s[90:91], s[90:91]
; %bb.2304:                             ;   in Loop: Header=BB10_2205 Depth=3
	v_or_b32_e32 v21, 0x10000, v38
	v_cmp_eq_u32_sdwa vcc, v38, v2 src0_sel:WORD_0 src1_sel:DWORD
	v_cndmask_b32_e32 v21, v21, v38, vcc
; %bb.2305:                             ;   in Loop: Header=BB10_2205 Depth=3
	s_or_b64 exec, exec, s[90:91]
	v_and_b32_e32 v22, 0xffff0000, v22
	v_lshlrev_b32_e32 v32, 16, v37
	v_add_f32_e32 v37, v22, v32
	v_and_b32_e32 v22, 0x7f800000, v37
	v_cmp_ne_u32_e32 vcc, s64, v22
                                        ; implicit-def: $vgpr22
	s_and_saveexec_b64 s[90:91], vcc
	s_xor_b64 s[90:91], exec, s[90:91]
; %bb.2306:                             ;   in Loop: Header=BB10_2205 Depth=3
	v_bfe_u32 v22, v37, 16, 1
	v_add3_u32 v22, v37, v22, s65
                                        ; implicit-def: $vgpr37
; %bb.2307:                             ;   in Loop: Header=BB10_2205 Depth=3
	s_andn2_saveexec_b64 s[90:91], s[90:91]
; %bb.2308:                             ;   in Loop: Header=BB10_2205 Depth=3
	v_or_b32_e32 v22, 0x10000, v37
	v_cmp_eq_u32_sdwa vcc, v37, v2 src0_sel:WORD_0 src1_sel:DWORD
	v_cndmask_b32_e32 v22, v22, v37, vcc
; %bb.2309:                             ;   in Loop: Header=BB10_2205 Depth=3
	s_or_b64 exec, exec, s[90:91]
	v_and_b32_e32 v23, 0xffff0000, v23
	v_lshlrev_b32_e32 v32, 16, v36
	v_add_f32_e32 v36, v23, v32
	v_and_b32_e32 v23, 0x7f800000, v36
	v_cmp_ne_u32_e32 vcc, s64, v23
                                        ; implicit-def: $vgpr23
	s_and_saveexec_b64 s[90:91], vcc
	s_xor_b64 s[90:91], exec, s[90:91]
; %bb.2310:                             ;   in Loop: Header=BB10_2205 Depth=3
	v_bfe_u32 v23, v36, 16, 1
	v_add3_u32 v23, v36, v23, s65
                                        ; implicit-def: $vgpr36
; %bb.2311:                             ;   in Loop: Header=BB10_2205 Depth=3
	s_andn2_saveexec_b64 s[90:91], s[90:91]
; %bb.2312:                             ;   in Loop: Header=BB10_2205 Depth=3
	v_or_b32_e32 v23, 0x10000, v36
	v_cmp_eq_u32_sdwa vcc, v36, v2 src0_sel:WORD_0 src1_sel:DWORD
	v_cndmask_b32_e32 v23, v23, v36, vcc
; %bb.2313:                             ;   in Loop: Header=BB10_2205 Depth=3
	s_or_b64 exec, exec, s[90:91]
	v_and_b32_e32 v24, 0xffff0000, v24
	v_lshlrev_b32_e32 v32, 16, v35
	v_add_f32_e32 v35, v24, v32
	v_and_b32_e32 v24, 0x7f800000, v35
	v_cmp_ne_u32_e32 vcc, s64, v24
                                        ; implicit-def: $vgpr24
	s_and_saveexec_b64 s[90:91], vcc
	s_xor_b64 s[90:91], exec, s[90:91]
; %bb.2314:                             ;   in Loop: Header=BB10_2205 Depth=3
	v_bfe_u32 v24, v35, 16, 1
	v_add3_u32 v24, v35, v24, s65
                                        ; implicit-def: $vgpr35
; %bb.2315:                             ;   in Loop: Header=BB10_2205 Depth=3
	s_andn2_saveexec_b64 s[90:91], s[90:91]
; %bb.2316:                             ;   in Loop: Header=BB10_2205 Depth=3
	v_or_b32_e32 v24, 0x10000, v35
	v_cmp_eq_u32_sdwa vcc, v35, v2 src0_sel:WORD_0 src1_sel:DWORD
	v_cndmask_b32_e32 v24, v24, v35, vcc
; %bb.2317:                             ;   in Loop: Header=BB10_2205 Depth=3
	s_or_b64 exec, exec, s[90:91]
	v_and_b32_e32 v25, 0xffff0000, v25
	v_lshlrev_b32_e32 v32, 16, v34
	v_add_f32_e32 v34, v25, v32
	v_and_b32_e32 v25, 0x7f800000, v34
	v_cmp_ne_u32_e32 vcc, s64, v25
                                        ; implicit-def: $vgpr25
	s_and_saveexec_b64 s[90:91], vcc
	s_xor_b64 s[90:91], exec, s[90:91]
; %bb.2318:                             ;   in Loop: Header=BB10_2205 Depth=3
	v_bfe_u32 v25, v34, 16, 1
	v_add3_u32 v25, v34, v25, s65
                                        ; implicit-def: $vgpr34
; %bb.2319:                             ;   in Loop: Header=BB10_2205 Depth=3
	s_andn2_saveexec_b64 s[90:91], s[90:91]
; %bb.2320:                             ;   in Loop: Header=BB10_2205 Depth=3
	v_or_b32_e32 v25, 0x10000, v34
	v_cmp_eq_u32_sdwa vcc, v34, v2 src0_sel:WORD_0 src1_sel:DWORD
	v_cndmask_b32_e32 v25, v25, v34, vcc
; %bb.2321:                             ;   in Loop: Header=BB10_2205 Depth=3
	s_or_b64 exec, exec, s[90:91]
	v_and_b32_e32 v26, 0xffff0000, v26
	v_lshlrev_b32_e32 v31, 16, v31
	v_add_f32_e32 v31, v26, v31
	v_and_b32_e32 v26, 0x7f800000, v31
	v_cmp_ne_u32_e32 vcc, s64, v26
                                        ; implicit-def: $vgpr26
	s_and_saveexec_b64 s[90:91], vcc
	s_xor_b64 s[90:91], exec, s[90:91]
; %bb.2322:                             ;   in Loop: Header=BB10_2205 Depth=3
	v_bfe_u32 v26, v31, 16, 1
	v_add3_u32 v26, v31, v26, s65
                                        ; implicit-def: $vgpr31
; %bb.2323:                             ;   in Loop: Header=BB10_2205 Depth=3
	s_andn2_saveexec_b64 s[90:91], s[90:91]
; %bb.2324:                             ;   in Loop: Header=BB10_2205 Depth=3
	v_or_b32_e32 v26, 0x10000, v31
	v_cmp_eq_u32_sdwa vcc, v31, v2 src0_sel:WORD_0 src1_sel:DWORD
	v_cndmask_b32_e32 v26, v26, v31, vcc
; %bb.2325:                             ;   in Loop: Header=BB10_2205 Depth=3
	s_or_b64 exec, exec, s[90:91]
	v_and_b32_e32 v27, 0xffff0000, v27
	v_lshlrev_b32_e32 v30, 16, v30
	v_add_f32_e32 v30, v27, v30
	v_and_b32_e32 v27, 0x7f800000, v30
	v_cmp_ne_u32_e32 vcc, s64, v27
                                        ; implicit-def: $vgpr27
	s_and_saveexec_b64 s[90:91], vcc
	s_xor_b64 s[90:91], exec, s[90:91]
; %bb.2326:                             ;   in Loop: Header=BB10_2205 Depth=3
	v_bfe_u32 v27, v30, 16, 1
	v_add3_u32 v27, v30, v27, s65
                                        ; implicit-def: $vgpr30
; %bb.2327:                             ;   in Loop: Header=BB10_2205 Depth=3
	s_andn2_saveexec_b64 s[90:91], s[90:91]
; %bb.2328:                             ;   in Loop: Header=BB10_2205 Depth=3
	v_or_b32_e32 v27, 0x10000, v30
	v_cmp_eq_u32_sdwa vcc, v30, v2 src0_sel:WORD_0 src1_sel:DWORD
	v_cndmask_b32_e32 v27, v27, v30, vcc
; %bb.2329:                             ;   in Loop: Header=BB10_2205 Depth=3
	s_or_b64 exec, exec, s[90:91]
	v_and_b32_e32 v28, 0xffff0000, v28
	v_lshlrev_b32_e32 v29, 16, v29
	v_add_f32_e32 v29, v28, v29
	v_and_b32_e32 v28, 0x7f800000, v29
	v_cmp_ne_u32_e32 vcc, s64, v28
                                        ; implicit-def: $vgpr28
	s_and_saveexec_b64 s[90:91], vcc
	s_xor_b64 s[90:91], exec, s[90:91]
; %bb.2330:                             ;   in Loop: Header=BB10_2205 Depth=3
	v_bfe_u32 v28, v29, 16, 1
	v_add3_u32 v28, v29, v28, s65
                                        ; implicit-def: $vgpr29
; %bb.2331:                             ;   in Loop: Header=BB10_2205 Depth=3
	s_andn2_saveexec_b64 s[90:91], s[90:91]
	s_cbranch_execz .LBB10_2204
; %bb.2332:                             ;   in Loop: Header=BB10_2205 Depth=3
	v_or_b32_e32 v28, 0x10000, v29
	v_cmp_eq_u32_sdwa vcc, v29, v2 src0_sel:WORD_0 src1_sel:DWORD
	v_cndmask_b32_e32 v28, v28, v29, vcc
	s_branch .LBB10_2204
.LBB10_2333:                            ;   in Loop: Header=BB10_1303 Depth=2
	s_or_b64 exec, exec, s[42:43]
.LBB10_2334:                            ;   in Loop: Header=BB10_1303 Depth=2
	s_or_b64 exec, exec, s[40:41]
	v_lshlrev_b32_e32 v5, 11, v6
	v_cmp_ne_u32_e32 vcc, v33, v5
	s_and_b64 exec, exec, vcc
	s_cbranch_execz .LBB10_2346
; %bb.2335:                             ;   in Loop: Header=BB10_1303 Depth=2
	v_lshlrev_b32_e32 v3, 6, v3
	v_sub_u32_e32 v1, v1, v3
	v_lshlrev_b32_e32 v3, 6, v4
	v_sub_u32_e32 v1, v1, v3
	v_ashrrev_i32_e32 v3, 31, v1
	v_lshrrev_b32_e32 v3, 26, v3
	v_add_u32_e32 v3, v1, v3
	v_and_b32_e32 v4, 0x7fffffc0, v3
	v_sub_u32_e32 v1, v1, v4
	v_lshlrev_b32_e32 v3, 1, v3
	v_and_b32_e32 v3, 0xffffff80, v3
	v_lshlrev_b32_e32 v1, 1, v1
	v_add3_u32 v3, v3, v1, v5
	v_sub_u32_e32 v1, v33, v3
	v_cmp_lt_i32_e32 vcc, 1, v1
	s_and_b64 exec, exec, vcc
	s_cbranch_execz .LBB10_2346
; %bb.2336:                             ;   in Loop: Header=BB10_1303 Depth=2
	v_add_u32_e32 v0, v3, v0
	buffer_load_dword v3, off, s[0:3], s33 offset:240 ; 4-byte Folded Reload
	buffer_load_dword v4, off, s[0:3], s33 offset:244 ; 4-byte Folded Reload
	v_ashrrev_i32_e32 v5, 31, v0
	s_trap 2
	s_mov_b64 s[40:41], 0
	s_waitcnt vmcnt(0)
	v_add_co_u32_e32 v8, vcc, v0, v3
	v_addc_co_u32_e32 v9, vcc, v5, v4, vcc
	ds_read_b64 v[3:4], v0
	s_waitcnt lgkmcnt(0)
	v_add_co_u32_e32 v10, vcc, v3, v0
	v_addc_co_u32_e32 v11, vcc, v4, v5, vcc
	buffer_load_dword v3, off, s[0:3], s33 offset:224 ; 4-byte Folded Reload
	buffer_load_dword v4, off, s[0:3], s33 offset:228 ; 4-byte Folded Reload
	s_waitcnt vmcnt(1)
	v_add_co_u32_e32 v3, vcc, v0, v3
	ds_read_b32 v0, v0
	s_waitcnt vmcnt(0)
	v_addc_co_u32_e32 v4, vcc, v5, v4, vcc
	s_waitcnt lgkmcnt(0)
	v_lshlrev_b32_e32 v0, 16, v0
	s_branch .LBB10_2338
.LBB10_2337:                            ;   in Loop: Header=BB10_2338 Depth=3
	s_or_b64 exec, exec, s[42:43]
	buffer_load_dword v5, off, s[0:3], s33 offset:96 ; 4-byte Folded Reload
	s_waitcnt vmcnt(0)
	v_add_co_u32_e32 v8, vcc, v8, v5
	v_addc_co_u32_e32 v9, vcc, 0, v9, vcc
	v_add_co_u32_e32 v10, vcc, v10, v5
	v_addc_co_u32_e32 v11, vcc, 0, v11, vcc
	v_sub_u32_e32 v1, v1, v5
	v_cmp_gt_i32_e32 vcc, 2, v1
	flat_store_short_d16_hi v[3:4], v6 glc slc
	s_or_b64 s[40:41], vcc, s[40:41]
	v_add_co_u32_e32 v3, vcc, v3, v5
	v_addc_co_u32_e32 v4, vcc, 0, v4, vcc
	s_andn2_b64 exec, exec, s[40:41]
	s_cbranch_execz .LBB10_2346
.LBB10_2338:                            ;   Parent Loop BB10_47 Depth=1
                                        ;     Parent Loop BB10_1303 Depth=2
                                        ; =>    This Inner Loop Header: Depth=3
	flat_load_ushort v5, v[8:9] glc slc
	s_waitcnt vmcnt(0) lgkmcnt(0)
	v_lshlrev_b32_e32 v5, 16, v5
	v_mul_f32_e32 v5, v0, v5
	v_and_b32_e32 v6, 0x7f800000, v5
	v_cmp_ne_u32_e32 vcc, s64, v6
                                        ; implicit-def: $vgpr6
	s_and_saveexec_b64 s[42:43], vcc
	s_xor_b64 s[42:43], exec, s[42:43]
; %bb.2339:                             ;   in Loop: Header=BB10_2338 Depth=3
	v_bfe_u32 v6, v5, 16, 1
	v_add3_u32 v6, v5, v6, s65
                                        ; implicit-def: $vgpr5
; %bb.2340:                             ;   in Loop: Header=BB10_2338 Depth=3
	s_andn2_saveexec_b64 s[42:43], s[42:43]
; %bb.2341:                             ;   in Loop: Header=BB10_2338 Depth=3
	v_or_b32_e32 v6, 0x10000, v5
	v_cmp_eq_u32_sdwa vcc, v5, v2 src0_sel:WORD_0 src1_sel:DWORD
	v_cndmask_b32_e32 v6, v6, v5, vcc
; %bb.2342:                             ;   in Loop: Header=BB10_2338 Depth=3
	s_or_b64 exec, exec, s[42:43]
	flat_load_ushort v5, v[10:11] glc slc
	v_and_b32_e32 v6, 0xffff0000, v6
	s_waitcnt vmcnt(0) lgkmcnt(0)
	v_lshlrev_b32_e32 v5, 16, v5
	v_add_f32_e32 v5, v6, v5
	v_and_b32_e32 v6, 0x7f800000, v5
	v_cmp_ne_u32_e32 vcc, s64, v6
                                        ; implicit-def: $vgpr6
	s_and_saveexec_b64 s[42:43], vcc
	s_xor_b64 s[42:43], exec, s[42:43]
; %bb.2343:                             ;   in Loop: Header=BB10_2338 Depth=3
	v_bfe_u32 v6, v5, 16, 1
	v_add3_u32 v6, v5, v6, s65
                                        ; implicit-def: $vgpr5
; %bb.2344:                             ;   in Loop: Header=BB10_2338 Depth=3
	s_andn2_saveexec_b64 s[42:43], s[42:43]
	s_cbranch_execz .LBB10_2337
; %bb.2345:                             ;   in Loop: Header=BB10_2338 Depth=3
	v_or_b32_e32 v6, 0x10000, v5
	v_cmp_eq_u32_sdwa vcc, v5, v2 src0_sel:WORD_0 src1_sel:DWORD
	v_cndmask_b32_e32 v6, v6, v5, vcc
	s_branch .LBB10_2337
.LBB10_2346:                            ;   in Loop: Header=BB10_1303 Depth=2
	s_or_b64 exec, exec, s[28:29]
	v_cmp_lt_i32_e64 s[28:29], 0, v62
	s_and_saveexec_b64 s[40:41], s[10:11]
	s_cbranch_execz .LBB10_1379
.LBB10_2347:                            ;   in Loop: Header=BB10_1303 Depth=2
	s_and_saveexec_b64 s[42:43], s[56:57]
	s_xor_b64 s[42:43], exec, s[42:43]
	s_cbranch_execz .LBB10_2362
; %bb.2348:                             ;   in Loop: Header=BB10_1303 Depth=2
	s_and_saveexec_b64 s[90:91], s[16:17]
	s_cbranch_execz .LBB10_2361
; %bb.2349:                             ;   in Loop: Header=BB10_1303 Depth=2
	s_mov_b64 s[94:95], exec
	v_mbcnt_lo_u32_b32 v0, s94, 0
	v_mbcnt_hi_u32_b32 v0, s95, v0
	v_cmp_eq_u32_e32 vcc, 0, v0
	s_waitcnt vmcnt(0) lgkmcnt(0)
	buffer_wbinvl1_vol
	s_and_saveexec_b64 s[92:93], vcc
	s_cbranch_execz .LBB10_2351
; %bb.2350:                             ;   in Loop: Header=BB10_1303 Depth=2
	s_bcnt1_i32_b64 s94, s[94:95]
	v_mov_b32_e32 v0, s94
	v_mov_b32_e32 v1, v2
	ds_add_u64 v0, v[0:1]
	s_trap 2
.LBB10_2351:                            ;   in Loop: Header=BB10_1303 Depth=2
	s_or_b64 exec, exec, s[92:93]
	s_trap 2
	ds_read_b64 v[0:1], v0
	s_waitcnt lgkmcnt(0)
	buffer_load_dword v3, off, s[0:3], s33 offset:72 ; 4-byte Folded Reload
	buffer_load_dword v4, off, s[0:3], s33 offset:76 ; 4-byte Folded Reload
	;; [unrolled: 1-line block ×3, first 2 shown]
	s_waitcnt vmcnt(0)
	v_add_co_u32_e32 v3, vcc, v3, v5
	v_addc_co_u32_e32 v4, vcc, 0, v4, vcc
	buffer_store_dword v3, off, s[0:3], s33 offset:72 ; 4-byte Folded Spill
	s_nop 0
	buffer_store_dword v4, off, s[0:3], s33 offset:76 ; 4-byte Folded Spill
	v_cmp_lt_u64_e32 vcc, v[0:1], v[3:4]
	s_and_saveexec_b64 s[92:93], vcc
	s_cbranch_execz .LBB10_2360
; %bb.2352:                             ;   in Loop: Header=BB10_1303 Depth=2
	s_mov_b32 s48, 0
	s_mov_b64 s[94:95], 0
                                        ; implicit-def: $sgpr30_sgpr31
                                        ; implicit-def: $sgpr34_sgpr35
	s_branch .LBB10_2354
.LBB10_2353:                            ;   in Loop: Header=BB10_2354 Depth=3
	s_or_b64 exec, exec, s[38:39]
	s_and_b64 vcc, exec, vcc
	s_or_b64 s[94:95], vcc, s[94:95]
	s_andn2_b64 vcc, s[30:31], exec
	s_and_b64 s[30:31], s[34:35], exec
	s_or_b64 s[30:31], vcc, s[30:31]
	s_andn2_b64 exec, exec, s[94:95]
	s_cbranch_execz .LBB10_2358
.LBB10_2354:                            ;   Parent Loop BB10_47 Depth=1
                                        ;     Parent Loop BB10_1303 Depth=2
                                        ; =>    This Inner Loop Header: Depth=3
	s_add_i32 s48, s48, 1
	s_cmpk_lg_i32 s48, 0x2710
	s_cselect_b64 s[36:37], -1, 0
	s_and_b64 vcc, exec, s[36:37]
	s_cbranch_vccz .LBB10_2356
; %bb.2355:                             ;   in Loop: Header=BB10_2354 Depth=3
	s_mov_b64 vcc, -1
	s_or_b64 s[34:35], s[34:35], exec
	s_and_saveexec_b64 s[38:39], s[36:37]
	s_cbranch_execz .LBB10_2353
	s_branch .LBB10_2357
.LBB10_2356:                            ;   in Loop: Header=BB10_2354 Depth=3
	s_trap 2
	ds_read_b64 v[0:1], v0
	s_andn2_b64 s[36:37], s[36:37], exec
	s_mov_b32 s48, 0
	s_waitcnt vmcnt(0) lgkmcnt(0)
	flat_load_dword v0, v[0:1] glc
	s_waitcnt vmcnt(0) lgkmcnt(0)
	buffer_wbinvl1_vol
	v_cmp_eq_u32_e32 vcc, 0, v0
	s_and_b64 vcc, vcc, exec
	s_or_b64 s[36:37], s[36:37], vcc
	s_mov_b64 vcc, -1
	s_or_b64 s[34:35], s[34:35], exec
	s_and_saveexec_b64 s[38:39], s[36:37]
	s_cbranch_execz .LBB10_2353
.LBB10_2357:                            ;   in Loop: Header=BB10_2354 Depth=3
	s_sleep 1
	s_trap 2
	ds_read_b64 v[0:1], v0
	s_waitcnt lgkmcnt(0)
	buffer_load_dword v3, off, s[0:3], s33 offset:72 ; 4-byte Folded Reload
	buffer_load_dword v4, off, s[0:3], s33 offset:76 ; 4-byte Folded Reload
	s_andn2_b64 s[34:35], s[34:35], exec
	s_waitcnt vmcnt(0)
	v_cmp_ge_u64_e32 vcc, v[0:1], v[3:4]
	s_orn2_b64 vcc, vcc, exec
	s_branch .LBB10_2353
.LBB10_2358:                            ;   in Loop: Header=BB10_1303 Depth=2
	s_or_b64 exec, exec, s[94:95]
	s_and_saveexec_b64 s[94:95], s[30:31]
	s_xor_b64 s[94:95], exec, s[94:95]
	s_cbranch_execz .LBB10_2360
; %bb.2359:                             ;   in Loop: Header=BB10_1303 Depth=2
	v_mov_b32_e32 v0, 1
	ds_write_b32 v0, v0
	s_trap 2
.LBB10_2360:                            ;   in Loop: Header=BB10_1303 Depth=2
	s_or_b64 exec, exec, s[92:93]
	;;#ASMSTART
	s_wakeup
	;;#ASMEND
.LBB10_2361:                            ;   in Loop: Header=BB10_1303 Depth=2
	s_or_b64 exec, exec, s[90:91]
.LBB10_2362:                            ;   in Loop: Header=BB10_1303 Depth=2
	s_andn2_saveexec_b64 s[42:43], s[42:43]
	s_cbranch_execz .LBB10_2364
; %bb.2363:                             ;   in Loop: Header=BB10_1303 Depth=2
	s_waitcnt vmcnt(0) lgkmcnt(0)
	buffer_wbinvl1_vol
	s_barrier
.LBB10_2364:                            ;   in Loop: Header=BB10_1303 Depth=2
	s_or_b64 exec, exec, s[42:43]
	s_or_b64 exec, exec, s[40:41]
                                        ; implicit-def: $vgpr0
	s_and_saveexec_b64 s[40:41], s[24:25]
	s_xor_b64 s[40:41], exec, s[40:41]
	s_cbranch_execnz .LBB10_1380
.LBB10_2365:                            ;   in Loop: Header=BB10_1303 Depth=2
	s_andn2_saveexec_b64 s[28:29], s[40:41]
	s_cbranch_execz .LBB10_2384
.LBB10_2366:                            ;   in Loop: Header=BB10_1303 Depth=2
	s_and_saveexec_b64 s[40:41], s[56:57]
	s_xor_b64 s[40:41], exec, s[40:41]
	s_cbranch_execz .LBB10_2381
; %bb.2367:                             ;   in Loop: Header=BB10_1303 Depth=2
	s_and_saveexec_b64 s[42:43], s[16:17]
	s_cbranch_execz .LBB10_2380
; %bb.2368:                             ;   in Loop: Header=BB10_1303 Depth=2
	s_mov_b64 s[92:93], exec
	v_mbcnt_lo_u32_b32 v0, s92, 0
	v_mbcnt_hi_u32_b32 v0, s93, v0
	v_cmp_eq_u32_e32 vcc, 0, v0
	;;#ASMSTART
	s_waitcnt lgkmcnt(0) vmcnt(0)
	;;#ASMEND
	s_and_saveexec_b64 s[90:91], vcc
	s_cbranch_execz .LBB10_2370
; %bb.2369:                             ;   in Loop: Header=BB10_1303 Depth=2
	s_bcnt1_i32_b64 s92, s[92:93]
	v_mov_b32_e32 v0, s92
	s_waitcnt vmcnt(0)
	v_mov_b32_e32 v1, v2
	s_waitcnt lgkmcnt(0)
	ds_add_u64 v0, v[0:1]
	s_trap 2
.LBB10_2370:                            ;   in Loop: Header=BB10_1303 Depth=2
	s_or_b64 exec, exec, s[90:91]
	s_trap 2
	s_waitcnt vmcnt(0)
	ds_read_b64 v[0:1], v0
	s_waitcnt lgkmcnt(0)
	buffer_load_dword v3, off, s[0:3], s33 offset:72 ; 4-byte Folded Reload
	buffer_load_dword v4, off, s[0:3], s33 offset:76 ; 4-byte Folded Reload
	;; [unrolled: 1-line block ×3, first 2 shown]
	s_waitcnt vmcnt(0)
	v_add_co_u32_e32 v3, vcc, v3, v5
	v_addc_co_u32_e32 v4, vcc, 0, v4, vcc
	buffer_store_dword v3, off, s[0:3], s33 offset:72 ; 4-byte Folded Spill
	s_nop 0
	buffer_store_dword v4, off, s[0:3], s33 offset:76 ; 4-byte Folded Spill
	v_cmp_lt_u64_e32 vcc, v[0:1], v[3:4]
	s_and_saveexec_b64 s[90:91], vcc
	s_cbranch_execz .LBB10_2379
; %bb.2371:                             ;   in Loop: Header=BB10_1303 Depth=2
	s_mov_b32 s38, 0
	s_mov_b64 s[92:93], 0
                                        ; implicit-def: $sgpr94_sgpr95
                                        ; implicit-def: $sgpr30_sgpr31
	s_branch .LBB10_2373
.LBB10_2372:                            ;   in Loop: Header=BB10_2373 Depth=3
	s_or_b64 exec, exec, s[36:37]
	s_and_b64 vcc, exec, vcc
	s_or_b64 s[92:93], vcc, s[92:93]
	s_andn2_b64 s[94:95], s[94:95], exec
	s_and_b64 vcc, s[30:31], exec
	s_or_b64 s[94:95], s[94:95], vcc
	s_andn2_b64 exec, exec, s[92:93]
	s_cbranch_execz .LBB10_2377
.LBB10_2373:                            ;   Parent Loop BB10_47 Depth=1
                                        ;     Parent Loop BB10_1303 Depth=2
                                        ; =>    This Inner Loop Header: Depth=3
	s_add_i32 s38, s38, 1
	s_cmpk_lg_i32 s38, 0x2710
	s_cselect_b64 s[34:35], -1, 0
	s_and_b64 vcc, exec, s[34:35]
	s_cbranch_vccz .LBB10_2375
; %bb.2374:                             ;   in Loop: Header=BB10_2373 Depth=3
	s_mov_b64 vcc, -1
	s_or_b64 s[30:31], s[30:31], exec
	s_and_saveexec_b64 s[36:37], s[34:35]
	s_cbranch_execz .LBB10_2372
	s_branch .LBB10_2376
.LBB10_2375:                            ;   in Loop: Header=BB10_2373 Depth=3
	s_trap 2
	ds_read_b64 v[0:1], v0
	s_andn2_b64 s[34:35], s[34:35], exec
	s_mov_b32 s38, 0
	s_waitcnt vmcnt(0) lgkmcnt(0)
	flat_load_dword v0, v[0:1] glc
	s_waitcnt vmcnt(0) lgkmcnt(0)
	buffer_wbinvl1_vol
	v_cmp_eq_u32_e32 vcc, 0, v0
	s_and_b64 vcc, vcc, exec
	s_or_b64 s[34:35], s[34:35], vcc
	s_mov_b64 vcc, -1
	s_or_b64 s[30:31], s[30:31], exec
	s_and_saveexec_b64 s[36:37], s[34:35]
	s_cbranch_execz .LBB10_2372
.LBB10_2376:                            ;   in Loop: Header=BB10_2373 Depth=3
	s_sleep 1
	s_trap 2
	ds_read_b64 v[0:1], v0
	s_waitcnt lgkmcnt(0)
	buffer_load_dword v3, off, s[0:3], s33 offset:72 ; 4-byte Folded Reload
	buffer_load_dword v4, off, s[0:3], s33 offset:76 ; 4-byte Folded Reload
	s_andn2_b64 s[30:31], s[30:31], exec
	s_waitcnt vmcnt(0)
	v_cmp_ge_u64_e32 vcc, v[0:1], v[3:4]
	s_orn2_b64 vcc, vcc, exec
	s_branch .LBB10_2372
.LBB10_2377:                            ;   in Loop: Header=BB10_1303 Depth=2
	s_or_b64 exec, exec, s[92:93]
	s_and_saveexec_b64 s[92:93], s[94:95]
	s_xor_b64 s[92:93], exec, s[92:93]
	s_cbranch_execz .LBB10_2379
; %bb.2378:                             ;   in Loop: Header=BB10_1303 Depth=2
	v_mov_b32_e32 v0, 1
	ds_write_b32 v0, v0
	s_trap 2
.LBB10_2379:                            ;   in Loop: Header=BB10_1303 Depth=2
	s_or_b64 exec, exec, s[90:91]
	;;#ASMSTART
	s_wakeup
	;;#ASMEND
.LBB10_2380:                            ;   in Loop: Header=BB10_1303 Depth=2
	s_or_b64 exec, exec, s[42:43]
.LBB10_2381:                            ;   in Loop: Header=BB10_1303 Depth=2
	s_andn2_saveexec_b64 s[40:41], s[40:41]
	s_cbranch_execz .LBB10_2383
; %bb.2382:                             ;   in Loop: Header=BB10_1303 Depth=2
	;;#ASMSTART
	s_waitcnt lgkmcnt(0) vmcnt(0)
	;;#ASMEND
	s_waitcnt vmcnt(0) lgkmcnt(0)
	s_barrier
.LBB10_2383:                            ;   in Loop: Header=BB10_1303 Depth=2
	s_or_b64 exec, exec, s[40:41]
	buffer_load_dword v0, off, s[0:3], s33 offset:68 ; 4-byte Folded Reload
	s_waitcnt vmcnt(0)
	v_and_b32_e32 v0, 16, v0
.LBB10_2384:                            ;   in Loop: Header=BB10_1303 Depth=2
	s_or_b64 exec, exec, s[28:29]
	v_cmp_ne_u32_e32 vcc, 0, v0
	s_xor_b64 s[28:29], s[12:13], -1
	s_and_b64 s[40:41], vcc, s[28:29]
	s_and_saveexec_b64 s[28:29], s[40:41]
	s_cbranch_execz .LBB10_2386
; %bb.2385:                             ;   in Loop: Header=BB10_1303 Depth=2
	buffer_load_dword v0, off, s[0:3], s33 offset:128 ; 4-byte Folded Reload
	buffer_load_dword v1, off, s[0:3], s33 offset:132 ; 4-byte Folded Reload
	v_mov_b32_e32 v3, 1
	s_waitcnt vmcnt(0)
	flat_store_dword v[0:1], v3
.LBB10_2386:                            ;   in Loop: Header=BB10_1303 Depth=2
	s_or_b64 exec, exec, s[28:29]
	buffer_load_dword v0, off, s[0:3], s33 offset:68 ; 4-byte Folded Reload
	s_waitcnt vmcnt(0)
	v_and_b32_e32 v0, 48, v0
	v_cmp_ne_u32_e32 vcc, 0, v0
	s_and_saveexec_b64 s[28:29], vcc
	s_cbranch_execz .LBB10_1302
; %bb.2387:                             ;   in Loop: Header=BB10_1303 Depth=2
	buffer_load_dword v3, off, s[0:3], s33 offset:80 ; 4-byte Folded Reload
	buffer_load_dword v4, off, s[0:3], s33 offset:84 ; 4-byte Folded Reload
	buffer_load_dword v0, off, s[0:3], s33 offset:60 ; 4-byte Folded Reload
	buffer_load_dword v1, off, s[0:3], s33 offset:64 ; 4-byte Folded Reload
	s_waitcnt vmcnt(0)
	v_add_co_u32_e32 v3, vcc, 2, v3
	v_addc_co_u32_e32 v4, vcc, 0, v4, vcc
	buffer_store_dword v3, off, s[0:3], s33 offset:80 ; 4-byte Folded Spill
	s_nop 0
	buffer_store_dword v4, off, s[0:3], s33 offset:84 ; 4-byte Folded Spill
	flat_store_dwordx2 v[0:1], v[3:4]
	s_branch .LBB10_1302
.LBB10_2388:                            ;   in Loop: Header=BB10_47 Depth=1
	s_or_b64 exec, exec, s[76:77]
	v_cmp_gt_i32_e32 vcc, 2, v0
	s_and_saveexec_b64 s[40:41], vcc
	s_cbranch_execz .LBB10_2464
.LBB10_2389:                            ;   in Loop: Header=BB10_47 Depth=1
	v_cmp_eq_u32_e64 s[76:77], 0, v0
	buffer_load_dword v14, off, s[0:3], s33 offset:200 ; 4-byte Folded Reload
	buffer_load_dword v15, off, s[0:3], s33 offset:204 ; 4-byte Folded Reload
	;; [unrolled: 1-line block ×4, first 2 shown]
	s_mov_b64 s[42:43], 0
	s_waitcnt vmcnt(0)
	v_mov_b32_e32 v1, v0
	s_branch .LBB10_2391
.LBB10_2390:                            ;   in Loop: Header=BB10_2391 Depth=2
	s_or_b64 exec, exec, s[28:29]
	v_mov_b32_e32 v1, v15
	v_add_u32_e32 v1, v14, v1
	s_mov_b64 s[76:77], 0
	s_andn2_b64 exec, exec, s[42:43]
	s_cbranch_execz .LBB10_2465
.LBB10_2391:                            ;   Parent Loop BB10_47 Depth=1
                                        ; =>  This Loop Header: Depth=2
                                        ;       Child Loop BB10_2397 Depth 3
                                        ;       Child Loop BB10_2425 Depth 3
                                        ;       Child Loop BB10_2448 Depth 3
	buffer_load_dword v0, off, s[0:3], s33 offset:208 ; 4-byte Folded Reload
	v_mov_b32_e32 v15, v1
	s_waitcnt vmcnt(0)
	v_sub_u32_e32 v0, v0, v1
	v_min_i32_e32 v14, v14, v0
	buffer_load_dword v0, off, s[0:3], s33 offset:68 ; 4-byte Folded Reload
	s_waitcnt vmcnt(0)
	v_and_b32_e32 v0, 12, v0
	v_cmp_ne_u32_e32 vcc, 0, v0
	s_and_saveexec_b64 s[78:79], vcc
	s_cbranch_execz .LBB10_2417
; %bb.2392:                             ;   in Loop: Header=BB10_2391 Depth=2
	buffer_load_dword v0, off, s[0:3], s33 offset:68 ; 4-byte Folded Reload
	buffer_load_dword v3, off, s[0:3], s33 offset:80 ; 4-byte Folded Reload
	buffer_load_dword v4, off, s[0:3], s33 offset:84 ; 4-byte Folded Reload
	s_waitcnt vmcnt(0)
	v_and_b32_e32 v0, 8, v0
	s_waitcnt lgkmcnt(0)
	v_add_co_u32_e32 v5, vcc, v48, v0
	v_addc_co_u32_e32 v6, vcc, 0, v49, vcc
	v_add_co_u32_e32 v3, vcc, 2, v3
	v_addc_co_u32_e32 v4, vcc, 0, v4, vcc
	v_cmp_lt_u64_e32 vcc, v[5:6], v[3:4]
	s_and_saveexec_b64 s[88:89], vcc
	s_cbranch_execz .LBB10_2404
; %bb.2393:                             ;   in Loop: Header=BB10_2391 Depth=2
	buffer_load_dword v1, off, s[0:3], s33 offset:68 ; 4-byte Folded Reload
	s_mov_b32 s75, 0
	s_mov_b64 s[90:91], 0
                                        ; implicit-def: $sgpr92_sgpr93
                                        ; implicit-def: $sgpr94_sgpr95
                                        ; implicit-def: $sgpr30_sgpr31
	s_waitcnt vmcnt(0)
	v_and_b32_e32 v1, 64, v1
	v_cmp_eq_u32_e32 vcc, 0, v1
	s_branch .LBB10_2397
.LBB10_2394:                            ;   in Loop: Header=BB10_2397 Depth=3
	s_waitcnt vmcnt(0) lgkmcnt(0)
	v_add_co_u32_e64 v5, s[28:29], v48, v0
	v_addc_co_u32_e64 v6, s[28:29], 0, v49, s[28:29]
	v_cmp_ge_u64_e64 s[28:29], v[5:6], v[3:4]
	s_or_b64 s[38:39], s[38:39], exec
	s_orn2_b64 s[36:37], s[28:29], exec
.LBB10_2395:                            ;   in Loop: Header=BB10_2397 Depth=3
	s_or_b64 exec, exec, s[50:51]
	s_andn2_b64 s[28:29], s[30:31], exec
	s_and_b64 s[30:31], s[38:39], exec
	s_or_b64 s[30:31], s[28:29], s[30:31]
	s_andn2_b64 s[28:29], s[94:95], exec
	s_and_b64 s[94:95], s[36:37], exec
	s_or_b64 s[94:95], s[28:29], s[94:95]
.LBB10_2396:                            ;   in Loop: Header=BB10_2397 Depth=3
	s_or_b64 exec, exec, s[34:35]
	s_and_b64 s[28:29], exec, s[94:95]
	s_or_b64 s[90:91], s[28:29], s[90:91]
	s_andn2_b64 s[28:29], s[92:93], exec
	s_and_b64 s[92:93], s[30:31], exec
	s_or_b64 s[92:93], s[28:29], s[92:93]
	s_andn2_b64 exec, exec, s[90:91]
	s_cbranch_execz .LBB10_2401
.LBB10_2397:                            ;   Parent Loop BB10_47 Depth=1
                                        ;     Parent Loop BB10_2391 Depth=2
                                        ; =>    This Inner Loop Header: Depth=3
	s_sleep 1
	buffer_load_dword v5, off, s[0:3], s33 offset:60 ; 4-byte Folded Reload
	buffer_load_dword v6, off, s[0:3], s33 offset:64 ; 4-byte Folded Reload
	s_or_b64 s[30:31], s[30:31], exec
	s_or_b64 s[94:95], s[94:95], exec
                                        ; implicit-def: $vgpr1
	s_waitcnt vmcnt(0) lgkmcnt(0)
	flat_load_dwordx2 v[48:49], v[5:6] glc
	s_and_saveexec_b64 s[34:35], vcc
	s_cbranch_execz .LBB10_2396
; %bb.2398:                             ;   in Loop: Header=BB10_2397 Depth=3
	s_cmpk_lt_i32 s75, 0x270f
	s_cselect_b64 s[48:49], -1, 0
	s_cmpk_gt_i32 s75, 0x270e
	s_mov_b64 s[36:37], -1
	s_cbranch_scc0 .LBB10_2400
; %bb.2399:                             ;   in Loop: Header=BB10_2397 Depth=3
	s_trap 2
	ds_read_b64 v[5:6], v0
	s_andn2_b64 s[48:49], s[48:49], exec
	s_mov_b32 s75, 0
	s_mov_b64 s[38:39], 0
	s_waitcnt vmcnt(0) lgkmcnt(0)
	flat_load_dword v1, v[5:6] glc
	s_waitcnt vmcnt(0) lgkmcnt(0)
	buffer_wbinvl1_vol
	v_cmp_eq_u32_e64 s[28:29], 0, v1
	s_and_b64 s[28:29], s[28:29], exec
	s_or_b64 s[48:49], s[48:49], s[28:29]
	s_and_saveexec_b64 s[50:51], s[48:49]
	s_cbranch_execz .LBB10_2395
	s_branch .LBB10_2394
.LBB10_2400:                            ;   in Loop: Header=BB10_2397 Depth=3
	s_add_i32 s75, s75, 1
	s_mov_b64 s[38:39], -1
                                        ; implicit-def: $vgpr1
	s_and_saveexec_b64 s[50:51], s[48:49]
	s_cbranch_execz .LBB10_2395
	s_branch .LBB10_2394
.LBB10_2401:                            ;   in Loop: Header=BB10_2391 Depth=2
	s_or_b64 exec, exec, s[90:91]
	s_xor_b64 s[28:29], s[92:93], -1
	s_and_saveexec_b64 s[90:91], s[28:29]
	s_xor_b64 s[28:29], exec, s[90:91]
	s_cbranch_execz .LBB10_2403
; %bb.2402:                             ;   in Loop: Header=BB10_2391 Depth=2
	s_waitcnt lgkmcnt(0)
	ds_write_b32 v0, v1
	s_trap 2
	buffer_load_dword v1, off, s[0:3], s33 offset:68 ; 4-byte Folded Reload
	s_waitcnt vmcnt(0)
	v_or_b32_e32 v1, 64, v1
	buffer_store_dword v1, off, s[0:3], s33 offset:68 ; 4-byte Folded Spill
.LBB10_2403:                            ;   in Loop: Header=BB10_2391 Depth=2
	s_or_b64 exec, exec, s[28:29]
.LBB10_2404:                            ;   in Loop: Header=BB10_2391 Depth=2
	s_or_b64 exec, exec, s[88:89]
	;;#ASMSTART
	s_wakeup
	;;#ASMEND
	buffer_load_dword v1, off, s[0:3], s33 offset:68 ; 4-byte Folded Reload
                                        ; implicit-def: $vgpr8_vgpr9
	s_waitcnt vmcnt(0)
	v_and_b32_e32 v1, 0x108, v1
	v_cmp_ne_u32_e32 vcc, s68, v1
	s_and_saveexec_b64 s[28:29], vcc
	s_xor_b64 s[28:29], exec, s[28:29]
	s_cbranch_execz .LBB10_2406
; %bb.2405:                             ;   in Loop: Header=BB10_2391 Depth=2
	buffer_load_dword v5, off, s[0:3], s33 offset:80 ; 4-byte Folded Reload
	buffer_load_dword v6, off, s[0:3], s33 offset:84 ; 4-byte Folded Reload
	v_mov_b32_e32 v9, v2
	s_waitcnt vmcnt(0)
	v_and_b32_e32 v8, 7, v5
                                        ; implicit-def: $vgpr5_vgpr6
                                        ; kill: killed $vgpr5_vgpr6
.LBB10_2406:                            ;   in Loop: Header=BB10_2391 Depth=2
	s_andn2_saveexec_b64 s[28:29], s[28:29]
	s_cbranch_execz .LBB10_2408
; %bb.2407:                             ;   in Loop: Header=BB10_2391 Depth=2
	buffer_load_dword v5, off, s[0:3], s33 offset:80 ; 4-byte Folded Reload
	buffer_load_dword v6, off, s[0:3], s33 offset:84 ; 4-byte Folded Reload
	;; [unrolled: 1-line block ×6, first 2 shown]
	s_waitcnt vmcnt(0)
	v_and_b32_e32 v8, 7, v5
	v_mad_u64_u32 v[5:6], s[88:89], v8, 24, v[9:10]
	v_mov_b32_e32 v9, v14
	v_ashrrev_i32_e32 v10, 31, v9
	v_lshlrev_b64 v[10:11], 1, v[9:10]
	v_mov_b32_e32 v9, v2
	flat_store_dwordx2 v[5:6], v[10:11] offset:8
.LBB10_2408:                            ;   in Loop: Header=BB10_2391 Depth=2
	s_or_b64 exec, exec, s[28:29]
	buffer_load_dword v1, off, s[0:3], s33 offset:68 ; 4-byte Folded Reload
	s_mov_b64 s[28:29], -1
                                        ; implicit-def: $vgpr10_vgpr11
	s_waitcnt vmcnt(0)
	v_and_b32_e32 v1, 0x100, v1
	v_cmp_ne_u32_e32 vcc, 0, v1
	s_and_saveexec_b64 s[88:89], vcc
	s_cbranch_execz .LBB10_2412
; %bb.2409:                             ;   in Loop: Header=BB10_2391 Depth=2
	buffer_load_dword v10, off, s[0:3], s33 offset:112 ; 4-byte Folded Reload
	buffer_load_dword v11, off, s[0:3], s33 offset:116 ; 4-byte Folded Reload
	;; [unrolled: 1-line block ×4, first 2 shown]
	s_waitcnt vmcnt(0)
	v_mad_u64_u32 v[12:13], s[28:29], v8, 24, v[10:11]
                                        ; implicit-def: $vgpr10_vgpr11
	v_mov_b32_e32 v1, v13
	v_mad_u64_u32 v[5:6], s[28:29], v9, 24, v[1:2]
	v_mov_b32_e32 v13, v5
	flat_load_dword v1, v[12:13]
	s_waitcnt vmcnt(0) lgkmcnt(0)
	v_cmp_ne_u32_e32 vcc, 1, v1
	v_cmp_eq_u32_e64 s[28:29], 1, v1
	s_and_saveexec_b64 s[90:91], s[28:29]
	s_cbranch_execz .LBB10_2411
; %bb.2410:                             ;   in Loop: Header=BB10_2391 Depth=2
	flat_load_dword v5, v[12:13] offset:4 glc
	s_waitcnt vmcnt(0) lgkmcnt(0)
	v_ashrrev_i32_e32 v6, 31, v5
	v_lshrrev_b64 v[10:11], 1, v[5:6]
.LBB10_2411:                            ;   in Loop: Header=BB10_2391 Depth=2
	s_or_b64 exec, exec, s[90:91]
	s_orn2_b64 s[28:29], vcc, exec
.LBB10_2412:                            ;   in Loop: Header=BB10_2391 Depth=2
	s_or_b64 exec, exec, s[88:89]
	s_and_saveexec_b64 s[88:89], s[28:29]
	s_cbranch_execz .LBB10_2414
; %bb.2413:                             ;   in Loop: Header=BB10_2391 Depth=2
	buffer_load_dword v6, off, s[0:3], s33 offset:140 ; 4-byte Folded Reload
	buffer_load_dword v5, off, s[0:3], s33 offset:160 ; 4-byte Folded Reload
	s_waitcnt vmcnt(0)
	v_mul_lo_u32 v1, v9, v6
	v_mul_lo_u32 v5, v8, v5
	v_mad_u64_u32 v[10:11], s[28:29], v8, v6, 0
	v_add3_u32 v11, v11, v5, v1
.LBB10_2414:                            ;   in Loop: Header=BB10_2391 Depth=2
	s_or_b64 exec, exec, s[88:89]
	buffer_load_dword v6, off, s[0:3], s33 offset:104 ; 4-byte Folded Reload
	buffer_load_dword v7, off, s[0:3], s33 offset:108 ; 4-byte Folded Reload
	v_cmp_eq_u32_e32 vcc, 0, v0
	v_mov_b32_e32 v0, 0x90
	v_mov_b32_e32 v1, 0xd0
	v_cndmask_b32_e32 v5, v1, v0, vcc
	v_lshlrev_b64 v[0:1], 1, v[10:11]
	s_waitcnt vmcnt(0)
	v_add_co_u32_e32 v0, vcc, v6, v0
	v_addc_co_u32_e32 v1, vcc, v7, v1, vcc
	v_add_u32_e32 v5, v0, v5
	ds_write_b64 v5, v[0:1] offset:584
	buffer_load_dword v0, off, s[0:3], s33 offset:68 ; 4-byte Folded Reload
	s_waitcnt vmcnt(0)
	v_and_b32_e32 v0, 0x2000, v0
	v_cmp_ne_u32_e32 vcc, 0, v0
	s_and_saveexec_b64 s[28:29], vcc
	s_cbranch_execz .LBB10_2416
; %bb.2415:                             ;   in Loop: Header=BB10_2391 Depth=2
	ds_read_b64 v[0:1], v0 offset:872
	s_waitcnt lgkmcnt(0)
	v_add_co_u32_e32 v0, vcc, 1, v0
	v_addc_co_u32_e32 v1, vcc, 0, v1, vcc
	ds_write_b64 v0, v[0:1] offset:872
.LBB10_2416:                            ;   in Loop: Header=BB10_2391 Depth=2
	s_or_b64 exec, exec, s[28:29]
	buffer_store_dword v3, off, s[0:3], s33 offset:80 ; 4-byte Folded Spill
	s_nop 0
	buffer_store_dword v4, off, s[0:3], s33 offset:84 ; 4-byte Folded Spill
.LBB10_2417:                            ;   in Loop: Header=BB10_2391 Depth=2
	s_or_b64 exec, exec, s[78:79]
	s_xor_b64 s[28:29], s[76:77], -1
	s_and_b64 s[28:29], exec, s[28:29]
	s_or_b64 s[42:43], s[28:29], s[42:43]
	s_and_saveexec_b64 s[28:29], s[10:11]
	s_cbranch_execz .LBB10_2436
; %bb.2418:                             ;   in Loop: Header=BB10_2391 Depth=2
	s_and_saveexec_b64 s[76:77], s[56:57]
	s_xor_b64 s[76:77], exec, s[76:77]
	s_cbranch_execz .LBB10_2433
; %bb.2419:                             ;   in Loop: Header=BB10_2391 Depth=2
	s_and_saveexec_b64 s[78:79], s[16:17]
	s_cbranch_execz .LBB10_2432
; %bb.2420:                             ;   in Loop: Header=BB10_2391 Depth=2
	s_mov_b64 s[90:91], exec
	v_mbcnt_lo_u32_b32 v0, s90, 0
	v_mbcnt_hi_u32_b32 v0, s91, v0
	v_cmp_eq_u32_e32 vcc, 0, v0
	s_waitcnt vmcnt(0) lgkmcnt(0)
	buffer_wbinvl1_vol
	s_and_saveexec_b64 s[88:89], vcc
	s_cbranch_execz .LBB10_2422
; %bb.2421:                             ;   in Loop: Header=BB10_2391 Depth=2
	s_bcnt1_i32_b64 s75, s[90:91]
	v_mov_b32_e32 v0, s75
	v_mov_b32_e32 v1, v2
	ds_add_u64 v0, v[0:1]
	s_trap 2
.LBB10_2422:                            ;   in Loop: Header=BB10_2391 Depth=2
	s_or_b64 exec, exec, s[88:89]
	s_trap 2
	ds_read_b64 v[0:1], v0
	s_waitcnt lgkmcnt(0)
	buffer_load_dword v3, off, s[0:3], s33 offset:72 ; 4-byte Folded Reload
	buffer_load_dword v4, off, s[0:3], s33 offset:76 ; 4-byte Folded Reload
	;; [unrolled: 1-line block ×3, first 2 shown]
	s_waitcnt vmcnt(0)
	v_add_co_u32_e32 v3, vcc, v3, v5
	v_addc_co_u32_e32 v4, vcc, 0, v4, vcc
	buffer_store_dword v3, off, s[0:3], s33 offset:72 ; 4-byte Folded Spill
	s_nop 0
	buffer_store_dword v4, off, s[0:3], s33 offset:76 ; 4-byte Folded Spill
	v_cmp_lt_u64_e32 vcc, v[0:1], v[3:4]
	s_and_saveexec_b64 s[88:89], vcc
	s_cbranch_execz .LBB10_2431
; %bb.2423:                             ;   in Loop: Header=BB10_2391 Depth=2
	s_mov_b32 s75, 0
	s_mov_b64 s[90:91], 0
                                        ; implicit-def: $sgpr92_sgpr93
                                        ; implicit-def: $sgpr94_sgpr95
	s_branch .LBB10_2425
.LBB10_2424:                            ;   in Loop: Header=BB10_2425 Depth=3
	s_or_b64 exec, exec, s[34:35]
	s_and_b64 vcc, exec, vcc
	s_or_b64 s[90:91], vcc, s[90:91]
	s_andn2_b64 s[92:93], s[92:93], exec
	s_and_b64 vcc, s[94:95], exec
	s_or_b64 s[92:93], s[92:93], vcc
	s_andn2_b64 exec, exec, s[90:91]
	s_cbranch_execz .LBB10_2429
.LBB10_2425:                            ;   Parent Loop BB10_47 Depth=1
                                        ;     Parent Loop BB10_2391 Depth=2
                                        ; =>    This Inner Loop Header: Depth=3
	s_add_i32 s75, s75, 1
	s_cmpk_lg_i32 s75, 0x2710
	s_cselect_b64 s[30:31], -1, 0
	s_and_b64 vcc, exec, s[30:31]
	s_cbranch_vccz .LBB10_2427
; %bb.2426:                             ;   in Loop: Header=BB10_2425 Depth=3
	s_mov_b64 vcc, -1
	s_or_b64 s[94:95], s[94:95], exec
	s_and_saveexec_b64 s[34:35], s[30:31]
	s_cbranch_execz .LBB10_2424
	s_branch .LBB10_2428
.LBB10_2427:                            ;   in Loop: Header=BB10_2425 Depth=3
	s_trap 2
	ds_read_b64 v[0:1], v0
	s_andn2_b64 s[30:31], s[30:31], exec
	s_mov_b32 s75, 0
	s_waitcnt vmcnt(0) lgkmcnt(0)
	flat_load_dword v0, v[0:1] glc
	s_waitcnt vmcnt(0) lgkmcnt(0)
	buffer_wbinvl1_vol
	v_cmp_eq_u32_e32 vcc, 0, v0
	s_and_b64 vcc, vcc, exec
	s_or_b64 s[30:31], s[30:31], vcc
	s_mov_b64 vcc, -1
	s_or_b64 s[94:95], s[94:95], exec
	s_and_saveexec_b64 s[34:35], s[30:31]
	s_cbranch_execz .LBB10_2424
.LBB10_2428:                            ;   in Loop: Header=BB10_2425 Depth=3
	s_sleep 1
	s_trap 2
	ds_read_b64 v[0:1], v0
	s_waitcnt lgkmcnt(0)
	buffer_load_dword v3, off, s[0:3], s33 offset:72 ; 4-byte Folded Reload
	buffer_load_dword v4, off, s[0:3], s33 offset:76 ; 4-byte Folded Reload
	s_andn2_b64 s[94:95], s[94:95], exec
	s_waitcnt vmcnt(0)
	v_cmp_ge_u64_e32 vcc, v[0:1], v[3:4]
	s_orn2_b64 vcc, vcc, exec
	s_branch .LBB10_2424
.LBB10_2429:                            ;   in Loop: Header=BB10_2391 Depth=2
	s_or_b64 exec, exec, s[90:91]
	s_and_saveexec_b64 s[90:91], s[92:93]
	s_xor_b64 s[90:91], exec, s[90:91]
	s_cbranch_execz .LBB10_2431
; %bb.2430:                             ;   in Loop: Header=BB10_2391 Depth=2
	v_mov_b32_e32 v0, 1
	ds_write_b32 v0, v0
	s_trap 2
.LBB10_2431:                            ;   in Loop: Header=BB10_2391 Depth=2
	s_or_b64 exec, exec, s[88:89]
	;;#ASMSTART
	s_wakeup
	;;#ASMEND
.LBB10_2432:                            ;   in Loop: Header=BB10_2391 Depth=2
	s_or_b64 exec, exec, s[78:79]
.LBB10_2433:                            ;   in Loop: Header=BB10_2391 Depth=2
	s_andn2_saveexec_b64 s[76:77], s[76:77]
	s_cbranch_execz .LBB10_2435
; %bb.2434:                             ;   in Loop: Header=BB10_2391 Depth=2
	s_waitcnt vmcnt(0) lgkmcnt(0)
	buffer_wbinvl1_vol
	s_barrier
.LBB10_2435:                            ;   in Loop: Header=BB10_2391 Depth=2
	s_or_b64 exec, exec, s[76:77]
.LBB10_2436:                            ;   in Loop: Header=BB10_2391 Depth=2
	s_or_b64 exec, exec, s[28:29]
                                        ; implicit-def: $vgpr0
	s_and_saveexec_b64 s[28:29], s[24:25]
	s_xor_b64 s[28:29], exec, s[28:29]
	s_cbranch_execz .LBB10_2440
; %bb.2437:                             ;   in Loop: Header=BB10_2391 Depth=2
	s_trap 2
	buffer_load_dword v1, off, s[0:3], s33 offset:68 ; 4-byte Folded Reload
	ds_read_b32 v0, v0
	v_cmp_lt_i32_e32 vcc, 0, v14
	s_waitcnt lgkmcnt(0)
	v_readfirstlane_b32 s75, v0
	s_cmp_eq_u32 s75, 0
	s_cselect_b64 s[76:77], -1, 0
	s_and_b64 s[76:77], vcc, s[76:77]
	s_waitcnt vmcnt(0)
	v_and_b32_e32 v0, 16, v1
	v_and_b32_e32 v1, 16, v1
	v_cmp_ne_u32_e32 vcc, 0, v1
	s_and_b64 s[78:79], vcc, s[76:77]
	s_and_saveexec_b64 s[76:77], s[78:79]
	s_cbranch_execz .LBB10_2439
; %bb.2438:                             ;   in Loop: Header=BB10_2391 Depth=2
	v_mov_b32_e32 v0, 1
	buffer_wbinvl1_vol
.LBB10_2439:                            ;   in Loop: Header=BB10_2391 Depth=2
	s_or_b64 exec, exec, s[76:77]
	s_andn2_saveexec_b64 s[28:29], s[28:29]
	s_cbranch_execz .LBB10_2459
	s_branch .LBB10_2441
.LBB10_2440:                            ;   in Loop: Header=BB10_2391 Depth=2
	s_andn2_saveexec_b64 s[28:29], s[28:29]
	s_cbranch_execz .LBB10_2459
.LBB10_2441:                            ;   in Loop: Header=BB10_2391 Depth=2
	s_and_saveexec_b64 s[76:77], s[56:57]
	s_xor_b64 s[76:77], exec, s[76:77]
	s_cbranch_execz .LBB10_2456
; %bb.2442:                             ;   in Loop: Header=BB10_2391 Depth=2
	s_and_saveexec_b64 s[78:79], s[16:17]
	s_cbranch_execz .LBB10_2455
; %bb.2443:                             ;   in Loop: Header=BB10_2391 Depth=2
	s_mov_b64 s[90:91], exec
	v_mbcnt_lo_u32_b32 v0, s90, 0
	v_mbcnt_hi_u32_b32 v0, s91, v0
	v_cmp_eq_u32_e32 vcc, 0, v0
	;;#ASMSTART
	s_waitcnt lgkmcnt(0) vmcnt(0)
	;;#ASMEND
	s_and_saveexec_b64 s[88:89], vcc
	s_cbranch_execz .LBB10_2445
; %bb.2444:                             ;   in Loop: Header=BB10_2391 Depth=2
	s_bcnt1_i32_b64 s75, s[90:91]
	v_mov_b32_e32 v0, s75
	v_mov_b32_e32 v1, v2
	s_waitcnt lgkmcnt(0)
	ds_add_u64 v0, v[0:1]
	s_trap 2
.LBB10_2445:                            ;   in Loop: Header=BB10_2391 Depth=2
	s_or_b64 exec, exec, s[88:89]
	s_trap 2
	ds_read_b64 v[0:1], v0
	s_waitcnt lgkmcnt(0)
	buffer_load_dword v3, off, s[0:3], s33 offset:72 ; 4-byte Folded Reload
	buffer_load_dword v4, off, s[0:3], s33 offset:76 ; 4-byte Folded Reload
	;; [unrolled: 1-line block ×3, first 2 shown]
	s_waitcnt vmcnt(0)
	v_add_co_u32_e32 v3, vcc, v3, v5
	v_addc_co_u32_e32 v4, vcc, 0, v4, vcc
	buffer_store_dword v3, off, s[0:3], s33 offset:72 ; 4-byte Folded Spill
	s_nop 0
	buffer_store_dword v4, off, s[0:3], s33 offset:76 ; 4-byte Folded Spill
	v_cmp_lt_u64_e32 vcc, v[0:1], v[3:4]
	s_and_saveexec_b64 s[88:89], vcc
	s_cbranch_execz .LBB10_2454
; %bb.2446:                             ;   in Loop: Header=BB10_2391 Depth=2
	s_mov_b32 s75, 0
	s_mov_b64 s[90:91], 0
                                        ; implicit-def: $sgpr92_sgpr93
                                        ; implicit-def: $sgpr94_sgpr95
	s_branch .LBB10_2448
.LBB10_2447:                            ;   in Loop: Header=BB10_2448 Depth=3
	s_or_b64 exec, exec, s[34:35]
	s_and_b64 vcc, exec, vcc
	s_or_b64 s[90:91], vcc, s[90:91]
	s_andn2_b64 s[92:93], s[92:93], exec
	s_and_b64 vcc, s[94:95], exec
	s_or_b64 s[92:93], s[92:93], vcc
	s_andn2_b64 exec, exec, s[90:91]
	s_cbranch_execz .LBB10_2452
.LBB10_2448:                            ;   Parent Loop BB10_47 Depth=1
                                        ;     Parent Loop BB10_2391 Depth=2
                                        ; =>    This Inner Loop Header: Depth=3
	s_add_i32 s75, s75, 1
	s_cmpk_lg_i32 s75, 0x2710
	s_cselect_b64 s[30:31], -1, 0
	s_and_b64 vcc, exec, s[30:31]
	s_cbranch_vccz .LBB10_2450
; %bb.2449:                             ;   in Loop: Header=BB10_2448 Depth=3
	s_mov_b64 vcc, -1
	s_or_b64 s[94:95], s[94:95], exec
	s_and_saveexec_b64 s[34:35], s[30:31]
	s_cbranch_execz .LBB10_2447
	s_branch .LBB10_2451
.LBB10_2450:                            ;   in Loop: Header=BB10_2448 Depth=3
	s_trap 2
	ds_read_b64 v[0:1], v0
	s_andn2_b64 s[30:31], s[30:31], exec
	s_mov_b32 s75, 0
	s_waitcnt vmcnt(0) lgkmcnt(0)
	flat_load_dword v0, v[0:1] glc
	s_waitcnt vmcnt(0) lgkmcnt(0)
	buffer_wbinvl1_vol
	v_cmp_eq_u32_e32 vcc, 0, v0
	s_and_b64 vcc, vcc, exec
	s_or_b64 s[30:31], s[30:31], vcc
	s_mov_b64 vcc, -1
	s_or_b64 s[94:95], s[94:95], exec
	s_and_saveexec_b64 s[34:35], s[30:31]
	s_cbranch_execz .LBB10_2447
.LBB10_2451:                            ;   in Loop: Header=BB10_2448 Depth=3
	s_sleep 1
	s_trap 2
	ds_read_b64 v[0:1], v0
	s_waitcnt lgkmcnt(0)
	buffer_load_dword v3, off, s[0:3], s33 offset:72 ; 4-byte Folded Reload
	buffer_load_dword v4, off, s[0:3], s33 offset:76 ; 4-byte Folded Reload
	s_andn2_b64 s[94:95], s[94:95], exec
	s_waitcnt vmcnt(0)
	v_cmp_ge_u64_e32 vcc, v[0:1], v[3:4]
	s_orn2_b64 vcc, vcc, exec
	s_branch .LBB10_2447
.LBB10_2452:                            ;   in Loop: Header=BB10_2391 Depth=2
	s_or_b64 exec, exec, s[90:91]
	s_and_saveexec_b64 s[90:91], s[92:93]
	s_xor_b64 s[90:91], exec, s[90:91]
	s_cbranch_execz .LBB10_2454
; %bb.2453:                             ;   in Loop: Header=BB10_2391 Depth=2
	v_mov_b32_e32 v0, 1
	ds_write_b32 v0, v0
	s_trap 2
.LBB10_2454:                            ;   in Loop: Header=BB10_2391 Depth=2
	s_or_b64 exec, exec, s[88:89]
	;;#ASMSTART
	s_wakeup
	;;#ASMEND
.LBB10_2455:                            ;   in Loop: Header=BB10_2391 Depth=2
	s_or_b64 exec, exec, s[78:79]
.LBB10_2456:                            ;   in Loop: Header=BB10_2391 Depth=2
	s_andn2_saveexec_b64 s[76:77], s[76:77]
	s_cbranch_execz .LBB10_2458
; %bb.2457:                             ;   in Loop: Header=BB10_2391 Depth=2
	;;#ASMSTART
	s_waitcnt lgkmcnt(0) vmcnt(0)
	;;#ASMEND
	s_waitcnt vmcnt(0) lgkmcnt(0)
	s_barrier
.LBB10_2458:                            ;   in Loop: Header=BB10_2391 Depth=2
	s_or_b64 exec, exec, s[76:77]
	buffer_load_dword v0, off, s[0:3], s33 offset:68 ; 4-byte Folded Reload
	s_waitcnt vmcnt(0)
	v_and_b32_e32 v0, 16, v0
.LBB10_2459:                            ;   in Loop: Header=BB10_2391 Depth=2
	s_or_b64 exec, exec, s[28:29]
	v_cmp_ne_u32_e32 vcc, 0, v0
	s_xor_b64 s[28:29], s[12:13], -1
	s_and_b64 s[76:77], vcc, s[28:29]
	s_and_saveexec_b64 s[28:29], s[76:77]
	s_cbranch_execz .LBB10_2461
; %bb.2460:                             ;   in Loop: Header=BB10_2391 Depth=2
	buffer_load_dword v0, off, s[0:3], s33 offset:128 ; 4-byte Folded Reload
	buffer_load_dword v1, off, s[0:3], s33 offset:132 ; 4-byte Folded Reload
	v_mov_b32_e32 v3, 1
	s_waitcnt vmcnt(0)
	flat_store_dword v[0:1], v3
.LBB10_2461:                            ;   in Loop: Header=BB10_2391 Depth=2
	s_or_b64 exec, exec, s[28:29]
	buffer_load_dword v0, off, s[0:3], s33 offset:68 ; 4-byte Folded Reload
	s_waitcnt vmcnt(0)
	v_and_b32_e32 v0, 48, v0
	v_cmp_ne_u32_e32 vcc, 0, v0
	s_and_saveexec_b64 s[28:29], vcc
	s_cbranch_execz .LBB10_2390
; %bb.2462:                             ;   in Loop: Header=BB10_2391 Depth=2
	buffer_load_dword v3, off, s[0:3], s33 offset:80 ; 4-byte Folded Reload
	buffer_load_dword v4, off, s[0:3], s33 offset:84 ; 4-byte Folded Reload
	;; [unrolled: 1-line block ×4, first 2 shown]
	s_waitcnt vmcnt(0)
	v_add_co_u32_e32 v3, vcc, 2, v3
	v_addc_co_u32_e32 v4, vcc, 0, v4, vcc
	buffer_store_dword v3, off, s[0:3], s33 offset:80 ; 4-byte Folded Spill
	s_nop 0
	buffer_store_dword v4, off, s[0:3], s33 offset:84 ; 4-byte Folded Spill
	flat_store_dwordx2 v[0:1], v[3:4]
	s_branch .LBB10_2390
.LBB10_2463:                            ;   in Loop: Header=BB10_47 Depth=1
	s_or_b64 exec, exec, s[78:79]
	s_or_b64 exec, exec, s[76:77]
	v_cmp_gt_i32_e32 vcc, 2, v0
	s_and_saveexec_b64 s[40:41], vcc
	s_cbranch_execnz .LBB10_2389
.LBB10_2464:                            ;   in Loop: Header=BB10_47 Depth=1
	s_or_b64 exec, exec, s[40:41]
	s_and_b64 vcc, exec, s[26:27]
	s_cbranch_vccz .LBB10_2466
	s_branch .LBB10_2722
.LBB10_2465:                            ;   in Loop: Header=BB10_47 Depth=1
	s_or_b64 exec, exec, s[42:43]
	s_or_b64 exec, exec, s[40:41]
	s_and_b64 vcc, exec, s[26:27]
	s_cbranch_vccnz .LBB10_2722
.LBB10_2466:                            ;   in Loop: Header=BB10_47 Depth=1
	s_mov_b32 s75, 1
.LBB10_2467:                            ;   Parent Loop BB10_47 Depth=1
                                        ; =>  This Loop Header: Depth=2
                                        ;       Child Loop BB10_2470 Depth 3
                                        ;         Child Loop BB10_2478 Depth 4
                                        ;         Child Loop BB10_2506 Depth 4
	;; [unrolled: 1-line block ×9, first 2 shown]
                                        ;           Child Loop BB10_2560 Depth 5
                                        ;         Child Loop BB10_2567 Depth 4
                                        ;         Child Loop BB10_2572 Depth 4
                                        ;           Child Loop BB10_2573 Depth 5
                                        ;         Child Loop BB10_2609 Depth 4
                                        ;         Child Loop BB10_2628 Depth 4
                                        ;       Child Loop BB10_2646 Depth 3
                                        ;         Child Loop BB10_2652 Depth 4
                                        ;         Child Loop BB10_2680 Depth 4
	;; [unrolled: 1-line block ×3, first 2 shown]
	buffer_load_dword v5, off, s[0:3], s33 offset:340 ; 4-byte Folded Reload
	buffer_load_dword v6, off, s[0:3], s33 offset:344 ; 4-byte Folded Reload
	s_sub_i32 s26, s71, s75
	s_cmp_ge_i32 s26, s52
	s_cselect_b32 s27, s52, 0
	s_sub_i32 s26, s26, s27
	s_ashr_i32 s28, s26, 31
	v_mov_b32_e32 v14, 0
	s_waitcnt vmcnt(0)
	v_mul_lo_u32 v1, v5, s28
	v_mul_lo_u32 v0, v6, s26
	v_mad_u64_u32 v[3:4], s[26:27], v5, s26, 0
	v_add3_u32 v4, v4, v1, v0
	buffer_load_dword v0, off, s[0:3], s33 offset:332 ; 4-byte Folded Reload
	buffer_load_dword v1, off, s[0:3], s33 offset:336 ; 4-byte Folded Reload
	s_waitcnt vmcnt(0)
	v_sub_co_u32_e32 v0, vcc, v0, v3
	v_subb_co_u32_e32 v1, vcc, v1, v4, vcc
	v_cmp_lt_i64_e32 vcc, v[5:6], v[0:1]
	v_cndmask_b32_e32 v0, v0, v5, vcc
	v_max_i32_e32 v5, 0, v0
	v_add_u32_e32 v1, 31, v5
	v_lshrrev_b32_e32 v1, 1, v1
	v_and_b32_e32 v1, 0x3ffffff0, v1
	v_cmp_lt_i32_e32 vcc, 0, v0
	v_max_i32_e32 v12, s82, v1
	s_and_b64 s[26:27], s[72:73], vcc
	v_mov_b32_e32 v0, 0
	s_and_saveexec_b64 s[42:43], s[26:27]
	s_cbranch_execz .LBB10_2643
; %bb.2468:                             ;   in Loop: Header=BB10_2467 Depth=2
	buffer_load_dword v0, off, s[0:3], s33 offset:192 ; 4-byte Folded Reload
	buffer_load_dword v1, off, s[0:3], s33 offset:196 ; 4-byte Folded Reload
	s_mov_b32 s50, 1
	s_mov_b64 s[78:79], -1
	v_mov_b32_e32 v14, 0
	s_mov_b64 s[76:77], 0
	s_waitcnt vmcnt(0)
	v_add_co_u32_e32 v0, vcc, v3, v0
	v_addc_co_u32_e32 v1, vcc, v4, v1, vcc
	v_lshlrev_b64 v[16:17], 1, v[0:1]
	s_branch .LBB10_2470
.LBB10_2469:                            ;   in Loop: Header=BB10_2470 Depth=3
	s_or_b64 exec, exec, s[26:27]
	v_add_u32_e32 v14, v12, v14
	v_cmp_ge_i32_e32 vcc, v14, v5
	s_xor_b64 s[26:27], s[78:79], -1
	s_or_b64 s[26:27], s[26:27], vcc
	s_and_b64 s[26:27], exec, s[26:27]
	s_or_b64 s[76:77], s[26:27], s[76:77]
	s_mov_b64 s[78:79], 0
	v_mov_b32_e32 v0, s50
	s_mov_b32 s50, 2
	s_andn2_b64 exec, exec, s[76:77]
	s_cbranch_execz .LBB10_2718
.LBB10_2470:                            ;   Parent Loop BB10_47 Depth=1
                                        ;     Parent Loop BB10_2467 Depth=2
                                        ; =>    This Loop Header: Depth=3
                                        ;         Child Loop BB10_2478 Depth 4
                                        ;         Child Loop BB10_2506 Depth 4
	;; [unrolled: 1-line block ×9, first 2 shown]
                                        ;           Child Loop BB10_2560 Depth 5
                                        ;         Child Loop BB10_2567 Depth 4
                                        ;         Child Loop BB10_2572 Depth 4
                                        ;           Child Loop BB10_2573 Depth 5
                                        ;         Child Loop BB10_2609 Depth 4
                                        ;         Child Loop BB10_2628 Depth 4
	s_and_saveexec_b64 s[26:27], s[4:5]
	s_cbranch_execz .LBB10_2472
; %bb.2471:                             ;   in Loop: Header=BB10_2470 Depth=3
	s_trap 2
	ds_read_b128 v[6:9], v0
	v_ashrrev_i32_e32 v15, 31, v14
	v_lshlrev_b64 v[0:1], 1, v[14:15]
	s_waitcnt lgkmcnt(0)
	v_add_co_u32_e32 v3, vcc, v6, v16
	v_addc_co_u32_e32 v4, vcc, v7, v17, vcc
	v_add_co_u32_e32 v3, vcc, v3, v0
	v_addc_co_u32_e32 v4, vcc, v4, v1, vcc
	ds_write_b64 v0, v[3:4]
	v_add_co_u32_e32 v3, vcc, v8, v16
	v_addc_co_u32_e32 v4, vcc, v9, v17, vcc
	v_add_co_u32_e32 v0, vcc, v3, v0
	v_addc_co_u32_e32 v1, vcc, v4, v1, vcc
	v_cmp_ne_u64_e32 vcc, 0, v[8:9]
	v_cndmask_b32_e32 v1, 0, v1, vcc
	v_cndmask_b32_e32 v0, 0, v0, vcc
	ds_write_b64 v0, v[0:1]
.LBB10_2472:                            ;   in Loop: Header=BB10_2470 Depth=3
	s_or_b64 exec, exec, s[26:27]
	v_sub_u32_e32 v0, v5, v14
	v_min_i32_e32 v12, v12, v0
	buffer_load_dword v0, off, s[0:3], s33 offset:68 ; 4-byte Folded Reload
	s_waitcnt vmcnt(0)
	v_and_b32_e32 v0, 12, v0
	v_cmp_ne_u32_e32 vcc, 0, v0
	s_and_saveexec_b64 s[28:29], vcc
	s_cbranch_execz .LBB10_2498
; %bb.2473:                             ;   in Loop: Header=BB10_2470 Depth=3
	buffer_load_dword v0, off, s[0:3], s33 offset:68 ; 4-byte Folded Reload
	buffer_load_dword v3, off, s[0:3], s33 offset:80 ; 4-byte Folded Reload
	;; [unrolled: 1-line block ×3, first 2 shown]
	s_waitcnt vmcnt(0)
	v_and_b32_e32 v0, 8, v0
	s_waitcnt lgkmcnt(0)
	v_add_co_u32_e32 v6, vcc, v48, v0
	v_addc_co_u32_e32 v7, vcc, 0, v49, vcc
	v_add_co_u32_e32 v3, vcc, 2, v3
	v_addc_co_u32_e32 v4, vcc, 0, v4, vcc
	v_cmp_lt_u64_e32 vcc, v[6:7], v[3:4]
	s_and_saveexec_b64 s[40:41], vcc
	s_cbranch_execz .LBB10_2485
; %bb.2474:                             ;   in Loop: Header=BB10_2470 Depth=3
	buffer_load_dword v1, off, s[0:3], s33 offset:68 ; 4-byte Folded Reload
	s_mov_b32 s51, 0
	s_mov_b64 s[88:89], 0
                                        ; implicit-def: $sgpr90_sgpr91
                                        ; implicit-def: $sgpr92_sgpr93
                                        ; implicit-def: $sgpr94_sgpr95
	s_waitcnt vmcnt(0)
	v_and_b32_e32 v1, 64, v1
	v_cmp_eq_u32_e32 vcc, 0, v1
	s_branch .LBB10_2478
.LBB10_2475:                            ;   in Loop: Header=BB10_2478 Depth=4
	s_waitcnt vmcnt(0) lgkmcnt(0)
	v_add_co_u32_e64 v6, s[26:27], v48, v0
	v_addc_co_u32_e64 v7, s[26:27], 0, v49, s[26:27]
	v_cmp_ge_u64_e64 s[26:27], v[6:7], v[3:4]
	s_or_b64 s[36:37], s[36:37], exec
	s_orn2_b64 s[34:35], s[26:27], exec
.LBB10_2476:                            ;   in Loop: Header=BB10_2478 Depth=4
	s_or_b64 exec, exec, s[48:49]
	s_andn2_b64 s[26:27], s[94:95], exec
	s_and_b64 s[94:95], s[36:37], exec
	s_or_b64 s[94:95], s[26:27], s[94:95]
	s_andn2_b64 s[26:27], s[92:93], exec
	s_and_b64 s[92:93], s[34:35], exec
	s_or_b64 s[92:93], s[26:27], s[92:93]
.LBB10_2477:                            ;   in Loop: Header=BB10_2478 Depth=4
	s_or_b64 exec, exec, s[30:31]
	s_and_b64 s[26:27], exec, s[92:93]
	s_or_b64 s[88:89], s[26:27], s[88:89]
	s_andn2_b64 s[26:27], s[90:91], exec
	s_and_b64 s[90:91], s[94:95], exec
	s_or_b64 s[90:91], s[26:27], s[90:91]
	s_andn2_b64 exec, exec, s[88:89]
	s_cbranch_execz .LBB10_2482
.LBB10_2478:                            ;   Parent Loop BB10_47 Depth=1
                                        ;     Parent Loop BB10_2467 Depth=2
                                        ;       Parent Loop BB10_2470 Depth=3
                                        ; =>      This Inner Loop Header: Depth=4
	s_sleep 1
	buffer_load_dword v6, off, s[0:3], s33 offset:60 ; 4-byte Folded Reload
	buffer_load_dword v7, off, s[0:3], s33 offset:64 ; 4-byte Folded Reload
	s_or_b64 s[94:95], s[94:95], exec
	s_or_b64 s[92:93], s[92:93], exec
                                        ; implicit-def: $vgpr1
	s_waitcnt vmcnt(0) lgkmcnt(0)
	flat_load_dwordx2 v[48:49], v[6:7] glc
	s_and_saveexec_b64 s[30:31], vcc
	s_cbranch_execz .LBB10_2477
; %bb.2479:                             ;   in Loop: Header=BB10_2478 Depth=4
	s_cmpk_lt_i32 s51, 0x270f
	s_cselect_b64 s[38:39], -1, 0
	s_cmpk_gt_i32 s51, 0x270e
	s_mov_b64 s[34:35], -1
	s_cbranch_scc0 .LBB10_2481
; %bb.2480:                             ;   in Loop: Header=BB10_2478 Depth=4
	s_trap 2
	ds_read_b64 v[6:7], v0
	s_andn2_b64 s[38:39], s[38:39], exec
	s_mov_b32 s51, 0
	s_mov_b64 s[36:37], 0
	s_waitcnt vmcnt(0) lgkmcnt(0)
	flat_load_dword v1, v[6:7] glc
	s_waitcnt vmcnt(0) lgkmcnt(0)
	buffer_wbinvl1_vol
	v_cmp_eq_u32_e64 s[26:27], 0, v1
	s_and_b64 s[26:27], s[26:27], exec
	s_or_b64 s[38:39], s[38:39], s[26:27]
	s_and_saveexec_b64 s[48:49], s[38:39]
	s_cbranch_execz .LBB10_2476
	s_branch .LBB10_2475
.LBB10_2481:                            ;   in Loop: Header=BB10_2478 Depth=4
	s_add_i32 s51, s51, 1
	s_mov_b64 s[36:37], -1
                                        ; implicit-def: $vgpr1
	s_and_saveexec_b64 s[48:49], s[38:39]
	s_cbranch_execz .LBB10_2476
	s_branch .LBB10_2475
.LBB10_2482:                            ;   in Loop: Header=BB10_2470 Depth=3
	s_or_b64 exec, exec, s[88:89]
	s_xor_b64 s[26:27], s[90:91], -1
	s_and_saveexec_b64 s[88:89], s[26:27]
	s_xor_b64 s[26:27], exec, s[88:89]
	s_cbranch_execz .LBB10_2484
; %bb.2483:                             ;   in Loop: Header=BB10_2470 Depth=3
	s_waitcnt lgkmcnt(0)
	ds_write_b32 v0, v1
	s_trap 2
	buffer_load_dword v1, off, s[0:3], s33 offset:68 ; 4-byte Folded Reload
	s_waitcnt vmcnt(0)
	v_or_b32_e32 v1, 64, v1
	buffer_store_dword v1, off, s[0:3], s33 offset:68 ; 4-byte Folded Spill
.LBB10_2484:                            ;   in Loop: Header=BB10_2470 Depth=3
	s_or_b64 exec, exec, s[26:27]
.LBB10_2485:                            ;   in Loop: Header=BB10_2470 Depth=3
	s_or_b64 exec, exec, s[40:41]
	;;#ASMSTART
	s_wakeup
	;;#ASMEND
	buffer_load_dword v1, off, s[0:3], s33 offset:68 ; 4-byte Folded Reload
                                        ; implicit-def: $vgpr8_vgpr9
	s_waitcnt vmcnt(0)
	v_and_b32_e32 v1, 0x108, v1
	v_cmp_ne_u32_e32 vcc, s68, v1
	s_and_saveexec_b64 s[26:27], vcc
	s_xor_b64 s[26:27], exec, s[26:27]
	s_cbranch_execz .LBB10_2487
; %bb.2486:                             ;   in Loop: Header=BB10_2470 Depth=3
	buffer_load_dword v6, off, s[0:3], s33 offset:80 ; 4-byte Folded Reload
	buffer_load_dword v7, off, s[0:3], s33 offset:84 ; 4-byte Folded Reload
	v_mov_b32_e32 v9, v2
	s_waitcnt vmcnt(0)
	v_and_b32_e32 v8, 7, v6
                                        ; implicit-def: $vgpr6_vgpr7
                                        ; kill: killed $vgpr6_vgpr7
.LBB10_2487:                            ;   in Loop: Header=BB10_2470 Depth=3
	s_andn2_saveexec_b64 s[26:27], s[26:27]
	s_cbranch_execz .LBB10_2489
; %bb.2488:                             ;   in Loop: Header=BB10_2470 Depth=3
	buffer_load_dword v6, off, s[0:3], s33 offset:80 ; 4-byte Folded Reload
	buffer_load_dword v7, off, s[0:3], s33 offset:84 ; 4-byte Folded Reload
	;; [unrolled: 1-line block ×6, first 2 shown]
	v_ashrrev_i32_e32 v13, 31, v12
	v_lshlrev_b64 v[10:11], 1, v[12:13]
	v_mov_b32_e32 v9, v2
	s_waitcnt vmcnt(0)
	v_and_b32_e32 v8, 7, v6
	v_mad_u64_u32 v[6:7], s[40:41], v8, 24, v[18:19]
	flat_store_dwordx2 v[6:7], v[10:11] offset:8
.LBB10_2489:                            ;   in Loop: Header=BB10_2470 Depth=3
	s_or_b64 exec, exec, s[26:27]
	buffer_load_dword v1, off, s[0:3], s33 offset:68 ; 4-byte Folded Reload
	s_mov_b64 s[26:27], -1
                                        ; implicit-def: $vgpr10_vgpr11
	s_waitcnt vmcnt(0)
	v_and_b32_e32 v1, 0x100, v1
	v_cmp_ne_u32_e32 vcc, 0, v1
	s_and_saveexec_b64 s[40:41], vcc
	s_cbranch_execz .LBB10_2493
; %bb.2490:                             ;   in Loop: Header=BB10_2470 Depth=3
	buffer_load_dword v18, off, s[0:3], s33 offset:112 ; 4-byte Folded Reload
	buffer_load_dword v19, off, s[0:3], s33 offset:116 ; 4-byte Folded Reload
	;; [unrolled: 1-line block ×4, first 2 shown]
                                        ; implicit-def: $vgpr10_vgpr11
	s_waitcnt vmcnt(0)
	v_mad_u64_u32 v[18:19], s[26:27], v8, 24, v[18:19]
	v_mov_b32_e32 v1, v19
	v_mad_u64_u32 v[6:7], s[26:27], v9, 24, v[1:2]
	v_mov_b32_e32 v19, v6
	flat_load_dword v1, v[18:19]
	s_waitcnt vmcnt(0) lgkmcnt(0)
	v_cmp_ne_u32_e32 vcc, 1, v1
	v_cmp_eq_u32_e64 s[26:27], 1, v1
	s_and_saveexec_b64 s[88:89], s[26:27]
	s_cbranch_execz .LBB10_2492
; %bb.2491:                             ;   in Loop: Header=BB10_2470 Depth=3
	flat_load_dword v6, v[18:19] offset:4 glc
	s_waitcnt vmcnt(0) lgkmcnt(0)
	v_ashrrev_i32_e32 v7, 31, v6
	v_lshrrev_b64 v[10:11], 1, v[6:7]
.LBB10_2492:                            ;   in Loop: Header=BB10_2470 Depth=3
	s_or_b64 exec, exec, s[88:89]
	s_orn2_b64 s[26:27], vcc, exec
.LBB10_2493:                            ;   in Loop: Header=BB10_2470 Depth=3
	s_or_b64 exec, exec, s[40:41]
	s_and_saveexec_b64 s[40:41], s[26:27]
	s_cbranch_execz .LBB10_2495
; %bb.2494:                             ;   in Loop: Header=BB10_2470 Depth=3
	buffer_load_dword v7, off, s[0:3], s33 offset:140 ; 4-byte Folded Reload
	buffer_load_dword v6, off, s[0:3], s33 offset:160 ; 4-byte Folded Reload
	s_waitcnt vmcnt(0)
	v_mul_lo_u32 v1, v9, v7
	v_mul_lo_u32 v6, v8, v6
	v_mad_u64_u32 v[10:11], s[26:27], v8, v7, 0
	v_add3_u32 v11, v11, v6, v1
.LBB10_2495:                            ;   in Loop: Header=BB10_2470 Depth=3
	s_or_b64 exec, exec, s[40:41]
	buffer_load_dword v7, off, s[0:3], s33 offset:104 ; 4-byte Folded Reload
	buffer_load_dword v8, off, s[0:3], s33 offset:108 ; 4-byte Folded Reload
	v_cmp_eq_u32_e32 vcc, 0, v0
	v_mov_b32_e32 v0, 0xd0
	v_mov_b32_e32 v1, 0x88
	v_cndmask_b32_e32 v6, v0, v1, vcc
	v_lshlrev_b64 v[0:1], 1, v[10:11]
	s_waitcnt vmcnt(0)
	v_add_co_u32_e32 v0, vcc, v7, v0
	v_addc_co_u32_e32 v1, vcc, v8, v1, vcc
	v_add_u32_e32 v6, v0, v6
	ds_write_b64 v6, v[0:1] offset:584
	buffer_load_dword v0, off, s[0:3], s33 offset:68 ; 4-byte Folded Reload
	s_waitcnt vmcnt(0)
	v_and_b32_e32 v0, 0x2000, v0
	v_cmp_ne_u32_e32 vcc, 0, v0
	s_and_saveexec_b64 s[26:27], vcc
	s_cbranch_execz .LBB10_2497
; %bb.2496:                             ;   in Loop: Header=BB10_2470 Depth=3
	ds_read_b64 v[0:1], v0 offset:872
	s_waitcnt lgkmcnt(0)
	v_add_co_u32_e32 v0, vcc, 1, v0
	v_addc_co_u32_e32 v1, vcc, 0, v1, vcc
	ds_write_b64 v0, v[0:1] offset:872
.LBB10_2497:                            ;   in Loop: Header=BB10_2470 Depth=3
	s_or_b64 exec, exec, s[26:27]
	buffer_store_dword v3, off, s[0:3], s33 offset:80 ; 4-byte Folded Spill
	s_nop 0
	buffer_store_dword v4, off, s[0:3], s33 offset:84 ; 4-byte Folded Spill
.LBB10_2498:                            ;   in Loop: Header=BB10_2470 Depth=3
	s_or_b64 exec, exec, s[28:29]
	s_and_saveexec_b64 s[26:27], s[10:11]
	s_cbranch_execz .LBB10_2517
; %bb.2499:                             ;   in Loop: Header=BB10_2470 Depth=3
	s_and_saveexec_b64 s[28:29], s[56:57]
	s_xor_b64 s[28:29], exec, s[28:29]
	s_cbranch_execz .LBB10_2514
; %bb.2500:                             ;   in Loop: Header=BB10_2470 Depth=3
	s_and_saveexec_b64 s[40:41], s[16:17]
	s_cbranch_execz .LBB10_2513
; %bb.2501:                             ;   in Loop: Header=BB10_2470 Depth=3
	s_mov_b64 s[90:91], exec
	v_mbcnt_lo_u32_b32 v0, s90, 0
	v_mbcnt_hi_u32_b32 v0, s91, v0
	v_cmp_eq_u32_e32 vcc, 0, v0
	s_waitcnt vmcnt(0) lgkmcnt(0)
	buffer_wbinvl1_vol
	s_and_saveexec_b64 s[88:89], vcc
	s_cbranch_execz .LBB10_2503
; %bb.2502:                             ;   in Loop: Header=BB10_2470 Depth=3
	s_bcnt1_i32_b64 s90, s[90:91]
	v_mov_b32_e32 v0, s90
	v_mov_b32_e32 v1, v2
	ds_add_u64 v0, v[0:1]
	s_trap 2
.LBB10_2503:                            ;   in Loop: Header=BB10_2470 Depth=3
	s_or_b64 exec, exec, s[88:89]
	s_trap 2
	ds_read_b64 v[0:1], v0
	s_waitcnt lgkmcnt(0)
	buffer_load_dword v3, off, s[0:3], s33 offset:72 ; 4-byte Folded Reload
	buffer_load_dword v4, off, s[0:3], s33 offset:76 ; 4-byte Folded Reload
	;; [unrolled: 1-line block ×3, first 2 shown]
	s_waitcnt vmcnt(0)
	v_add_co_u32_e32 v3, vcc, v3, v6
	v_addc_co_u32_e32 v4, vcc, 0, v4, vcc
	buffer_store_dword v3, off, s[0:3], s33 offset:72 ; 4-byte Folded Spill
	s_nop 0
	buffer_store_dword v4, off, s[0:3], s33 offset:76 ; 4-byte Folded Spill
	v_cmp_lt_u64_e32 vcc, v[0:1], v[3:4]
	s_and_saveexec_b64 s[88:89], vcc
	s_cbranch_execz .LBB10_2512
; %bb.2504:                             ;   in Loop: Header=BB10_2470 Depth=3
	s_mov_b32 s36, 0
	s_mov_b64 s[90:91], 0
                                        ; implicit-def: $sgpr92_sgpr93
                                        ; implicit-def: $sgpr94_sgpr95
	s_branch .LBB10_2506
.LBB10_2505:                            ;   in Loop: Header=BB10_2506 Depth=4
	s_or_b64 exec, exec, s[34:35]
	s_and_b64 vcc, exec, vcc
	s_or_b64 s[90:91], vcc, s[90:91]
	s_andn2_b64 s[92:93], s[92:93], exec
	s_and_b64 vcc, s[94:95], exec
	s_or_b64 s[92:93], s[92:93], vcc
	s_andn2_b64 exec, exec, s[90:91]
	s_cbranch_execz .LBB10_2510
.LBB10_2506:                            ;   Parent Loop BB10_47 Depth=1
                                        ;     Parent Loop BB10_2467 Depth=2
                                        ;       Parent Loop BB10_2470 Depth=3
                                        ; =>      This Inner Loop Header: Depth=4
	s_add_i32 s36, s36, 1
	s_cmpk_lg_i32 s36, 0x2710
	s_cselect_b64 s[30:31], -1, 0
	s_and_b64 vcc, exec, s[30:31]
	s_cbranch_vccz .LBB10_2508
; %bb.2507:                             ;   in Loop: Header=BB10_2506 Depth=4
	s_mov_b64 vcc, -1
	s_or_b64 s[94:95], s[94:95], exec
	s_and_saveexec_b64 s[34:35], s[30:31]
	s_cbranch_execz .LBB10_2505
	s_branch .LBB10_2509
.LBB10_2508:                            ;   in Loop: Header=BB10_2506 Depth=4
	s_trap 2
	ds_read_b64 v[0:1], v0
	s_andn2_b64 s[30:31], s[30:31], exec
	s_mov_b32 s36, 0
	s_waitcnt vmcnt(0) lgkmcnt(0)
	flat_load_dword v0, v[0:1] glc
	s_waitcnt vmcnt(0) lgkmcnt(0)
	buffer_wbinvl1_vol
	v_cmp_eq_u32_e32 vcc, 0, v0
	s_and_b64 vcc, vcc, exec
	s_or_b64 s[30:31], s[30:31], vcc
	s_mov_b64 vcc, -1
	s_or_b64 s[94:95], s[94:95], exec
	s_and_saveexec_b64 s[34:35], s[30:31]
	s_cbranch_execz .LBB10_2505
.LBB10_2509:                            ;   in Loop: Header=BB10_2506 Depth=4
	s_sleep 1
	s_trap 2
	ds_read_b64 v[0:1], v0
	s_waitcnt lgkmcnt(0)
	buffer_load_dword v3, off, s[0:3], s33 offset:72 ; 4-byte Folded Reload
	buffer_load_dword v4, off, s[0:3], s33 offset:76 ; 4-byte Folded Reload
	s_andn2_b64 s[94:95], s[94:95], exec
	s_waitcnt vmcnt(0)
	v_cmp_ge_u64_e32 vcc, v[0:1], v[3:4]
	s_orn2_b64 vcc, vcc, exec
	s_branch .LBB10_2505
.LBB10_2510:                            ;   in Loop: Header=BB10_2470 Depth=3
	s_or_b64 exec, exec, s[90:91]
	s_and_saveexec_b64 s[90:91], s[92:93]
	s_xor_b64 s[90:91], exec, s[90:91]
	s_cbranch_execz .LBB10_2512
; %bb.2511:                             ;   in Loop: Header=BB10_2470 Depth=3
	v_mov_b32_e32 v0, 1
	ds_write_b32 v0, v0
	s_trap 2
.LBB10_2512:                            ;   in Loop: Header=BB10_2470 Depth=3
	s_or_b64 exec, exec, s[88:89]
	;;#ASMSTART
	s_wakeup
	;;#ASMEND
.LBB10_2513:                            ;   in Loop: Header=BB10_2470 Depth=3
	s_or_b64 exec, exec, s[40:41]
.LBB10_2514:                            ;   in Loop: Header=BB10_2470 Depth=3
	s_andn2_saveexec_b64 s[28:29], s[28:29]
	s_cbranch_execz .LBB10_2516
; %bb.2515:                             ;   in Loop: Header=BB10_2470 Depth=3
	s_waitcnt vmcnt(0) lgkmcnt(0)
	buffer_wbinvl1_vol
	s_barrier
.LBB10_2516:                            ;   in Loop: Header=BB10_2470 Depth=3
	s_or_b64 exec, exec, s[28:29]
.LBB10_2517:                            ;   in Loop: Header=BB10_2470 Depth=3
	s_or_b64 exec, exec, s[26:27]
	s_trap 2
	buffer_load_dword v1, off, s[0:3], s33 offset:68 ; 4-byte Folded Reload
	ds_read_b32 v0, v0
	s_xor_b64 s[26:27], s[6:7], -1
	s_waitcnt vmcnt(0)
	v_and_b32_e32 v1, 0x4000, v1
	v_cmp_ne_u32_e32 vcc, 0, v1
	s_and_b64 s[28:29], s[26:27], vcc
	s_and_saveexec_b64 s[26:27], s[28:29]
	s_cbranch_execz .LBB10_2536
; %bb.2518:                             ;   in Loop: Header=BB10_2470 Depth=3
	s_and_saveexec_b64 s[28:29], s[56:57]
	s_xor_b64 s[28:29], exec, s[28:29]
	s_cbranch_execz .LBB10_2533
; %bb.2519:                             ;   in Loop: Header=BB10_2470 Depth=3
	s_and_saveexec_b64 s[40:41], s[16:17]
	s_cbranch_execz .LBB10_2532
; %bb.2520:                             ;   in Loop: Header=BB10_2470 Depth=3
	s_mov_b64 s[90:91], exec
	v_mbcnt_lo_u32_b32 v1, s90, 0
	v_mbcnt_hi_u32_b32 v1, s91, v1
	v_cmp_eq_u32_e32 vcc, 0, v1
	s_waitcnt lgkmcnt(0)
	buffer_wbinvl1_vol
	s_and_saveexec_b64 s[88:89], vcc
	s_cbranch_execz .LBB10_2522
; %bb.2521:                             ;   in Loop: Header=BB10_2470 Depth=3
	s_bcnt1_i32_b64 s90, s[90:91]
	v_mov_b32_e32 v3, s90
	v_mov_b32_e32 v4, v2
	ds_add_u64 v0, v[3:4]
	s_trap 2
.LBB10_2522:                            ;   in Loop: Header=BB10_2470 Depth=3
	s_or_b64 exec, exec, s[88:89]
	s_trap 2
	ds_read_b64 v[3:4], v0
	s_waitcnt lgkmcnt(0)
	buffer_load_dword v6, off, s[0:3], s33 offset:72 ; 4-byte Folded Reload
	buffer_load_dword v7, off, s[0:3], s33 offset:76 ; 4-byte Folded Reload
	;; [unrolled: 1-line block ×3, first 2 shown]
	s_waitcnt vmcnt(0)
	v_add_co_u32_e32 v6, vcc, v6, v1
	v_addc_co_u32_e32 v7, vcc, 0, v7, vcc
	buffer_store_dword v6, off, s[0:3], s33 offset:72 ; 4-byte Folded Spill
	s_nop 0
	buffer_store_dword v7, off, s[0:3], s33 offset:76 ; 4-byte Folded Spill
	v_cmp_lt_u64_e32 vcc, v[3:4], v[6:7]
	s_and_saveexec_b64 s[88:89], vcc
	s_cbranch_execz .LBB10_2531
; %bb.2523:                             ;   in Loop: Header=BB10_2470 Depth=3
	s_mov_b32 s36, 0
	s_mov_b64 s[90:91], 0
                                        ; implicit-def: $sgpr92_sgpr93
                                        ; implicit-def: $sgpr94_sgpr95
	s_branch .LBB10_2525
.LBB10_2524:                            ;   in Loop: Header=BB10_2525 Depth=4
	s_or_b64 exec, exec, s[34:35]
	s_and_b64 vcc, exec, vcc
	s_or_b64 s[90:91], vcc, s[90:91]
	s_andn2_b64 s[92:93], s[92:93], exec
	s_and_b64 vcc, s[94:95], exec
	s_or_b64 s[92:93], s[92:93], vcc
	s_andn2_b64 exec, exec, s[90:91]
	s_cbranch_execz .LBB10_2529
.LBB10_2525:                            ;   Parent Loop BB10_47 Depth=1
                                        ;     Parent Loop BB10_2467 Depth=2
                                        ;       Parent Loop BB10_2470 Depth=3
                                        ; =>      This Inner Loop Header: Depth=4
	s_add_i32 s36, s36, 1
	s_cmpk_lg_i32 s36, 0x2710
	s_cselect_b64 s[30:31], -1, 0
	s_and_b64 vcc, exec, s[30:31]
	s_cbranch_vccz .LBB10_2527
; %bb.2526:                             ;   in Loop: Header=BB10_2525 Depth=4
	s_mov_b64 vcc, -1
	s_or_b64 s[94:95], s[94:95], exec
	s_and_saveexec_b64 s[34:35], s[30:31]
	s_cbranch_execz .LBB10_2524
	s_branch .LBB10_2528
.LBB10_2527:                            ;   in Loop: Header=BB10_2525 Depth=4
	s_trap 2
	ds_read_b64 v[3:4], v0
	s_andn2_b64 s[30:31], s[30:31], exec
	s_mov_b32 s36, 0
	s_waitcnt vmcnt(0) lgkmcnt(0)
	flat_load_dword v1, v[3:4] glc
	s_waitcnt vmcnt(0) lgkmcnt(0)
	buffer_wbinvl1_vol
	v_cmp_eq_u32_e32 vcc, 0, v1
	s_and_b64 vcc, vcc, exec
	s_or_b64 s[30:31], s[30:31], vcc
	s_mov_b64 vcc, -1
	s_or_b64 s[94:95], s[94:95], exec
	s_and_saveexec_b64 s[34:35], s[30:31]
	s_cbranch_execz .LBB10_2524
.LBB10_2528:                            ;   in Loop: Header=BB10_2525 Depth=4
	s_sleep 1
	s_trap 2
	ds_read_b64 v[3:4], v0
	s_waitcnt lgkmcnt(0)
	buffer_load_dword v6, off, s[0:3], s33 offset:72 ; 4-byte Folded Reload
	buffer_load_dword v7, off, s[0:3], s33 offset:76 ; 4-byte Folded Reload
	s_andn2_b64 s[94:95], s[94:95], exec
	s_waitcnt vmcnt(0)
	v_cmp_ge_u64_e32 vcc, v[3:4], v[6:7]
	s_orn2_b64 vcc, vcc, exec
	s_branch .LBB10_2524
.LBB10_2529:                            ;   in Loop: Header=BB10_2470 Depth=3
	s_or_b64 exec, exec, s[90:91]
	s_and_saveexec_b64 s[90:91], s[92:93]
	s_xor_b64 s[90:91], exec, s[90:91]
	s_cbranch_execz .LBB10_2531
; %bb.2530:                             ;   in Loop: Header=BB10_2470 Depth=3
	v_mov_b32_e32 v1, 1
	ds_write_b32 v0, v1
	s_trap 2
.LBB10_2531:                            ;   in Loop: Header=BB10_2470 Depth=3
	s_or_b64 exec, exec, s[88:89]
	;;#ASMSTART
	s_wakeup
	;;#ASMEND
.LBB10_2532:                            ;   in Loop: Header=BB10_2470 Depth=3
	s_or_b64 exec, exec, s[40:41]
.LBB10_2533:                            ;   in Loop: Header=BB10_2470 Depth=3
	s_andn2_saveexec_b64 s[28:29], s[28:29]
	s_cbranch_execz .LBB10_2535
; %bb.2534:                             ;   in Loop: Header=BB10_2470 Depth=3
	s_waitcnt vmcnt(0) lgkmcnt(0)
	buffer_wbinvl1_vol
	s_barrier
.LBB10_2535:                            ;   in Loop: Header=BB10_2470 Depth=3
	s_or_b64 exec, exec, s[28:29]
.LBB10_2536:                            ;   in Loop: Header=BB10_2470 Depth=3
	s_or_b64 exec, exec, s[26:27]
	s_trap 2
	s_waitcnt lgkmcnt(0)
	ds_read_b64 v[3:4], v0
	s_waitcnt lgkmcnt(0)
	v_cmp_eq_u64_e32 vcc, 0, v[3:4]
	s_cbranch_vccnz .LBB10_2545
; %bb.2537:                             ;   in Loop: Header=BB10_2470 Depth=3
	s_trap 2
	ds_read_b64 v[18:19], v0
	s_waitcnt lgkmcnt(0)
	v_cmp_eq_u64_e32 vcc, 0, v[18:19]
	s_cbranch_vccnz .LBB10_2545
; %bb.2538:                             ;   in Loop: Header=BB10_2470 Depth=3
	v_cmp_eq_u32_e32 vcc, 0, v0
	v_cndmask_b32_e32 v0, 0, v12, vcc
	s_trap 2
	ds_read_b64 v[20:21], v0
	v_lshlrev_b32_e32 v13, 1, v0
	s_waitcnt lgkmcnt(0)
	v_cmp_ne_u64_e32 vcc, 0, v[20:21]
	s_cbranch_vccz .LBB10_2550
; %bb.2539:                             ;   in Loop: Header=BB10_2470 Depth=3
	s_mov_b64 s[28:29], -1
	s_and_saveexec_b64 s[26:27], s[20:21]
	s_cbranch_execz .LBB10_2541
; %bb.2540:                             ;   in Loop: Header=BB10_2470 Depth=3
	ds_read_b32 v1, v0 offset:720
	s_waitcnt lgkmcnt(0)
	v_and_b32_e32 v1, 15, v1
	v_cmp_eq_u32_e32 vcc, 0, v1
	s_orn2_b64 s[28:29], vcc, exec
.LBB10_2541:                            ;   in Loop: Header=BB10_2470 Depth=3
	s_or_b64 exec, exec, s[26:27]
	s_and_saveexec_b64 s[26:27], s[22:23]
	s_cbranch_execz .LBB10_2543
; %bb.2542:                             ;   in Loop: Header=BB10_2470 Depth=3
	ds_read_b32 v1, v0 offset:784
	s_waitcnt lgkmcnt(0)
	v_and_b32_e32 v1, 15, v1
	v_cmp_eq_u32_e32 vcc, 0, v1
	s_and_b64 s[40:41], s[28:29], vcc
	s_andn2_b64 s[28:29], s[28:29], exec
	s_and_b64 s[40:41], s[40:41], exec
	s_or_b64 s[28:29], s[28:29], s[40:41]
.LBB10_2543:                            ;   in Loop: Header=BB10_2470 Depth=3
	s_or_b64 exec, exec, s[26:27]
	buffer_load_dword v7, off, s[0:3], s33 offset:180 ; 4-byte Folded Reload
	s_xor_b64 s[28:29], s[28:29], -1
	v_cndmask_b32_e64 v6, 0, 1, s[28:29]
	s_mov_b64 s[26:27], -1
	v_mov_b32_e32 v1, 0
	v_cmp_ne_u32_e32 vcc, 0, v6
	v_mov_b32_e32 v6, v13
	s_cbranch_vccz .LBB10_2552
; %bb.2544:                             ;   in Loop: Header=BB10_2470 Depth=3
	s_and_saveexec_b64 s[40:41], s[26:27]
	s_cbranch_execnz .LBB10_2565
	s_branch .LBB10_2575
.LBB10_2545:                            ;   in Loop: Header=BB10_2470 Depth=3
	s_mov_b64 s[26:27], 0
	s_and_saveexec_b64 s[28:29], s[10:11]
	s_cbranch_execnz .LBB10_2602
.LBB10_2546:                            ;   in Loop: Header=BB10_2470 Depth=3
	s_or_b64 exec, exec, s[28:29]
                                        ; implicit-def: $vgpr0
	s_and_saveexec_b64 s[28:29], s[24:25]
	s_xor_b64 s[28:29], exec, s[28:29]
	s_cbranch_execz .LBB10_2620
.LBB10_2547:                            ;   in Loop: Header=BB10_2470 Depth=3
	buffer_load_dword v1, off, s[0:3], s33 offset:68 ; 4-byte Folded Reload
	s_waitcnt vmcnt(0)
	v_and_b32_e32 v0, 16, v1
	v_and_b32_e32 v1, 16, v1
	v_cmp_ne_u32_e32 vcc, 0, v1
	s_and_b64 s[40:41], vcc, s[26:27]
	s_and_saveexec_b64 s[26:27], s[40:41]
	s_cbranch_execz .LBB10_2549
; %bb.2548:                             ;   in Loop: Header=BB10_2470 Depth=3
	v_mov_b32_e32 v0, 1
	s_waitcnt lgkmcnt(0)
	buffer_wbinvl1_vol
.LBB10_2549:                            ;   in Loop: Header=BB10_2470 Depth=3
	s_or_b64 exec, exec, s[26:27]
	s_andn2_saveexec_b64 s[26:27], s[28:29]
	s_cbranch_execz .LBB10_2639
	s_branch .LBB10_2621
.LBB10_2550:                            ;   in Loop: Header=BB10_2470 Depth=3
	s_cbranch_execnz .LBB10_2576
.LBB10_2551:                            ;   in Loop: Header=BB10_2470 Depth=3
	v_cmp_lt_i32_e64 s[26:27], 0, v0
	s_and_saveexec_b64 s[28:29], s[10:11]
	s_cbranch_execnz .LBB10_2602
	s_branch .LBB10_2546
.LBB10_2552:                            ;   in Loop: Header=BB10_2470 Depth=3
	buffer_load_dword v6, off, s[0:3], s33 offset:216 ; 4-byte Folded Reload
	v_ashrrev_i32_e32 v1, 31, v13
	v_lshrrev_b32_e32 v1, 20, v1
	v_add_u32_e32 v1, v13, v1
	v_ashrrev_i32_e32 v1, 12, v1
	s_waitcnt vmcnt(0)
	v_sub_u32_e32 v24, v1, v6
	v_cmp_lt_i32_e32 vcc, 0, v24
	s_and_saveexec_b64 s[26:27], vcc
	s_cbranch_execz .LBB10_2556
; %bb.2553:                             ;   in Loop: Header=BB10_2470 Depth=3
	buffer_load_dword v6, off, s[0:3], s33 offset:316 ; 4-byte Folded Reload
	s_mov_b64 s[28:29], 0
	s_waitcnt vmcnt(0)
	v_add_co_u32_e32 v8, vcc, v3, v6
	v_addc_co_u32_e32 v9, vcc, 0, v4, vcc
	v_add_co_u32_e32 v10, vcc, v18, v6
	v_addc_co_u32_e32 v11, vcc, 0, v19, vcc
	v_add_co_u32_e32 v22, vcc, v20, v6
	buffer_load_dword v6, off, s[0:3], s33 offset:88 ; 4-byte Folded Reload
	buffer_load_dword v7, off, s[0:3], s33 offset:100 ; 4-byte Folded Reload
	v_addc_co_u32_e32 v23, vcc, 0, v21, vcc
.LBB10_2554:                            ;   Parent Loop BB10_47 Depth=1
                                        ;     Parent Loop BB10_2467 Depth=2
                                        ;       Parent Loop BB10_2470 Depth=3
                                        ; =>      This Inner Loop Header: Depth=4
	global_load_dwordx4 v[25:28], v[8:9], off glc slc
	global_load_dwordx4 v[29:32], v[8:9], off offset:1024 glc slc
	global_load_dwordx4 v[33:36], v[8:9], off offset:2048 glc slc
	;; [unrolled: 1-line block ×3, first 2 shown]
	s_waitcnt vmcnt(4)
	v_add_co_u32_e32 v8, vcc, v8, v7
	v_addc_co_u32_e32 v9, vcc, 0, v9, vcc
	v_sub_u32_e32 v24, v24, v6
	v_cmp_gt_i32_e32 vcc, 1, v24
	s_or_b64 s[28:29], vcc, s[28:29]
	s_waitcnt vmcnt(3)
	global_store_dwordx4 v[10:11], v[25:28], off glc slc
	s_waitcnt vmcnt(3)
	global_store_dwordx4 v[10:11], v[29:32], off offset:1024 glc slc
	s_waitcnt vmcnt(3)
	global_store_dwordx4 v[10:11], v[33:36], off offset:2048 glc slc
	;; [unrolled: 2-line block ×3, first 2 shown]
	global_store_dwordx4 v[22:23], v[25:28], off glc slc
	global_store_dwordx4 v[22:23], v[29:32], off offset:1024 glc slc
	global_store_dwordx4 v[22:23], v[33:36], off offset:2048 glc slc
	;; [unrolled: 1-line block ×3, first 2 shown]
	v_add_co_u32_e32 v10, vcc, v10, v7
	v_addc_co_u32_e32 v11, vcc, 0, v11, vcc
	v_add_co_u32_e32 v22, vcc, v22, v7
	v_addc_co_u32_e32 v23, vcc, 0, v23, vcc
	s_andn2_b64 exec, exec, s[28:29]
	s_cbranch_execnz .LBB10_2554
; %bb.2555:                             ;   in Loop: Header=BB10_2470 Depth=3
	s_or_b64 exec, exec, s[28:29]
.LBB10_2556:                            ;   in Loop: Header=BB10_2470 Depth=3
	s_or_b64 exec, exec, s[26:27]
	v_lshlrev_b32_e32 v15, 12, v1
	v_cmp_ne_u32_e32 vcc, v13, v15
	s_mov_b64 s[26:27], 0
	v_mov_b32_e32 v1, 0
                                        ; implicit-def: $vgpr6
                                        ; implicit-def: $vgpr7
	s_and_saveexec_b64 s[88:89], vcc
	s_cbranch_execz .LBB10_2564
; %bb.2557:                             ;   in Loop: Header=BB10_2470 Depth=3
	buffer_load_dword v7, off, s[0:3], s33 offset:328 ; 4-byte Folded Reload
	v_lshlrev_b32_e32 v1, 6, v24
	v_sub_u32_e32 v6, v13, v15
	s_waitcnt vmcnt(0)
	v_sub_u32_e32 v1, v7, v1
	v_ashrrev_i32_e32 v7, 31, v1
	v_lshrrev_b32_e32 v7, 26, v7
	v_add_u32_e32 v7, v1, v7
	v_ashrrev_i32_e32 v9, 6, v7
	v_and_b32_e32 v7, 0xffffffc0, v7
	v_sub_u32_e32 v7, v1, v7
	v_lshlrev_b32_e32 v1, 4, v7
	v_lshl_add_u32 v8, v9, 10, v1
	v_ashrrev_i32_e32 v1, 31, v6
	v_lshrrev_b32_e32 v1, 22, v1
	v_add_u32_e32 v1, v6, v1
	v_ashrrev_i32_e32 v10, 10, v1
	v_and_b32_e32 v1, 0xfffffc00, v1
	v_sub_u32_e32 v25, v6, v8
	v_sub_u32_e32 v6, v6, v1
	v_cmp_lt_i32_e64 s[26:27], 15, v6
	v_addc_co_u32_e64 v10, vcc, 0, v10, s[26:27]
	v_sub_u32_e32 v24, v10, v9
	v_cmp_lt_i32_e32 vcc, 15, v25
	s_and_saveexec_b64 s[90:91], vcc
	s_cbranch_execz .LBB10_2563
; %bb.2558:                             ;   in Loop: Header=BB10_2470 Depth=3
	v_add_u32_e32 v8, v8, v15
	v_ashrrev_i32_e32 v9, 31, v8
	v_add_co_u32_e32 v22, vcc, v8, v3
	v_addc_co_u32_e32 v23, vcc, v9, v4, vcc
	v_add_co_u32_e32 v26, vcc, v8, v18
	v_addc_co_u32_e32 v27, vcc, v9, v19, vcc
	v_add_co_u32_e32 v28, vcc, v8, v20
	v_addc_co_u32_e32 v29, vcc, v9, v21, vcc
	s_mov_b64 s[92:93], 0
.LBB10_2559:                            ;   Parent Loop BB10_47 Depth=1
                                        ;     Parent Loop BB10_2467 Depth=2
                                        ;       Parent Loop BB10_2470 Depth=3
                                        ; =>      This Loop Header: Depth=4
                                        ;           Child Loop BB10_2560 Depth 5
	global_load_dwordx4 v[8:11], v[22:23], off glc slc
	s_mov_b64 s[94:95], -1
	s_mov_b64 s[30:31], 0
	s_waitcnt vmcnt(0)
.LBB10_2560:                            ;   Parent Loop BB10_47 Depth=1
                                        ;     Parent Loop BB10_2467 Depth=2
                                        ;       Parent Loop BB10_2470 Depth=3
                                        ;         Parent Loop BB10_2559 Depth=4
                                        ; =>        This Inner Loop Header: Depth=5
	s_cmp_eq_u32 s30, 1
	s_cselect_b64 s[28:29], -1, 0
	v_cndmask_b32_e64 v31, v27, v29, s[28:29]
	v_cndmask_b32_e64 v30, v26, v28, s[28:29]
	global_store_dwordx4 v[30:31], v[8:11], off glc slc
	v_add_co_u32_e32 v30, vcc, 0x400, v30
	s_cmp_eq_u32 s30, 0
	v_addc_co_u32_e32 v31, vcc, 0, v31, vcc
	s_cselect_b64 vcc, -1, 0
	s_and_b64 s[40:41], exec, s[94:95]
	s_mov_b64 s[30:31], 1
	v_cndmask_b32_e64 v28, v28, v30, s[28:29]
	s_mov_b64 s[94:95], 0
	v_cndmask_b32_e64 v29, v29, v31, s[28:29]
	v_cndmask_b32_e32 v27, v27, v31, vcc
	v_cndmask_b32_e32 v26, v26, v30, vcc
	s_mov_b64 vcc, s[40:41]
	s_cbranch_vccnz .LBB10_2560
; %bb.2561:                             ;   in Loop: Header=BB10_2559 Depth=4
	buffer_load_dword v8, off, s[0:3], s33 offset:164 ; 4-byte Folded Reload
	buffer_load_dword v9, off, s[0:3], s33 offset:168 ; 4-byte Folded Reload
	s_waitcnt vmcnt(1)
	v_add_co_u32_e32 v26, vcc, v26, v8
	s_waitcnt vmcnt(0)
	v_addc_co_u32_e32 v27, vcc, v27, v9, vcc
	v_add_co_u32_e32 v28, vcc, v28, v8
	buffer_load_dword v8, off, s[0:3], s33 offset:172 ; 4-byte Folded Reload
	v_addc_co_u32_e32 v29, vcc, v29, v9, vcc
	s_waitcnt vmcnt(0)
	v_add_co_u32_e32 v22, vcc, v8, v22
	buffer_load_dword v8, off, s[0:3], s33 offset:176 ; 4-byte Folded Reload
	s_waitcnt vmcnt(0)
	v_addc_co_u32_e32 v23, vcc, v8, v23, vcc
	buffer_load_dword v8, off, s[0:3], s33 offset:136 ; 4-byte Folded Reload
	s_waitcnt vmcnt(0)
	v_sub_u32_e32 v25, v25, v8
	buffer_load_dword v8, off, s[0:3], s33 offset:88 ; 4-byte Folded Reload
	v_cmp_gt_i32_e32 vcc, 16, v25
	s_or_b64 s[92:93], vcc, s[92:93]
	s_waitcnt vmcnt(0)
	v_sub_u32_e32 v24, v24, v8
	s_andn2_b64 exec, exec, s[92:93]
	s_cbranch_execnz .LBB10_2559
; %bb.2562:                             ;   in Loop: Header=BB10_2470 Depth=3
	s_or_b64 exec, exec, s[92:93]
.LBB10_2563:                            ;   in Loop: Header=BB10_2470 Depth=3
	s_or_b64 exec, exec, s[90:91]
	v_and_b32_e32 v8, 14, v13
	v_sub_u32_e32 v9, v6, v8
	v_cndmask_b32_e64 v6, v6, v8, s[26:27]
	buffer_load_dword v8, off, s[0:3], s33 offset:88 ; 4-byte Folded Reload
	v_cmp_lt_i32_e32 vcc, 0, v24
	v_cndmask_b32_e64 v9, 0, v9, s[26:27]
	v_add3_u32 v1, v1, v15, v9
	s_waitcnt vmcnt(0)
	v_cndmask_b32_e32 v8, 0, v8, vcc
	v_sub_u32_e32 v8, v8, v24
	v_cmp_ne_u32_e32 vcc, 0, v6
	v_lshl_add_u32 v7, v8, 6, v7
	s_and_b64 s[26:27], vcc, exec
.LBB10_2564:                            ;   in Loop: Header=BB10_2470 Depth=3
	s_or_b64 exec, exec, s[88:89]
	s_and_saveexec_b64 s[40:41], s[26:27]
	s_cbranch_execz .LBB10_2575
.LBB10_2565:                            ;   in Loop: Header=BB10_2470 Depth=3
	s_waitcnt vmcnt(0)
	v_ashrrev_i32_e32 v8, 31, v7
	v_ashrrev_i32_e32 v9, 31, v6
	v_lshrrev_b32_e32 v8, 26, v8
	v_lshrrev_b32_e32 v9, 21, v9
	v_add_u32_e32 v8, v7, v8
	v_add_u32_e32 v9, v6, v9
	v_ashrrev_i32_e32 v15, 6, v8
	v_ashrrev_i32_e32 v25, 11, v9
	v_sub_u32_e32 v24, v25, v15
	v_cmp_lt_i32_e32 vcc, 0, v24
	s_and_saveexec_b64 s[26:27], vcc
	s_cbranch_execz .LBB10_2569
; %bb.2566:                             ;   in Loop: Header=BB10_2470 Depth=3
	buffer_load_dword v53, off, s[0:3], s33 offset:88 ; 4-byte Folded Reload
	buffer_load_dword v54, off, s[0:3], s33 offset:92 ; 4-byte Folded Reload
	v_and_b32_e32 v8, 0x7fffffc0, v8
	v_sub_u32_e32 v8, v7, v8
	v_lshlrev_b32_e32 v8, 1, v8
	v_lshlrev_b32_e32 v9, 11, v15
	v_add3_u32 v22, v8, v1, v9
	v_ashrrev_i32_e32 v23, 31, v22
	v_add_co_u32_e32 v8, vcc, v22, v18
	v_addc_co_u32_e32 v9, vcc, v23, v19, vcc
	v_add_co_u32_e32 v10, vcc, v22, v20
	v_addc_co_u32_e32 v11, vcc, v23, v21, vcc
	;; [unrolled: 2-line block ×4, first 2 shown]
	s_mov_b64 s[28:29], 0
.LBB10_2567:                            ;   Parent Loop BB10_47 Depth=1
                                        ;     Parent Loop BB10_2467 Depth=2
                                        ;       Parent Loop BB10_2470 Depth=3
                                        ; =>      This Inner Loop Header: Depth=4
	v_add_co_u32_e32 v26, vcc, 0xfffff880, v22
	v_addc_co_u32_e32 v27, vcc, -1, v23, vcc
	flat_load_ushort v26, v[26:27] glc slc
	v_add_co_u32_e32 v27, vcc, 0xfffff900, v22
	v_addc_co_u32_e32 v28, vcc, -1, v23, vcc
	flat_load_ushort v27, v[27:28] glc slc
	;; [unrolled: 3-line block ×15, first 2 shown]
	s_nop 0
	flat_load_ushort v32, v[22:23] glc slc
	s_waitcnt vmcnt(0)
	v_sub_u32_e32 v24, v24, v53
	s_waitcnt lgkmcnt(0)
	flat_store_short v[8:9], v26 glc slc
	flat_store_short v[8:9], v27 offset:128 glc slc
	flat_store_short v[8:9], v28 offset:256 glc slc
	;; [unrolled: 1-line block ×15, first 2 shown]
	flat_store_short v[10:11], v26 glc slc
	flat_store_short v[10:11], v27 offset:128 glc slc
	flat_store_short v[10:11], v28 offset:256 glc slc
	;; [unrolled: 1-line block ×15, first 2 shown]
	v_add_co_u32_e32 v8, vcc, v8, v54
	v_addc_co_u32_e32 v9, vcc, 0, v9, vcc
	v_add_co_u32_e32 v10, vcc, v10, v54
	v_addc_co_u32_e32 v11, vcc, 0, v11, vcc
	;; [unrolled: 2-line block ×3, first 2 shown]
	v_cmp_gt_i32_e32 vcc, 1, v24
	s_or_b64 s[28:29], vcc, s[28:29]
	s_andn2_b64 exec, exec, s[28:29]
	s_cbranch_execnz .LBB10_2567
; %bb.2568:                             ;   in Loop: Header=BB10_2470 Depth=3
	s_or_b64 exec, exec, s[28:29]
.LBB10_2569:                            ;   in Loop: Header=BB10_2470 Depth=3
	s_or_b64 exec, exec, s[26:27]
	v_lshlrev_b32_e32 v8, 11, v25
	v_cmp_ne_u32_e32 vcc, v6, v8
	s_and_b64 exec, exec, vcc
	s_cbranch_execz .LBB10_2575
; %bb.2570:                             ;   in Loop: Header=BB10_2470 Depth=3
	v_lshlrev_b32_e32 v9, 6, v15
	v_sub_u32_e32 v7, v7, v9
	v_lshlrev_b32_e32 v9, 6, v24
	v_sub_u32_e32 v7, v7, v9
	v_ashrrev_i32_e32 v9, 31, v7
	v_lshrrev_b32_e32 v9, 26, v9
	v_add_u32_e32 v9, v7, v9
	v_and_b32_e32 v10, 0x7fffffc0, v9
	v_sub_u32_e32 v7, v7, v10
	v_lshlrev_b32_e32 v9, 1, v9
	v_and_b32_e32 v9, 0xffffff80, v9
	v_lshlrev_b32_e32 v7, 1, v7
	v_add3_u32 v7, v9, v7, v8
	v_sub_u32_e32 v6, v6, v7
	v_cmp_lt_i32_e32 vcc, 1, v6
	s_and_b64 exec, exec, vcc
	s_cbranch_execz .LBB10_2575
; %bb.2571:                             ;   in Loop: Header=BB10_2470 Depth=3
	v_add_u32_e32 v10, v7, v1
	v_ashrrev_i32_e32 v11, 31, v10
	v_add_co_u32_e32 v8, vcc, v10, v3
	v_addc_co_u32_e32 v9, vcc, v11, v4, vcc
	v_add_co_u32_e32 v1, vcc, v10, v18
	v_addc_co_u32_e32 v7, vcc, v11, v19, vcc
	;; [unrolled: 2-line block ×3, first 2 shown]
	s_mov_b64 s[88:89], 0
.LBB10_2572:                            ;   Parent Loop BB10_47 Depth=1
                                        ;     Parent Loop BB10_2467 Depth=2
                                        ;       Parent Loop BB10_2470 Depth=3
                                        ; =>      This Loop Header: Depth=4
                                        ;           Child Loop BB10_2573 Depth 5
	flat_load_ushort v15, v[8:9] glc slc
	s_mov_b64 s[90:91], -1
	s_mov_b64 s[92:93], 0
	s_waitcnt vmcnt(0)
.LBB10_2573:                            ;   Parent Loop BB10_47 Depth=1
                                        ;     Parent Loop BB10_2467 Depth=2
                                        ;       Parent Loop BB10_2470 Depth=3
                                        ;         Parent Loop BB10_2572 Depth=4
                                        ; =>        This Inner Loop Header: Depth=5
	s_cmp_eq_u32 s92, 1
	s_cselect_b64 s[26:27], -1, 0
	v_cndmask_b32_e64 v21, v7, v11, s[26:27]
	v_cndmask_b32_e64 v20, v1, v10, s[26:27]
	s_waitcnt lgkmcnt(0)
	flat_store_short v[20:21], v15 glc slc
	v_add_co_u32_e32 v20, vcc, 0x80, v20
	s_cmp_eq_u32 s92, 0
	v_addc_co_u32_e32 v21, vcc, 0, v21, vcc
	s_cselect_b64 vcc, -1, 0
	s_and_b64 s[28:29], exec, s[90:91]
	s_mov_b64 s[92:93], 1
	v_cndmask_b32_e64 v10, v10, v20, s[26:27]
	s_mov_b64 s[90:91], 0
	v_cndmask_b32_e64 v11, v11, v21, s[26:27]
	v_cndmask_b32_e32 v7, v7, v21, vcc
	v_cndmask_b32_e32 v1, v1, v20, vcc
	s_mov_b64 vcc, s[28:29]
	s_cbranch_vccnz .LBB10_2573
; %bb.2574:                             ;   in Loop: Header=BB10_2572 Depth=4
	buffer_load_dword v15, off, s[0:3], s33 offset:144 ; 4-byte Folded Reload
	buffer_load_dword v20, off, s[0:3], s33 offset:148 ; 4-byte Folded Reload
	s_waitcnt vmcnt(0)
	v_add_co_u32_e32 v1, vcc, v1, v15
	v_addc_co_u32_e32 v7, vcc, v7, v20, vcc
	v_add_co_u32_e32 v10, vcc, v10, v15
	buffer_load_dword v15, off, s[0:3], s33 offset:96 ; 4-byte Folded Reload
	v_addc_co_u32_e32 v11, vcc, v11, v20, vcc
	s_waitcnt vmcnt(0)
	v_sub_u32_e32 v6, v6, v15
	buffer_load_dword v15, off, s[0:3], s33 offset:152 ; 4-byte Folded Reload
	v_cmp_gt_i32_e32 vcc, 2, v6
	s_or_b64 s[88:89], vcc, s[88:89]
	s_waitcnt vmcnt(0)
	v_add_co_u32_e32 v8, vcc, v15, v8
	buffer_load_dword v15, off, s[0:3], s33 offset:156 ; 4-byte Folded Reload
	s_waitcnt vmcnt(0)
	v_addc_co_u32_e32 v9, vcc, v15, v9, vcc
	s_andn2_b64 exec, exec, s[88:89]
	s_cbranch_execnz .LBB10_2572
.LBB10_2575:                            ;   in Loop: Header=BB10_2470 Depth=3
	s_or_b64 exec, exec, s[40:41]
	s_branch .LBB10_2551
.LBB10_2576:                            ;   in Loop: Header=BB10_2470 Depth=3
	s_mov_b64 s[26:27], -1
	s_and_saveexec_b64 s[28:29], s[20:21]
	s_cbranch_execz .LBB10_2578
; %bb.2577:                             ;   in Loop: Header=BB10_2470 Depth=3
	ds_read_b32 v1, v0 offset:720
	s_waitcnt lgkmcnt(0)
	v_and_b32_e32 v1, 15, v1
	v_cmp_eq_u32_e32 vcc, 0, v1
	s_orn2_b64 s[26:27], vcc, exec
.LBB10_2578:                            ;   in Loop: Header=BB10_2470 Depth=3
	s_or_b64 exec, exec, s[28:29]
	s_and_saveexec_b64 s[28:29], s[18:19]
	s_cbranch_execz .LBB10_2580
; %bb.2579:                             ;   in Loop: Header=BB10_2470 Depth=3
	ds_read_b32 v1, v0 offset:784
	s_waitcnt lgkmcnt(0)
	v_and_b32_e32 v1, 15, v1
	v_cmp_eq_u32_e32 vcc, 0, v1
	s_and_b64 s[40:41], s[26:27], vcc
	s_andn2_b64 s[26:27], s[26:27], exec
	s_and_b64 s[40:41], s[40:41], exec
	s_or_b64 s[26:27], s[26:27], s[40:41]
.LBB10_2580:                            ;   in Loop: Header=BB10_2470 Depth=3
	s_or_b64 exec, exec, s[28:29]
	s_xor_b64 s[26:27], s[26:27], -1
	v_cndmask_b32_e64 v6, 0, 1, s[26:27]
	s_mov_b64 s[40:41], -1
	v_mov_b32_e32 v1, 0
	v_cmp_ne_u32_e32 vcc, 0, v6
	s_cbranch_vccz .LBB10_2582
; %bb.2581:                             ;   in Loop: Header=BB10_2470 Depth=3
	buffer_load_dword v6, off, s[0:3], s33 offset:180 ; 4-byte Folded Reload
	s_and_saveexec_b64 s[26:27], s[40:41]
	s_cbranch_execnz .LBB10_2593
	s_branch .LBB10_2601
.LBB10_2582:                            ;   in Loop: Header=BB10_2470 Depth=3
	buffer_load_dword v6, off, s[0:3], s33 offset:216 ; 4-byte Folded Reload
	v_ashrrev_i32_e32 v1, 31, v13
	v_lshrrev_b32_e32 v1, 19, v1
	v_add_u32_e32 v1, v13, v1
	v_ashrrev_i32_e32 v1, 13, v1
	s_waitcnt vmcnt(0)
	v_sub_u32_e32 v7, v1, v6
	v_cmp_lt_i32_e32 vcc, 0, v7
	s_and_saveexec_b64 s[28:29], vcc
	s_cbranch_execz .LBB10_2586
; %bb.2583:                             ;   in Loop: Header=BB10_2470 Depth=3
	buffer_load_dword v6, off, s[0:3], s33 offset:88 ; 4-byte Folded Reload
	buffer_load_dword v15, off, s[0:3], s33 offset:324 ; 4-byte Folded Reload
	;; [unrolled: 1-line block ×3, first 2 shown]
	v_mov_b32_e32 v8, v18
	v_mov_b32_e32 v11, v4
	s_mov_b64 s[40:41], 0
	v_mov_b32_e32 v9, v19
	v_mov_b32_e32 v10, v3
.LBB10_2584:                            ;   Parent Loop BB10_47 Depth=1
                                        ;     Parent Loop BB10_2467 Depth=2
                                        ;       Parent Loop BB10_2470 Depth=3
                                        ; =>      This Inner Loop Header: Depth=4
	s_waitcnt vmcnt(0)
	v_add_co_u32_e32 v36, vcc, v58, v10
	v_addc_co_u32_e32 v37, vcc, 0, v11, vcc
	v_add_co_u32_e32 v54, vcc, s67, v36
	v_addc_co_u32_e32 v55, vcc, 0, v37, vcc
	global_load_dwordx4 v[20:23], v[36:37], off glc slc
	global_load_dwordx4 v[24:27], v[36:37], off offset:1024 glc slc
	global_load_dwordx4 v[28:31], v[36:37], off offset:2048 glc slc
	;; [unrolled: 1-line block ×3, first 2 shown]
	s_nop 0
	global_load_dwordx4 v[36:39], v[54:55], off glc slc
	global_load_dwordx4 v[50:53], v[54:55], off offset:1024 glc slc
	global_load_dwordx4 v[40:43], v[54:55], off offset:2048 glc slc
	;; [unrolled: 1-line block ×3, first 2 shown]
	v_add_co_u32_e32 v54, vcc, v58, v8
	v_addc_co_u32_e32 v55, vcc, 0, v9, vcc
	v_add_co_u32_e32 v10, vcc, v10, v15
	v_addc_co_u32_e32 v11, vcc, 0, v11, vcc
	v_sub_u32_e32 v7, v7, v6
	v_add_co_u32_e32 v8, vcc, v8, v15
	v_addc_co_u32_e32 v9, vcc, 0, v9, vcc
	v_cmp_gt_i32_e64 s[26:27], 1, v7
	v_add_co_u32_e32 v56, vcc, s67, v54
	s_or_b64 s[40:41], s[26:27], s[40:41]
	v_addc_co_u32_e32 v57, vcc, 0, v55, vcc
	s_waitcnt vmcnt(0)
	global_store_dwordx4 v[54:55], v[20:23], off glc slc
	global_store_dwordx4 v[54:55], v[24:27], off offset:1024 glc slc
	global_store_dwordx4 v[54:55], v[28:31], off offset:2048 glc slc
	global_store_dwordx4 v[54:55], v[32:35], off offset:3072 glc slc
	global_store_dwordx4 v[56:57], v[36:39], off glc slc
	global_store_dwordx4 v[56:57], v[50:53], off offset:1024 glc slc
	global_store_dwordx4 v[56:57], v[40:43], off offset:2048 glc slc
	;; [unrolled: 1-line block ×3, first 2 shown]
	s_andn2_b64 exec, exec, s[40:41]
	s_cbranch_execnz .LBB10_2584
; %bb.2585:                             ;   in Loop: Header=BB10_2470 Depth=3
	s_or_b64 exec, exec, s[40:41]
.LBB10_2586:                            ;   in Loop: Header=BB10_2470 Depth=3
	s_or_b64 exec, exec, s[28:29]
	v_lshlrev_b32_e32 v8, 13, v1
	v_cmp_ne_u32_e32 vcc, v13, v8
	s_mov_b64 s[40:41], 0
	v_mov_b32_e32 v1, 0
                                        ; implicit-def: $vgpr6
	s_and_saveexec_b64 s[28:29], vcc
	s_cbranch_execz .LBB10_2592
; %bb.2587:                             ;   in Loop: Header=BB10_2470 Depth=3
	buffer_load_dword v6, off, s[0:3], s33 offset:328 ; 4-byte Folded Reload
	v_lshlrev_b32_e32 v1, 6, v7
	v_sub_u32_e32 v9, v13, v8
	s_waitcnt vmcnt(0)
	v_sub_u32_e32 v1, v6, v1
	v_ashrrev_i32_e32 v6, 31, v1
	v_lshrrev_b32_e32 v6, 26, v6
	v_add_u32_e32 v6, v1, v6
	v_ashrrev_i32_e32 v15, 6, v6
	v_and_b32_e32 v6, 0xffffffc0, v6
	v_sub_u32_e32 v6, v1, v6
	v_lshlrev_b32_e32 v1, 4, v6
	v_lshl_add_u32 v11, v15, 10, v1
	v_ashrrev_i32_e32 v1, 31, v9
	v_lshrrev_b32_e32 v1, 22, v1
	v_add_u32_e32 v1, v9, v1
	v_ashrrev_i32_e32 v20, 10, v1
	v_and_b32_e32 v1, 0xfffffc00, v1
	v_sub_u32_e32 v7, v9, v1
	v_cmp_lt_i32_e32 vcc, 15, v7
	v_sub_u32_e32 v10, v9, v11
	v_addc_co_u32_e64 v9, s[26:27], 0, v20, vcc
	v_sub_u32_e32 v9, v9, v15
	v_cmp_lt_i32_e64 s[26:27], 15, v10
	s_and_saveexec_b64 s[40:41], s[26:27]
	s_cbranch_execz .LBB10_2591
; %bb.2588:                             ;   in Loop: Header=BB10_2470 Depth=3
	buffer_load_dword v26, off, s[0:3], s33 offset:88 ; 4-byte Folded Reload
	buffer_load_dword v27, off, s[0:3], s33 offset:136 ; 4-byte Folded Reload
	v_add_u32_e32 v11, v11, v8
	v_ashrrev_i32_e32 v15, 31, v11
	s_mov_b64 s[88:89], 0
.LBB10_2589:                            ;   Parent Loop BB10_47 Depth=1
                                        ;     Parent Loop BB10_2467 Depth=2
                                        ;       Parent Loop BB10_2470 Depth=3
                                        ; =>      This Inner Loop Header: Depth=4
	v_add_co_u32_e64 v20, s[26:27], v3, v11
	v_addc_co_u32_e64 v21, s[26:27], v4, v15, s[26:27]
	global_load_dwordx4 v[20:23], v[20:21], off glc slc
	v_add_co_u32_e64 v24, s[26:27], v18, v11
	v_addc_co_u32_e64 v25, s[26:27], v19, v15, s[26:27]
	s_waitcnt vmcnt(0)
	v_add_co_u32_e64 v11, s[26:27], v11, v27
	v_sub_u32_e32 v10, v10, v27
	v_addc_co_u32_e64 v15, s[26:27], 0, v15, s[26:27]
	v_cmp_gt_i32_e64 s[26:27], 16, v10
	v_sub_u32_e32 v9, v9, v26
	s_or_b64 s[88:89], s[26:27], s[88:89]
	global_store_dwordx4 v[24:25], v[20:23], off glc slc
	s_andn2_b64 exec, exec, s[88:89]
	s_cbranch_execnz .LBB10_2589
; %bb.2590:                             ;   in Loop: Header=BB10_2470 Depth=3
	s_or_b64 exec, exec, s[88:89]
.LBB10_2591:                            ;   in Loop: Header=BB10_2470 Depth=3
	s_or_b64 exec, exec, s[40:41]
	v_and_b32_e32 v10, 14, v13
	v_sub_u32_e32 v11, v7, v10
	v_cndmask_b32_e32 v13, v7, v10, vcc
	buffer_load_dword v7, off, s[0:3], s33 offset:88 ; 4-byte Folded Reload
	v_cndmask_b32_e32 v11, 0, v11, vcc
	v_cmp_lt_i32_e32 vcc, 0, v9
	v_add3_u32 v1, v1, v8, v11
	s_waitcnt vmcnt(0)
	v_cndmask_b32_e32 v7, 0, v7, vcc
	v_sub_u32_e32 v7, v7, v9
	v_cmp_ne_u32_e32 vcc, 0, v13
	v_lshl_add_u32 v6, v7, 6, v6
	s_and_b64 s[40:41], vcc, exec
.LBB10_2592:                            ;   in Loop: Header=BB10_2470 Depth=3
	s_or_b64 exec, exec, s[28:29]
	s_and_saveexec_b64 s[26:27], s[40:41]
	s_cbranch_execz .LBB10_2601
.LBB10_2593:                            ;   in Loop: Header=BB10_2470 Depth=3
	s_waitcnt vmcnt(0)
	v_ashrrev_i32_e32 v7, 31, v6
	v_ashrrev_i32_e32 v9, 31, v13
	v_lshrrev_b32_e32 v7, 26, v7
	v_lshrrev_b32_e32 v9, 21, v9
	v_add_u32_e32 v8, v6, v7
	v_add_u32_e32 v9, v13, v9
	v_ashrrev_i32_e32 v7, 6, v8
	v_ashrrev_i32_e32 v20, 11, v9
	v_sub_u32_e32 v15, v20, v7
	v_cmp_lt_i32_e32 vcc, 0, v15
	s_and_saveexec_b64 s[28:29], vcc
	s_cbranch_execz .LBB10_2597
; %bb.2594:                             ;   in Loop: Header=BB10_2470 Depth=3
	buffer_load_dword v51, off, s[0:3], s33 offset:88 ; 4-byte Folded Reload
	buffer_load_dword v52, off, s[0:3], s33 offset:92 ; 4-byte Folded Reload
	v_and_b32_e32 v8, 0x7fffffc0, v8
	v_sub_u32_e32 v8, v6, v8
	v_lshlrev_b32_e32 v8, 1, v8
	v_lshlrev_b32_e32 v9, 11, v7
	v_add3_u32 v21, v8, v1, v9
	v_mov_b32_e32 v8, v18
	v_mov_b32_e32 v11, v4
	v_ashrrev_i32_e32 v22, 31, v21
	s_mov_b64 s[40:41], 0
	v_mov_b32_e32 v9, v19
	v_mov_b32_e32 v10, v3
.LBB10_2595:                            ;   Parent Loop BB10_47 Depth=1
                                        ;     Parent Loop BB10_2467 Depth=2
                                        ;       Parent Loop BB10_2470 Depth=3
                                        ; =>      This Inner Loop Header: Depth=4
	v_add_co_u32_e32 v23, vcc, v21, v10
	v_addc_co_u32_e32 v24, vcc, v22, v11, vcc
	flat_load_ushort v25, v[23:24] glc slc
	flat_load_ushort v26, v[23:24] offset:128 glc slc
	flat_load_ushort v27, v[23:24] offset:256 glc slc
	;; [unrolled: 1-line block ×15, first 2 shown]
	v_add_co_u32_e32 v23, vcc, v21, v8
	v_addc_co_u32_e32 v24, vcc, v22, v9, vcc
	s_waitcnt vmcnt(0)
	v_add_co_u32_e32 v10, vcc, v10, v52
	v_addc_co_u32_e32 v11, vcc, 0, v11, vcc
	v_add_co_u32_e32 v8, vcc, v8, v52
	v_sub_u32_e32 v15, v15, v51
	v_addc_co_u32_e32 v9, vcc, 0, v9, vcc
	v_cmp_gt_i32_e32 vcc, 1, v15
	s_or_b64 s[40:41], vcc, s[40:41]
	s_waitcnt lgkmcnt(0)
	flat_store_short v[23:24], v25 glc slc
	flat_store_short v[23:24], v26 offset:128 glc slc
	flat_store_short v[23:24], v27 offset:256 glc slc
	;; [unrolled: 1-line block ×15, first 2 shown]
	s_andn2_b64 exec, exec, s[40:41]
	s_cbranch_execnz .LBB10_2595
; %bb.2596:                             ;   in Loop: Header=BB10_2470 Depth=3
	s_or_b64 exec, exec, s[40:41]
.LBB10_2597:                            ;   in Loop: Header=BB10_2470 Depth=3
	s_or_b64 exec, exec, s[28:29]
	buffer_load_dword v11, off, s[0:3], s33 offset:96 ; 4-byte Folded Reload
	v_lshlrev_b32_e32 v8, 11, v20
	v_cmp_ne_u32_e32 vcc, v13, v8
	s_and_b64 s[28:29], exec, vcc
	s_mov_b64 exec, s[28:29]
	s_cbranch_execz .LBB10_2601
; %bb.2598:                             ;   in Loop: Header=BB10_2470 Depth=3
	v_lshlrev_b32_e32 v7, 6, v7
	v_sub_u32_e32 v6, v6, v7
	v_lshlrev_b32_e32 v7, 6, v15
	v_sub_u32_e32 v6, v6, v7
	v_ashrrev_i32_e32 v7, 31, v6
	v_lshrrev_b32_e32 v7, 26, v7
	v_add_u32_e32 v7, v6, v7
	v_and_b32_e32 v9, 0x7fffffc0, v7
	v_sub_u32_e32 v6, v6, v9
	v_lshlrev_b32_e32 v7, 1, v7
	v_and_b32_e32 v7, 0xffffff80, v7
	v_lshlrev_b32_e32 v6, 1, v6
	v_add3_u32 v7, v7, v6, v8
	v_sub_u32_e32 v6, v13, v7
	v_cmp_lt_i32_e32 vcc, 1, v6
	s_and_b64 exec, exec, vcc
	s_cbranch_execz .LBB10_2601
; %bb.2599:                             ;   in Loop: Header=BB10_2470 Depth=3
	v_add_u32_e32 v1, v7, v1
	v_ashrrev_i32_e32 v7, 31, v1
	s_mov_b64 s[28:29], 0
.LBB10_2600:                            ;   Parent Loop BB10_47 Depth=1
                                        ;     Parent Loop BB10_2467 Depth=2
                                        ;       Parent Loop BB10_2470 Depth=3
                                        ; =>      This Inner Loop Header: Depth=4
	v_add_co_u32_e32 v8, vcc, v3, v1
	v_addc_co_u32_e32 v9, vcc, v4, v7, vcc
	flat_load_ushort v10, v[8:9] glc slc
	v_add_co_u32_e32 v8, vcc, v18, v1
	v_addc_co_u32_e32 v9, vcc, v19, v7, vcc
	s_waitcnt vmcnt(0)
	v_add_co_u32_e32 v1, vcc, v1, v11
	v_sub_u32_e32 v6, v6, v11
	v_addc_co_u32_e32 v7, vcc, 0, v7, vcc
	v_cmp_gt_i32_e32 vcc, 2, v6
	s_or_b64 s[28:29], vcc, s[28:29]
	s_waitcnt lgkmcnt(0)
	flat_store_short v[8:9], v10 glc slc
	s_andn2_b64 exec, exec, s[28:29]
	s_cbranch_execnz .LBB10_2600
.LBB10_2601:                            ;   in Loop: Header=BB10_2470 Depth=3
	s_or_b64 exec, exec, s[26:27]
	v_cmp_lt_i32_e64 s[26:27], 0, v0
	s_and_saveexec_b64 s[28:29], s[10:11]
	s_cbranch_execz .LBB10_2546
.LBB10_2602:                            ;   in Loop: Header=BB10_2470 Depth=3
	s_and_saveexec_b64 s[40:41], s[56:57]
	s_xor_b64 s[40:41], exec, s[40:41]
	s_cbranch_execz .LBB10_2617
; %bb.2603:                             ;   in Loop: Header=BB10_2470 Depth=3
	s_and_saveexec_b64 s[88:89], s[16:17]
	s_cbranch_execz .LBB10_2616
; %bb.2604:                             ;   in Loop: Header=BB10_2470 Depth=3
	s_mov_b64 s[92:93], exec
	v_mbcnt_lo_u32_b32 v0, s92, 0
	v_mbcnt_hi_u32_b32 v0, s93, v0
	v_cmp_eq_u32_e32 vcc, 0, v0
	s_waitcnt vmcnt(0) lgkmcnt(0)
	buffer_wbinvl1_vol
	s_and_saveexec_b64 s[90:91], vcc
	s_cbranch_execz .LBB10_2606
; %bb.2605:                             ;   in Loop: Header=BB10_2470 Depth=3
	s_bcnt1_i32_b64 s92, s[92:93]
	v_mov_b32_e32 v0, s92
	v_mov_b32_e32 v1, v2
	ds_add_u64 v0, v[0:1]
	s_trap 2
.LBB10_2606:                            ;   in Loop: Header=BB10_2470 Depth=3
	s_or_b64 exec, exec, s[90:91]
	s_trap 2
	ds_read_b64 v[0:1], v0
	s_waitcnt lgkmcnt(0)
	buffer_load_dword v3, off, s[0:3], s33 offset:72 ; 4-byte Folded Reload
	buffer_load_dword v4, off, s[0:3], s33 offset:76 ; 4-byte Folded Reload
	;; [unrolled: 1-line block ×3, first 2 shown]
	s_waitcnt vmcnt(0)
	v_add_co_u32_e32 v3, vcc, v3, v6
	v_addc_co_u32_e32 v4, vcc, 0, v4, vcc
	buffer_store_dword v3, off, s[0:3], s33 offset:72 ; 4-byte Folded Spill
	s_nop 0
	buffer_store_dword v4, off, s[0:3], s33 offset:76 ; 4-byte Folded Spill
	v_cmp_lt_u64_e32 vcc, v[0:1], v[3:4]
	s_and_saveexec_b64 s[90:91], vcc
	s_cbranch_execz .LBB10_2615
; %bb.2607:                             ;   in Loop: Header=BB10_2470 Depth=3
	s_mov_b32 s38, 0
	s_mov_b64 s[92:93], 0
                                        ; implicit-def: $sgpr94_sgpr95
                                        ; implicit-def: $sgpr30_sgpr31
	s_branch .LBB10_2609
.LBB10_2608:                            ;   in Loop: Header=BB10_2609 Depth=4
	s_or_b64 exec, exec, s[36:37]
	s_and_b64 vcc, exec, vcc
	s_or_b64 s[92:93], vcc, s[92:93]
	s_andn2_b64 s[94:95], s[94:95], exec
	s_and_b64 vcc, s[30:31], exec
	s_or_b64 s[94:95], s[94:95], vcc
	s_andn2_b64 exec, exec, s[92:93]
	s_cbranch_execz .LBB10_2613
.LBB10_2609:                            ;   Parent Loop BB10_47 Depth=1
                                        ;     Parent Loop BB10_2467 Depth=2
                                        ;       Parent Loop BB10_2470 Depth=3
                                        ; =>      This Inner Loop Header: Depth=4
	s_add_i32 s38, s38, 1
	s_cmpk_lg_i32 s38, 0x2710
	s_cselect_b64 s[34:35], -1, 0
	s_and_b64 vcc, exec, s[34:35]
	s_cbranch_vccz .LBB10_2611
; %bb.2610:                             ;   in Loop: Header=BB10_2609 Depth=4
	s_mov_b64 vcc, -1
	s_or_b64 s[30:31], s[30:31], exec
	s_and_saveexec_b64 s[36:37], s[34:35]
	s_cbranch_execz .LBB10_2608
	s_branch .LBB10_2612
.LBB10_2611:                            ;   in Loop: Header=BB10_2609 Depth=4
	s_trap 2
	ds_read_b64 v[0:1], v0
	s_andn2_b64 s[34:35], s[34:35], exec
	s_mov_b32 s38, 0
	s_waitcnt vmcnt(0) lgkmcnt(0)
	flat_load_dword v0, v[0:1] glc
	s_waitcnt vmcnt(0) lgkmcnt(0)
	buffer_wbinvl1_vol
	v_cmp_eq_u32_e32 vcc, 0, v0
	s_and_b64 vcc, vcc, exec
	s_or_b64 s[34:35], s[34:35], vcc
	s_mov_b64 vcc, -1
	s_or_b64 s[30:31], s[30:31], exec
	s_and_saveexec_b64 s[36:37], s[34:35]
	s_cbranch_execz .LBB10_2608
.LBB10_2612:                            ;   in Loop: Header=BB10_2609 Depth=4
	s_sleep 1
	s_trap 2
	ds_read_b64 v[0:1], v0
	s_waitcnt lgkmcnt(0)
	buffer_load_dword v3, off, s[0:3], s33 offset:72 ; 4-byte Folded Reload
	buffer_load_dword v4, off, s[0:3], s33 offset:76 ; 4-byte Folded Reload
	s_andn2_b64 s[30:31], s[30:31], exec
	s_waitcnt vmcnt(0)
	v_cmp_ge_u64_e32 vcc, v[0:1], v[3:4]
	s_orn2_b64 vcc, vcc, exec
	s_branch .LBB10_2608
.LBB10_2613:                            ;   in Loop: Header=BB10_2470 Depth=3
	s_or_b64 exec, exec, s[92:93]
	s_and_saveexec_b64 s[92:93], s[94:95]
	s_xor_b64 s[92:93], exec, s[92:93]
	s_cbranch_execz .LBB10_2615
; %bb.2614:                             ;   in Loop: Header=BB10_2470 Depth=3
	v_mov_b32_e32 v0, 1
	ds_write_b32 v0, v0
	s_trap 2
.LBB10_2615:                            ;   in Loop: Header=BB10_2470 Depth=3
	s_or_b64 exec, exec, s[90:91]
	;;#ASMSTART
	s_wakeup
	;;#ASMEND
.LBB10_2616:                            ;   in Loop: Header=BB10_2470 Depth=3
	s_or_b64 exec, exec, s[88:89]
.LBB10_2617:                            ;   in Loop: Header=BB10_2470 Depth=3
	s_andn2_saveexec_b64 s[40:41], s[40:41]
	s_cbranch_execz .LBB10_2619
; %bb.2618:                             ;   in Loop: Header=BB10_2470 Depth=3
	s_waitcnt vmcnt(0) lgkmcnt(0)
	buffer_wbinvl1_vol
	s_barrier
.LBB10_2619:                            ;   in Loop: Header=BB10_2470 Depth=3
	s_or_b64 exec, exec, s[40:41]
	s_or_b64 exec, exec, s[28:29]
                                        ; implicit-def: $vgpr0
	s_and_saveexec_b64 s[28:29], s[24:25]
	s_xor_b64 s[28:29], exec, s[28:29]
	s_cbranch_execnz .LBB10_2547
.LBB10_2620:                            ;   in Loop: Header=BB10_2470 Depth=3
	s_andn2_saveexec_b64 s[26:27], s[28:29]
	s_cbranch_execz .LBB10_2639
.LBB10_2621:                            ;   in Loop: Header=BB10_2470 Depth=3
	s_and_saveexec_b64 s[28:29], s[56:57]
	s_xor_b64 s[28:29], exec, s[28:29]
	s_cbranch_execz .LBB10_2636
; %bb.2622:                             ;   in Loop: Header=BB10_2470 Depth=3
	s_and_saveexec_b64 s[40:41], s[16:17]
	s_cbranch_execz .LBB10_2635
; %bb.2623:                             ;   in Loop: Header=BB10_2470 Depth=3
	s_mov_b64 s[90:91], exec
	v_mbcnt_lo_u32_b32 v0, s90, 0
	v_mbcnt_hi_u32_b32 v0, s91, v0
	v_cmp_eq_u32_e32 vcc, 0, v0
	;;#ASMSTART
	s_waitcnt lgkmcnt(0) vmcnt(0)
	;;#ASMEND
	s_and_saveexec_b64 s[88:89], vcc
	s_cbranch_execz .LBB10_2625
; %bb.2624:                             ;   in Loop: Header=BB10_2470 Depth=3
	s_bcnt1_i32_b64 s90, s[90:91]
	v_mov_b32_e32 v0, s90
	v_mov_b32_e32 v1, v2
	s_waitcnt lgkmcnt(0)
	ds_add_u64 v0, v[0:1]
	s_trap 2
.LBB10_2625:                            ;   in Loop: Header=BB10_2470 Depth=3
	s_or_b64 exec, exec, s[88:89]
	s_trap 2
	ds_read_b64 v[0:1], v0
	s_waitcnt lgkmcnt(0)
	buffer_load_dword v3, off, s[0:3], s33 offset:72 ; 4-byte Folded Reload
	buffer_load_dword v4, off, s[0:3], s33 offset:76 ; 4-byte Folded Reload
	;; [unrolled: 1-line block ×3, first 2 shown]
	s_waitcnt vmcnt(0)
	v_add_co_u32_e32 v3, vcc, v3, v6
	v_addc_co_u32_e32 v4, vcc, 0, v4, vcc
	buffer_store_dword v3, off, s[0:3], s33 offset:72 ; 4-byte Folded Spill
	s_nop 0
	buffer_store_dword v4, off, s[0:3], s33 offset:76 ; 4-byte Folded Spill
	v_cmp_lt_u64_e32 vcc, v[0:1], v[3:4]
	s_and_saveexec_b64 s[88:89], vcc
	s_cbranch_execz .LBB10_2634
; %bb.2626:                             ;   in Loop: Header=BB10_2470 Depth=3
	s_mov_b32 s36, 0
	s_mov_b64 s[90:91], 0
                                        ; implicit-def: $sgpr92_sgpr93
                                        ; implicit-def: $sgpr94_sgpr95
	s_branch .LBB10_2628
.LBB10_2627:                            ;   in Loop: Header=BB10_2628 Depth=4
	s_or_b64 exec, exec, s[34:35]
	s_and_b64 vcc, exec, vcc
	s_or_b64 s[90:91], vcc, s[90:91]
	s_andn2_b64 s[92:93], s[92:93], exec
	s_and_b64 vcc, s[94:95], exec
	s_or_b64 s[92:93], s[92:93], vcc
	s_andn2_b64 exec, exec, s[90:91]
	s_cbranch_execz .LBB10_2632
.LBB10_2628:                            ;   Parent Loop BB10_47 Depth=1
                                        ;     Parent Loop BB10_2467 Depth=2
                                        ;       Parent Loop BB10_2470 Depth=3
                                        ; =>      This Inner Loop Header: Depth=4
	s_add_i32 s36, s36, 1
	s_cmpk_lg_i32 s36, 0x2710
	s_cselect_b64 s[30:31], -1, 0
	s_and_b64 vcc, exec, s[30:31]
	s_cbranch_vccz .LBB10_2630
; %bb.2629:                             ;   in Loop: Header=BB10_2628 Depth=4
	s_mov_b64 vcc, -1
	s_or_b64 s[94:95], s[94:95], exec
	s_and_saveexec_b64 s[34:35], s[30:31]
	s_cbranch_execz .LBB10_2627
	s_branch .LBB10_2631
.LBB10_2630:                            ;   in Loop: Header=BB10_2628 Depth=4
	s_trap 2
	ds_read_b64 v[0:1], v0
	s_andn2_b64 s[30:31], s[30:31], exec
	s_mov_b32 s36, 0
	s_waitcnt vmcnt(0) lgkmcnt(0)
	flat_load_dword v0, v[0:1] glc
	s_waitcnt vmcnt(0) lgkmcnt(0)
	buffer_wbinvl1_vol
	v_cmp_eq_u32_e32 vcc, 0, v0
	s_and_b64 vcc, vcc, exec
	s_or_b64 s[30:31], s[30:31], vcc
	s_mov_b64 vcc, -1
	s_or_b64 s[94:95], s[94:95], exec
	s_and_saveexec_b64 s[34:35], s[30:31]
	s_cbranch_execz .LBB10_2627
.LBB10_2631:                            ;   in Loop: Header=BB10_2628 Depth=4
	s_sleep 1
	s_trap 2
	ds_read_b64 v[0:1], v0
	s_waitcnt lgkmcnt(0)
	buffer_load_dword v3, off, s[0:3], s33 offset:72 ; 4-byte Folded Reload
	buffer_load_dword v4, off, s[0:3], s33 offset:76 ; 4-byte Folded Reload
	s_andn2_b64 s[94:95], s[94:95], exec
	s_waitcnt vmcnt(0)
	v_cmp_ge_u64_e32 vcc, v[0:1], v[3:4]
	s_orn2_b64 vcc, vcc, exec
	s_branch .LBB10_2627
.LBB10_2632:                            ;   in Loop: Header=BB10_2470 Depth=3
	s_or_b64 exec, exec, s[90:91]
	s_and_saveexec_b64 s[90:91], s[92:93]
	s_xor_b64 s[90:91], exec, s[90:91]
	s_cbranch_execz .LBB10_2634
; %bb.2633:                             ;   in Loop: Header=BB10_2470 Depth=3
	v_mov_b32_e32 v0, 1
	ds_write_b32 v0, v0
	s_trap 2
.LBB10_2634:                            ;   in Loop: Header=BB10_2470 Depth=3
	s_or_b64 exec, exec, s[88:89]
	;;#ASMSTART
	s_wakeup
	;;#ASMEND
.LBB10_2635:                            ;   in Loop: Header=BB10_2470 Depth=3
	s_or_b64 exec, exec, s[40:41]
.LBB10_2636:                            ;   in Loop: Header=BB10_2470 Depth=3
	s_andn2_saveexec_b64 s[28:29], s[28:29]
	s_cbranch_execz .LBB10_2638
; %bb.2637:                             ;   in Loop: Header=BB10_2470 Depth=3
	;;#ASMSTART
	s_waitcnt lgkmcnt(0) vmcnt(0)
	;;#ASMEND
	s_waitcnt vmcnt(0) lgkmcnt(0)
	s_barrier
.LBB10_2638:                            ;   in Loop: Header=BB10_2470 Depth=3
	s_or_b64 exec, exec, s[28:29]
	buffer_load_dword v0, off, s[0:3], s33 offset:68 ; 4-byte Folded Reload
	s_waitcnt vmcnt(0)
	v_and_b32_e32 v0, 16, v0
.LBB10_2639:                            ;   in Loop: Header=BB10_2470 Depth=3
	s_or_b64 exec, exec, s[26:27]
	v_cmp_ne_u32_e32 vcc, 0, v0
	s_xor_b64 s[26:27], s[12:13], -1
	s_and_b64 s[28:29], vcc, s[26:27]
	s_and_saveexec_b64 s[26:27], s[28:29]
	s_cbranch_execz .LBB10_2641
; %bb.2640:                             ;   in Loop: Header=BB10_2470 Depth=3
	buffer_load_dword v0, off, s[0:3], s33 offset:128 ; 4-byte Folded Reload
	buffer_load_dword v1, off, s[0:3], s33 offset:132 ; 4-byte Folded Reload
	v_mov_b32_e32 v3, 1
	s_waitcnt vmcnt(0)
	flat_store_dword v[0:1], v3
.LBB10_2641:                            ;   in Loop: Header=BB10_2470 Depth=3
	s_or_b64 exec, exec, s[26:27]
	buffer_load_dword v0, off, s[0:3], s33 offset:68 ; 4-byte Folded Reload
	s_waitcnt vmcnt(0)
	v_and_b32_e32 v0, 48, v0
	v_cmp_ne_u32_e32 vcc, 0, v0
	s_and_saveexec_b64 s[26:27], vcc
	s_cbranch_execz .LBB10_2469
; %bb.2642:                             ;   in Loop: Header=BB10_2470 Depth=3
	buffer_load_dword v3, off, s[0:3], s33 offset:80 ; 4-byte Folded Reload
	buffer_load_dword v4, off, s[0:3], s33 offset:84 ; 4-byte Folded Reload
	;; [unrolled: 1-line block ×4, first 2 shown]
	s_waitcnt vmcnt(0)
	v_add_co_u32_e32 v3, vcc, 2, v3
	v_addc_co_u32_e32 v4, vcc, 0, v4, vcc
	buffer_store_dword v3, off, s[0:3], s33 offset:80 ; 4-byte Folded Spill
	s_nop 0
	buffer_store_dword v4, off, s[0:3], s33 offset:84 ; 4-byte Folded Spill
	flat_store_dwordx2 v[0:1], v[3:4]
	s_branch .LBB10_2469
.LBB10_2643:                            ;   in Loop: Header=BB10_2467 Depth=2
	s_or_b64 exec, exec, s[42:43]
	v_cmp_gt_i32_e32 vcc, 2, v0
	s_and_saveexec_b64 s[28:29], vcc
	s_cbranch_execz .LBB10_2719
.LBB10_2644:                            ;   in Loop: Header=BB10_2467 Depth=2
	v_cmp_eq_u32_e64 s[42:43], 0, v0
	s_mov_b64 s[40:41], 0
	s_branch .LBB10_2646
.LBB10_2645:                            ;   in Loop: Header=BB10_2646 Depth=3
	s_or_b64 exec, exec, s[26:27]
	v_add_u32_e32 v14, v12, v14
	s_mov_b64 s[42:43], 0
	s_andn2_b64 exec, exec, s[40:41]
	s_cbranch_execz .LBB10_2720
.LBB10_2646:                            ;   Parent Loop BB10_47 Depth=1
                                        ;     Parent Loop BB10_2467 Depth=2
                                        ; =>    This Loop Header: Depth=3
                                        ;         Child Loop BB10_2652 Depth 4
                                        ;         Child Loop BB10_2680 Depth 4
	;; [unrolled: 1-line block ×3, first 2 shown]
	v_sub_u32_e32 v0, v5, v14
	v_min_i32_e32 v12, v12, v0
	buffer_load_dword v0, off, s[0:3], s33 offset:68 ; 4-byte Folded Reload
	s_waitcnt vmcnt(0)
	v_and_b32_e32 v0, 12, v0
	v_cmp_ne_u32_e32 vcc, 0, v0
	s_and_saveexec_b64 s[76:77], vcc
	s_cbranch_execz .LBB10_2672
; %bb.2647:                             ;   in Loop: Header=BB10_2646 Depth=3
	buffer_load_dword v0, off, s[0:3], s33 offset:68 ; 4-byte Folded Reload
	buffer_load_dword v3, off, s[0:3], s33 offset:80 ; 4-byte Folded Reload
	;; [unrolled: 1-line block ×3, first 2 shown]
	s_waitcnt vmcnt(0)
	v_and_b32_e32 v0, 8, v0
	s_waitcnt lgkmcnt(0)
	v_add_co_u32_e32 v6, vcc, v48, v0
	v_addc_co_u32_e32 v7, vcc, 0, v49, vcc
	v_add_co_u32_e32 v3, vcc, 2, v3
	v_addc_co_u32_e32 v4, vcc, 0, v4, vcc
	v_cmp_lt_u64_e32 vcc, v[6:7], v[3:4]
	s_and_saveexec_b64 s[78:79], vcc
	s_cbranch_execz .LBB10_2659
; %bb.2648:                             ;   in Loop: Header=BB10_2646 Depth=3
	buffer_load_dword v1, off, s[0:3], s33 offset:68 ; 4-byte Folded Reload
	s_mov_b32 s50, 0
	s_mov_b64 s[88:89], 0
                                        ; implicit-def: $sgpr90_sgpr91
                                        ; implicit-def: $sgpr92_sgpr93
                                        ; implicit-def: $sgpr94_sgpr95
	s_waitcnt vmcnt(0)
	v_and_b32_e32 v1, 64, v1
	v_cmp_eq_u32_e32 vcc, 0, v1
	s_branch .LBB10_2652
.LBB10_2649:                            ;   in Loop: Header=BB10_2652 Depth=4
	s_waitcnt vmcnt(0) lgkmcnt(0)
	v_add_co_u32_e64 v6, s[26:27], v48, v0
	v_addc_co_u32_e64 v7, s[26:27], 0, v49, s[26:27]
	v_cmp_ge_u64_e64 s[26:27], v[6:7], v[3:4]
	s_or_b64 s[36:37], s[36:37], exec
	s_orn2_b64 s[34:35], s[26:27], exec
.LBB10_2650:                            ;   in Loop: Header=BB10_2652 Depth=4
	s_or_b64 exec, exec, s[48:49]
	s_andn2_b64 s[26:27], s[94:95], exec
	s_and_b64 s[94:95], s[36:37], exec
	s_or_b64 s[94:95], s[26:27], s[94:95]
	s_andn2_b64 s[26:27], s[92:93], exec
	s_and_b64 s[92:93], s[34:35], exec
	s_or_b64 s[92:93], s[26:27], s[92:93]
.LBB10_2651:                            ;   in Loop: Header=BB10_2652 Depth=4
	s_or_b64 exec, exec, s[30:31]
	s_and_b64 s[26:27], exec, s[92:93]
	s_or_b64 s[88:89], s[26:27], s[88:89]
	s_andn2_b64 s[26:27], s[90:91], exec
	s_and_b64 s[90:91], s[94:95], exec
	s_or_b64 s[90:91], s[26:27], s[90:91]
	s_andn2_b64 exec, exec, s[88:89]
	s_cbranch_execz .LBB10_2656
.LBB10_2652:                            ;   Parent Loop BB10_47 Depth=1
                                        ;     Parent Loop BB10_2467 Depth=2
                                        ;       Parent Loop BB10_2646 Depth=3
                                        ; =>      This Inner Loop Header: Depth=4
	s_sleep 1
	buffer_load_dword v6, off, s[0:3], s33 offset:60 ; 4-byte Folded Reload
	buffer_load_dword v7, off, s[0:3], s33 offset:64 ; 4-byte Folded Reload
	s_or_b64 s[94:95], s[94:95], exec
	s_or_b64 s[92:93], s[92:93], exec
                                        ; implicit-def: $vgpr1
	s_waitcnt vmcnt(0) lgkmcnt(0)
	flat_load_dwordx2 v[48:49], v[6:7] glc
	s_and_saveexec_b64 s[30:31], vcc
	s_cbranch_execz .LBB10_2651
; %bb.2653:                             ;   in Loop: Header=BB10_2652 Depth=4
	s_cmpk_lt_i32 s50, 0x270f
	s_cselect_b64 s[38:39], -1, 0
	s_cmpk_gt_i32 s50, 0x270e
	s_mov_b64 s[34:35], -1
	s_cbranch_scc0 .LBB10_2655
; %bb.2654:                             ;   in Loop: Header=BB10_2652 Depth=4
	s_trap 2
	ds_read_b64 v[6:7], v0
	s_andn2_b64 s[38:39], s[38:39], exec
	s_mov_b32 s50, 0
	s_mov_b64 s[36:37], 0
	s_waitcnt vmcnt(0) lgkmcnt(0)
	flat_load_dword v1, v[6:7] glc
	s_waitcnt vmcnt(0) lgkmcnt(0)
	buffer_wbinvl1_vol
	v_cmp_eq_u32_e64 s[26:27], 0, v1
	s_and_b64 s[26:27], s[26:27], exec
	s_or_b64 s[38:39], s[38:39], s[26:27]
	s_and_saveexec_b64 s[48:49], s[38:39]
	s_cbranch_execz .LBB10_2650
	s_branch .LBB10_2649
.LBB10_2655:                            ;   in Loop: Header=BB10_2652 Depth=4
	s_add_i32 s50, s50, 1
	s_mov_b64 s[36:37], -1
                                        ; implicit-def: $vgpr1
	s_and_saveexec_b64 s[48:49], s[38:39]
	s_cbranch_execz .LBB10_2650
	s_branch .LBB10_2649
.LBB10_2656:                            ;   in Loop: Header=BB10_2646 Depth=3
	s_or_b64 exec, exec, s[88:89]
	s_xor_b64 s[26:27], s[90:91], -1
	s_and_saveexec_b64 s[88:89], s[26:27]
	s_xor_b64 s[26:27], exec, s[88:89]
	s_cbranch_execz .LBB10_2658
; %bb.2657:                             ;   in Loop: Header=BB10_2646 Depth=3
	s_waitcnt lgkmcnt(0)
	ds_write_b32 v0, v1
	s_trap 2
	buffer_load_dword v1, off, s[0:3], s33 offset:68 ; 4-byte Folded Reload
	s_waitcnt vmcnt(0)
	v_or_b32_e32 v1, 64, v1
	buffer_store_dword v1, off, s[0:3], s33 offset:68 ; 4-byte Folded Spill
.LBB10_2658:                            ;   in Loop: Header=BB10_2646 Depth=3
	s_or_b64 exec, exec, s[26:27]
.LBB10_2659:                            ;   in Loop: Header=BB10_2646 Depth=3
	s_or_b64 exec, exec, s[78:79]
	;;#ASMSTART
	s_wakeup
	;;#ASMEND
	buffer_load_dword v1, off, s[0:3], s33 offset:68 ; 4-byte Folded Reload
                                        ; implicit-def: $vgpr8_vgpr9
	s_waitcnt vmcnt(0)
	v_and_b32_e32 v1, 0x108, v1
	v_cmp_ne_u32_e32 vcc, s68, v1
	s_and_saveexec_b64 s[26:27], vcc
	s_xor_b64 s[26:27], exec, s[26:27]
	s_cbranch_execz .LBB10_2661
; %bb.2660:                             ;   in Loop: Header=BB10_2646 Depth=3
	buffer_load_dword v6, off, s[0:3], s33 offset:80 ; 4-byte Folded Reload
	buffer_load_dword v7, off, s[0:3], s33 offset:84 ; 4-byte Folded Reload
	v_mov_b32_e32 v9, v2
	s_waitcnt vmcnt(0)
	v_and_b32_e32 v8, 7, v6
                                        ; implicit-def: $vgpr6_vgpr7
                                        ; kill: killed $vgpr6_vgpr7
.LBB10_2661:                            ;   in Loop: Header=BB10_2646 Depth=3
	s_andn2_saveexec_b64 s[26:27], s[26:27]
	s_cbranch_execz .LBB10_2663
; %bb.2662:                             ;   in Loop: Header=BB10_2646 Depth=3
	buffer_load_dword v6, off, s[0:3], s33 offset:80 ; 4-byte Folded Reload
	buffer_load_dword v7, off, s[0:3], s33 offset:84 ; 4-byte Folded Reload
	;; [unrolled: 1-line block ×6, first 2 shown]
	v_ashrrev_i32_e32 v13, 31, v12
	v_lshlrev_b64 v[10:11], 1, v[12:13]
	v_mov_b32_e32 v9, v2
	s_waitcnt vmcnt(0)
	v_and_b32_e32 v8, 7, v6
	v_mad_u64_u32 v[6:7], s[78:79], v8, 24, v[15:16]
	flat_store_dwordx2 v[6:7], v[10:11] offset:8
.LBB10_2663:                            ;   in Loop: Header=BB10_2646 Depth=3
	s_or_b64 exec, exec, s[26:27]
	buffer_load_dword v1, off, s[0:3], s33 offset:68 ; 4-byte Folded Reload
	s_mov_b64 s[26:27], -1
                                        ; implicit-def: $vgpr10_vgpr11
	s_waitcnt vmcnt(0)
	v_and_b32_e32 v1, 0x100, v1
	v_cmp_ne_u32_e32 vcc, 0, v1
	s_and_saveexec_b64 s[78:79], vcc
	s_cbranch_execz .LBB10_2667
; %bb.2664:                             ;   in Loop: Header=BB10_2646 Depth=3
	buffer_load_dword v15, off, s[0:3], s33 offset:112 ; 4-byte Folded Reload
	buffer_load_dword v16, off, s[0:3], s33 offset:116 ; 4-byte Folded Reload
	;; [unrolled: 1-line block ×4, first 2 shown]
                                        ; implicit-def: $vgpr10_vgpr11
	s_waitcnt vmcnt(0)
	v_mad_u64_u32 v[15:16], s[26:27], v8, 24, v[15:16]
	v_mov_b32_e32 v1, v16
	v_mad_u64_u32 v[6:7], s[26:27], v9, 24, v[1:2]
	v_mov_b32_e32 v16, v6
	flat_load_dword v1, v[15:16]
	s_waitcnt vmcnt(0) lgkmcnt(0)
	v_cmp_ne_u32_e32 vcc, 1, v1
	v_cmp_eq_u32_e64 s[26:27], 1, v1
	s_and_saveexec_b64 s[88:89], s[26:27]
	s_cbranch_execz .LBB10_2666
; %bb.2665:                             ;   in Loop: Header=BB10_2646 Depth=3
	flat_load_dword v6, v[15:16] offset:4 glc
	s_waitcnt vmcnt(0) lgkmcnt(0)
	v_ashrrev_i32_e32 v7, 31, v6
	v_lshrrev_b64 v[10:11], 1, v[6:7]
.LBB10_2666:                            ;   in Loop: Header=BB10_2646 Depth=3
	s_or_b64 exec, exec, s[88:89]
	s_orn2_b64 s[26:27], vcc, exec
.LBB10_2667:                            ;   in Loop: Header=BB10_2646 Depth=3
	s_or_b64 exec, exec, s[78:79]
	s_and_saveexec_b64 s[78:79], s[26:27]
	s_cbranch_execz .LBB10_2669
; %bb.2668:                             ;   in Loop: Header=BB10_2646 Depth=3
	buffer_load_dword v7, off, s[0:3], s33 offset:140 ; 4-byte Folded Reload
	buffer_load_dword v6, off, s[0:3], s33 offset:160 ; 4-byte Folded Reload
	s_waitcnt vmcnt(0)
	v_mul_lo_u32 v1, v9, v7
	v_mul_lo_u32 v6, v8, v6
	v_mad_u64_u32 v[10:11], s[26:27], v8, v7, 0
	v_add3_u32 v11, v11, v6, v1
.LBB10_2669:                            ;   in Loop: Header=BB10_2646 Depth=3
	s_or_b64 exec, exec, s[78:79]
	buffer_load_dword v7, off, s[0:3], s33 offset:104 ; 4-byte Folded Reload
	buffer_load_dword v8, off, s[0:3], s33 offset:108 ; 4-byte Folded Reload
	v_cmp_eq_u32_e32 vcc, 0, v0
	v_mov_b32_e32 v0, 0xd0
	v_mov_b32_e32 v1, 0x88
	v_cndmask_b32_e32 v6, v0, v1, vcc
	v_lshlrev_b64 v[0:1], 1, v[10:11]
	s_waitcnt vmcnt(0)
	v_add_co_u32_e32 v0, vcc, v7, v0
	v_addc_co_u32_e32 v1, vcc, v8, v1, vcc
	v_add_u32_e32 v6, v0, v6
	ds_write_b64 v6, v[0:1] offset:584
	buffer_load_dword v0, off, s[0:3], s33 offset:68 ; 4-byte Folded Reload
	s_waitcnt vmcnt(0)
	v_and_b32_e32 v0, 0x2000, v0
	v_cmp_ne_u32_e32 vcc, 0, v0
	s_and_saveexec_b64 s[26:27], vcc
	s_cbranch_execz .LBB10_2671
; %bb.2670:                             ;   in Loop: Header=BB10_2646 Depth=3
	ds_read_b64 v[0:1], v0 offset:872
	s_waitcnt lgkmcnt(0)
	v_add_co_u32_e32 v0, vcc, 1, v0
	v_addc_co_u32_e32 v1, vcc, 0, v1, vcc
	ds_write_b64 v0, v[0:1] offset:872
.LBB10_2671:                            ;   in Loop: Header=BB10_2646 Depth=3
	s_or_b64 exec, exec, s[26:27]
	buffer_store_dword v3, off, s[0:3], s33 offset:80 ; 4-byte Folded Spill
	s_nop 0
	buffer_store_dword v4, off, s[0:3], s33 offset:84 ; 4-byte Folded Spill
.LBB10_2672:                            ;   in Loop: Header=BB10_2646 Depth=3
	s_or_b64 exec, exec, s[76:77]
	s_xor_b64 s[26:27], s[42:43], -1
	s_and_b64 s[26:27], exec, s[26:27]
	s_or_b64 s[40:41], s[26:27], s[40:41]
	s_and_saveexec_b64 s[26:27], s[10:11]
	s_cbranch_execz .LBB10_2691
; %bb.2673:                             ;   in Loop: Header=BB10_2646 Depth=3
	s_and_saveexec_b64 s[42:43], s[56:57]
	s_xor_b64 s[42:43], exec, s[42:43]
	s_cbranch_execz .LBB10_2688
; %bb.2674:                             ;   in Loop: Header=BB10_2646 Depth=3
	s_and_saveexec_b64 s[76:77], s[16:17]
	s_cbranch_execz .LBB10_2687
; %bb.2675:                             ;   in Loop: Header=BB10_2646 Depth=3
	s_mov_b64 s[88:89], exec
	v_mbcnt_lo_u32_b32 v0, s88, 0
	v_mbcnt_hi_u32_b32 v0, s89, v0
	v_cmp_eq_u32_e32 vcc, 0, v0
	s_waitcnt vmcnt(0) lgkmcnt(0)
	buffer_wbinvl1_vol
	s_and_saveexec_b64 s[78:79], vcc
	s_cbranch_execz .LBB10_2677
; %bb.2676:                             ;   in Loop: Header=BB10_2646 Depth=3
	s_bcnt1_i32_b64 s88, s[88:89]
	v_mov_b32_e32 v0, s88
	v_mov_b32_e32 v1, v2
	ds_add_u64 v0, v[0:1]
	s_trap 2
.LBB10_2677:                            ;   in Loop: Header=BB10_2646 Depth=3
	s_or_b64 exec, exec, s[78:79]
	s_trap 2
	ds_read_b64 v[0:1], v0
	s_waitcnt lgkmcnt(0)
	buffer_load_dword v3, off, s[0:3], s33 offset:72 ; 4-byte Folded Reload
	buffer_load_dword v4, off, s[0:3], s33 offset:76 ; 4-byte Folded Reload
	;; [unrolled: 1-line block ×3, first 2 shown]
	s_waitcnt vmcnt(0)
	v_add_co_u32_e32 v3, vcc, v3, v6
	v_addc_co_u32_e32 v4, vcc, 0, v4, vcc
	buffer_store_dword v3, off, s[0:3], s33 offset:72 ; 4-byte Folded Spill
	s_nop 0
	buffer_store_dword v4, off, s[0:3], s33 offset:76 ; 4-byte Folded Spill
	v_cmp_lt_u64_e32 vcc, v[0:1], v[3:4]
	s_and_saveexec_b64 s[78:79], vcc
	s_cbranch_execz .LBB10_2686
; %bb.2678:                             ;   in Loop: Header=BB10_2646 Depth=3
	s_mov_b32 s34, 0
	s_mov_b64 s[88:89], 0
                                        ; implicit-def: $sgpr90_sgpr91
                                        ; implicit-def: $sgpr92_sgpr93
	s_branch .LBB10_2680
.LBB10_2679:                            ;   in Loop: Header=BB10_2680 Depth=4
	s_or_b64 exec, exec, s[30:31]
	s_and_b64 s[94:95], exec, vcc
	s_or_b64 s[88:89], s[94:95], s[88:89]
	s_andn2_b64 s[90:91], s[90:91], exec
	s_and_b64 s[94:95], s[92:93], exec
	s_or_b64 s[90:91], s[90:91], s[94:95]
	s_andn2_b64 exec, exec, s[88:89]
	s_cbranch_execz .LBB10_2684
.LBB10_2680:                            ;   Parent Loop BB10_47 Depth=1
                                        ;     Parent Loop BB10_2467 Depth=2
                                        ;       Parent Loop BB10_2646 Depth=3
                                        ; =>      This Inner Loop Header: Depth=4
	s_add_i32 s34, s34, 1
	s_cmpk_lg_i32 s34, 0x2710
	s_cselect_b64 s[94:95], -1, 0
	s_and_b64 vcc, exec, s[94:95]
	s_cbranch_vccz .LBB10_2682
; %bb.2681:                             ;   in Loop: Header=BB10_2680 Depth=4
	s_mov_b64 vcc, -1
	s_or_b64 s[92:93], s[92:93], exec
	s_and_saveexec_b64 s[30:31], s[94:95]
	s_cbranch_execz .LBB10_2679
	s_branch .LBB10_2683
.LBB10_2682:                            ;   in Loop: Header=BB10_2680 Depth=4
	s_trap 2
	ds_read_b64 v[0:1], v0
	s_andn2_b64 s[94:95], s[94:95], exec
	s_mov_b32 s34, 0
	s_waitcnt vmcnt(0) lgkmcnt(0)
	flat_load_dword v0, v[0:1] glc
	s_waitcnt vmcnt(0) lgkmcnt(0)
	buffer_wbinvl1_vol
	v_cmp_eq_u32_e32 vcc, 0, v0
	s_and_b64 vcc, vcc, exec
	s_or_b64 s[94:95], s[94:95], vcc
	s_mov_b64 vcc, -1
	s_or_b64 s[92:93], s[92:93], exec
	s_and_saveexec_b64 s[30:31], s[94:95]
	s_cbranch_execz .LBB10_2679
.LBB10_2683:                            ;   in Loop: Header=BB10_2680 Depth=4
	s_sleep 1
	s_trap 2
	ds_read_b64 v[0:1], v0
	s_waitcnt lgkmcnt(0)
	buffer_load_dword v3, off, s[0:3], s33 offset:72 ; 4-byte Folded Reload
	buffer_load_dword v4, off, s[0:3], s33 offset:76 ; 4-byte Folded Reload
	s_andn2_b64 s[92:93], s[92:93], exec
	s_waitcnt vmcnt(0)
	v_cmp_ge_u64_e32 vcc, v[0:1], v[3:4]
	s_orn2_b64 vcc, vcc, exec
	s_branch .LBB10_2679
.LBB10_2684:                            ;   in Loop: Header=BB10_2646 Depth=3
	s_or_b64 exec, exec, s[88:89]
	s_and_saveexec_b64 s[88:89], s[90:91]
	s_xor_b64 s[88:89], exec, s[88:89]
	s_cbranch_execz .LBB10_2686
; %bb.2685:                             ;   in Loop: Header=BB10_2646 Depth=3
	v_mov_b32_e32 v0, 1
	ds_write_b32 v0, v0
	s_trap 2
.LBB10_2686:                            ;   in Loop: Header=BB10_2646 Depth=3
	s_or_b64 exec, exec, s[78:79]
	;;#ASMSTART
	s_wakeup
	;;#ASMEND
.LBB10_2687:                            ;   in Loop: Header=BB10_2646 Depth=3
	s_or_b64 exec, exec, s[76:77]
.LBB10_2688:                            ;   in Loop: Header=BB10_2646 Depth=3
	s_andn2_saveexec_b64 s[42:43], s[42:43]
	s_cbranch_execz .LBB10_2690
; %bb.2689:                             ;   in Loop: Header=BB10_2646 Depth=3
	s_waitcnt vmcnt(0) lgkmcnt(0)
	buffer_wbinvl1_vol
	s_barrier
.LBB10_2690:                            ;   in Loop: Header=BB10_2646 Depth=3
	s_or_b64 exec, exec, s[42:43]
.LBB10_2691:                            ;   in Loop: Header=BB10_2646 Depth=3
	s_or_b64 exec, exec, s[26:27]
                                        ; implicit-def: $vgpr0
	s_and_saveexec_b64 s[26:27], s[24:25]
	s_xor_b64 s[26:27], exec, s[26:27]
	s_cbranch_execz .LBB10_2695
; %bb.2692:                             ;   in Loop: Header=BB10_2646 Depth=3
	s_trap 2
	buffer_load_dword v1, off, s[0:3], s33 offset:68 ; 4-byte Folded Reload
	ds_read_b32 v0, v0
	v_cmp_lt_i32_e32 vcc, 0, v12
	s_waitcnt lgkmcnt(0)
	v_readfirstlane_b32 s42, v0
	s_cmp_eq_u32 s42, 0
	s_cselect_b64 s[42:43], -1, 0
	s_and_b64 s[42:43], vcc, s[42:43]
	s_waitcnt vmcnt(0)
	v_and_b32_e32 v0, 16, v1
	v_and_b32_e32 v1, 16, v1
	v_cmp_ne_u32_e32 vcc, 0, v1
	s_and_b64 s[76:77], vcc, s[42:43]
	s_and_saveexec_b64 s[42:43], s[76:77]
	s_cbranch_execz .LBB10_2694
; %bb.2693:                             ;   in Loop: Header=BB10_2646 Depth=3
	v_mov_b32_e32 v0, 1
	buffer_wbinvl1_vol
.LBB10_2694:                            ;   in Loop: Header=BB10_2646 Depth=3
	s_or_b64 exec, exec, s[42:43]
	s_andn2_saveexec_b64 s[26:27], s[26:27]
	s_cbranch_execz .LBB10_2714
	s_branch .LBB10_2696
.LBB10_2695:                            ;   in Loop: Header=BB10_2646 Depth=3
	s_andn2_saveexec_b64 s[26:27], s[26:27]
	s_cbranch_execz .LBB10_2714
.LBB10_2696:                            ;   in Loop: Header=BB10_2646 Depth=3
	s_and_saveexec_b64 s[42:43], s[56:57]
	s_xor_b64 s[42:43], exec, s[42:43]
	s_cbranch_execz .LBB10_2711
; %bb.2697:                             ;   in Loop: Header=BB10_2646 Depth=3
	s_and_saveexec_b64 s[76:77], s[16:17]
	s_cbranch_execz .LBB10_2710
; %bb.2698:                             ;   in Loop: Header=BB10_2646 Depth=3
	s_mov_b64 s[88:89], exec
	v_mbcnt_lo_u32_b32 v0, s88, 0
	v_mbcnt_hi_u32_b32 v0, s89, v0
	v_cmp_eq_u32_e32 vcc, 0, v0
	;;#ASMSTART
	s_waitcnt lgkmcnt(0) vmcnt(0)
	;;#ASMEND
	s_and_saveexec_b64 s[78:79], vcc
	s_cbranch_execz .LBB10_2700
; %bb.2699:                             ;   in Loop: Header=BB10_2646 Depth=3
	s_bcnt1_i32_b64 s88, s[88:89]
	v_mov_b32_e32 v0, s88
	v_mov_b32_e32 v1, v2
	s_waitcnt lgkmcnt(0)
	ds_add_u64 v0, v[0:1]
	s_trap 2
.LBB10_2700:                            ;   in Loop: Header=BB10_2646 Depth=3
	s_or_b64 exec, exec, s[78:79]
	s_trap 2
	ds_read_b64 v[0:1], v0
	s_waitcnt lgkmcnt(0)
	buffer_load_dword v3, off, s[0:3], s33 offset:72 ; 4-byte Folded Reload
	buffer_load_dword v4, off, s[0:3], s33 offset:76 ; 4-byte Folded Reload
	;; [unrolled: 1-line block ×3, first 2 shown]
	s_waitcnt vmcnt(0)
	v_add_co_u32_e32 v3, vcc, v3, v6
	v_addc_co_u32_e32 v4, vcc, 0, v4, vcc
	buffer_store_dword v3, off, s[0:3], s33 offset:72 ; 4-byte Folded Spill
	s_nop 0
	buffer_store_dword v4, off, s[0:3], s33 offset:76 ; 4-byte Folded Spill
	v_cmp_lt_u64_e32 vcc, v[0:1], v[3:4]
	s_and_saveexec_b64 s[78:79], vcc
	s_cbranch_execz .LBB10_2709
; %bb.2701:                             ;   in Loop: Header=BB10_2646 Depth=3
	s_mov_b32 s34, 0
	s_mov_b64 s[88:89], 0
                                        ; implicit-def: $sgpr90_sgpr91
                                        ; implicit-def: $sgpr92_sgpr93
	s_branch .LBB10_2703
.LBB10_2702:                            ;   in Loop: Header=BB10_2703 Depth=4
	s_or_b64 exec, exec, s[30:31]
	s_and_b64 s[94:95], exec, vcc
	s_or_b64 s[88:89], s[94:95], s[88:89]
	s_andn2_b64 s[90:91], s[90:91], exec
	s_and_b64 s[94:95], s[92:93], exec
	s_or_b64 s[90:91], s[90:91], s[94:95]
	s_andn2_b64 exec, exec, s[88:89]
	s_cbranch_execz .LBB10_2707
.LBB10_2703:                            ;   Parent Loop BB10_47 Depth=1
                                        ;     Parent Loop BB10_2467 Depth=2
                                        ;       Parent Loop BB10_2646 Depth=3
                                        ; =>      This Inner Loop Header: Depth=4
	s_add_i32 s34, s34, 1
	s_cmpk_lg_i32 s34, 0x2710
	s_cselect_b64 s[94:95], -1, 0
	s_and_b64 vcc, exec, s[94:95]
	s_cbranch_vccz .LBB10_2705
; %bb.2704:                             ;   in Loop: Header=BB10_2703 Depth=4
	s_mov_b64 vcc, -1
	s_or_b64 s[92:93], s[92:93], exec
	s_and_saveexec_b64 s[30:31], s[94:95]
	s_cbranch_execz .LBB10_2702
	s_branch .LBB10_2706
.LBB10_2705:                            ;   in Loop: Header=BB10_2703 Depth=4
	s_trap 2
	ds_read_b64 v[0:1], v0
	s_andn2_b64 s[94:95], s[94:95], exec
	s_mov_b32 s34, 0
	s_waitcnt vmcnt(0) lgkmcnt(0)
	flat_load_dword v0, v[0:1] glc
	s_waitcnt vmcnt(0) lgkmcnt(0)
	buffer_wbinvl1_vol
	v_cmp_eq_u32_e32 vcc, 0, v0
	s_and_b64 vcc, vcc, exec
	s_or_b64 s[94:95], s[94:95], vcc
	s_mov_b64 vcc, -1
	s_or_b64 s[92:93], s[92:93], exec
	s_and_saveexec_b64 s[30:31], s[94:95]
	s_cbranch_execz .LBB10_2702
.LBB10_2706:                            ;   in Loop: Header=BB10_2703 Depth=4
	s_sleep 1
	s_trap 2
	ds_read_b64 v[0:1], v0
	s_waitcnt lgkmcnt(0)
	buffer_load_dword v3, off, s[0:3], s33 offset:72 ; 4-byte Folded Reload
	buffer_load_dword v4, off, s[0:3], s33 offset:76 ; 4-byte Folded Reload
	s_andn2_b64 s[92:93], s[92:93], exec
	s_waitcnt vmcnt(0)
	v_cmp_ge_u64_e32 vcc, v[0:1], v[3:4]
	s_orn2_b64 vcc, vcc, exec
	s_branch .LBB10_2702
.LBB10_2707:                            ;   in Loop: Header=BB10_2646 Depth=3
	s_or_b64 exec, exec, s[88:89]
	s_and_saveexec_b64 s[88:89], s[90:91]
	s_xor_b64 s[88:89], exec, s[88:89]
	s_cbranch_execz .LBB10_2709
; %bb.2708:                             ;   in Loop: Header=BB10_2646 Depth=3
	v_mov_b32_e32 v0, 1
	ds_write_b32 v0, v0
	s_trap 2
.LBB10_2709:                            ;   in Loop: Header=BB10_2646 Depth=3
	s_or_b64 exec, exec, s[78:79]
	;;#ASMSTART
	s_wakeup
	;;#ASMEND
.LBB10_2710:                            ;   in Loop: Header=BB10_2646 Depth=3
	s_or_b64 exec, exec, s[76:77]
.LBB10_2711:                            ;   in Loop: Header=BB10_2646 Depth=3
	s_andn2_saveexec_b64 s[42:43], s[42:43]
	s_cbranch_execz .LBB10_2713
; %bb.2712:                             ;   in Loop: Header=BB10_2646 Depth=3
	;;#ASMSTART
	s_waitcnt lgkmcnt(0) vmcnt(0)
	;;#ASMEND
	s_waitcnt vmcnt(0) lgkmcnt(0)
	s_barrier
.LBB10_2713:                            ;   in Loop: Header=BB10_2646 Depth=3
	s_or_b64 exec, exec, s[42:43]
	buffer_load_dword v0, off, s[0:3], s33 offset:68 ; 4-byte Folded Reload
	s_waitcnt vmcnt(0)
	v_and_b32_e32 v0, 16, v0
.LBB10_2714:                            ;   in Loop: Header=BB10_2646 Depth=3
	s_or_b64 exec, exec, s[26:27]
	v_cmp_ne_u32_e32 vcc, 0, v0
	s_xor_b64 s[26:27], s[12:13], -1
	s_and_b64 s[42:43], vcc, s[26:27]
	s_and_saveexec_b64 s[26:27], s[42:43]
	s_cbranch_execz .LBB10_2716
; %bb.2715:                             ;   in Loop: Header=BB10_2646 Depth=3
	buffer_load_dword v0, off, s[0:3], s33 offset:128 ; 4-byte Folded Reload
	buffer_load_dword v1, off, s[0:3], s33 offset:132 ; 4-byte Folded Reload
	v_mov_b32_e32 v3, 1
	s_waitcnt vmcnt(0)
	flat_store_dword v[0:1], v3
.LBB10_2716:                            ;   in Loop: Header=BB10_2646 Depth=3
	s_or_b64 exec, exec, s[26:27]
	buffer_load_dword v0, off, s[0:3], s33 offset:68 ; 4-byte Folded Reload
	s_waitcnt vmcnt(0)
	v_and_b32_e32 v0, 48, v0
	v_cmp_ne_u32_e32 vcc, 0, v0
	s_and_saveexec_b64 s[26:27], vcc
	s_cbranch_execz .LBB10_2645
; %bb.2717:                             ;   in Loop: Header=BB10_2646 Depth=3
	buffer_load_dword v3, off, s[0:3], s33 offset:80 ; 4-byte Folded Reload
	buffer_load_dword v4, off, s[0:3], s33 offset:84 ; 4-byte Folded Reload
	;; [unrolled: 1-line block ×4, first 2 shown]
	s_waitcnt vmcnt(0)
	v_add_co_u32_e32 v3, vcc, 2, v3
	v_addc_co_u32_e32 v4, vcc, 0, v4, vcc
	buffer_store_dword v3, off, s[0:3], s33 offset:80 ; 4-byte Folded Spill
	s_nop 0
	buffer_store_dword v4, off, s[0:3], s33 offset:84 ; 4-byte Folded Spill
	flat_store_dwordx2 v[0:1], v[3:4]
	s_branch .LBB10_2645
.LBB10_2718:                            ;   in Loop: Header=BB10_2467 Depth=2
	s_or_b64 exec, exec, s[76:77]
	s_or_b64 exec, exec, s[42:43]
	v_cmp_gt_i32_e32 vcc, 2, v0
	s_and_saveexec_b64 s[28:29], vcc
	s_cbranch_execnz .LBB10_2644
.LBB10_2719:                            ;   in Loop: Header=BB10_2467 Depth=2
	s_or_b64 exec, exec, s[28:29]
	s_add_i32 s26, s75, 1
	s_cmp_eq_u32 s75, s83
	s_cbranch_scc0 .LBB10_2721
	s_branch .LBB10_2722
.LBB10_2720:                            ;   in Loop: Header=BB10_2467 Depth=2
	s_or_b64 exec, exec, s[40:41]
	s_or_b64 exec, exec, s[28:29]
	s_add_i32 s26, s75, 1
	s_cmp_eq_u32 s75, s83
	s_cbranch_scc1 .LBB10_2722
.LBB10_2721:                            ;   in Loop: Header=BB10_2467 Depth=2
	s_mov_b32 s75, s26
	s_branch .LBB10_2467
.LBB10_2722:                            ;   in Loop: Header=BB10_47 Depth=1
	buffer_load_dword v6, off, s[0:3], s33 offset:340 ; 4-byte Folded Reload
	buffer_load_dword v7, off, s[0:3], s33 offset:344 ; 4-byte Folded Reload
	s_waitcnt vmcnt(0)
	v_mul_lo_u32 v1, v6, s85
	v_mul_lo_u32 v0, v7, s84
	v_mad_u64_u32 v[4:5], s[26:27], v6, s84, 0
	v_add3_u32 v5, v5, v1, v0
	buffer_load_dword v0, off, s[0:3], s33 offset:332 ; 4-byte Folded Reload
	buffer_load_dword v1, off, s[0:3], s33 offset:336 ; 4-byte Folded Reload
	s_waitcnt vmcnt(0)
	v_sub_co_u32_e32 v0, vcc, v0, v4
	v_subb_co_u32_e32 v1, vcc, v1, v5, vcc
	v_cmp_lt_i64_e32 vcc, v[6:7], v[0:1]
	v_cndmask_b32_e32 v1, v0, v6, vcc
	v_max_i32_e32 v16, 0, v1
	v_add_u32_e32 v3, 31, v16
	v_lshrrev_b32_e32 v3, 1, v3
	v_and_b32_e32 v3, 0x3ffffff0, v3
	v_cmp_lt_i32_e32 vcc, 0, v1
	v_mov_b32_e32 v0, 0
	v_max_i32_e32 v17, s82, v3
	s_and_b64 s[26:27], s[72:73], vcc
	v_mov_b32_e32 v3, 0
	s_and_saveexec_b64 s[28:29], s[26:27]
	s_cbranch_execz .LBB10_2860
; %bb.2723:                             ;   in Loop: Header=BB10_47 Depth=1
	buffer_load_dword v0, off, s[0:3], s33 offset:192 ; 4-byte Folded Reload
	buffer_load_dword v1, off, s[0:3], s33 offset:196 ; 4-byte Folded Reload
	s_mov_b32 s75, 1
	s_mov_b64 s[42:43], -1
	v_mov_b32_e32 v3, 0
	s_mov_b64 s[40:41], 0
	s_waitcnt vmcnt(0)
	v_add_co_u32_e32 v0, vcc, v4, v0
	v_addc_co_u32_e32 v1, vcc, v5, v1, vcc
	v_lshlrev_b64 v[8:9], 1, v[0:1]
	s_branch .LBB10_2725
.LBB10_2724:                            ;   in Loop: Header=BB10_2725 Depth=2
	s_or_b64 exec, exec, s[26:27]
	v_add_u32_e32 v3, v17, v3
	v_cmp_ge_i32_e32 vcc, v3, v16
	s_xor_b64 s[26:27], s[42:43], -1
	s_or_b64 s[26:27], s[26:27], vcc
	s_and_b64 s[26:27], exec, s[26:27]
	s_or_b64 s[40:41], s[26:27], s[40:41]
	s_mov_b64 s[42:43], 0
	v_mov_b32_e32 v0, s75
	s_mov_b32 s75, 2
	s_andn2_b64 exec, exec, s[40:41]
	s_cbranch_execz .LBB10_2859
.LBB10_2725:                            ;   Parent Loop BB10_47 Depth=1
                                        ; =>  This Loop Header: Depth=2
                                        ;       Child Loop BB10_2733 Depth 3
                                        ;       Child Loop BB10_2757 Depth 3
	;; [unrolled: 1-line block ×9, first 2 shown]
	s_and_saveexec_b64 s[26:27], s[4:5]
	s_cbranch_execz .LBB10_2727
; %bb.2726:                             ;   in Loop: Header=BB10_2725 Depth=2
	s_trap 2
	ds_read_b128 v[4:7], v0
	s_waitcnt lgkmcnt(0)
	v_add_co_u32_e32 v10, vcc, v4, v8
	v_ashrrev_i32_e32 v4, 31, v3
	v_lshlrev_b64 v[0:1], 1, v[3:4]
	v_addc_co_u32_e32 v5, vcc, v5, v9, vcc
	v_add_co_u32_e32 v4, vcc, v10, v0
	v_addc_co_u32_e32 v5, vcc, v5, v1, vcc
	ds_write_b64 v0, v[4:5]
	v_add_co_u32_e32 v4, vcc, v6, v8
	v_addc_co_u32_e32 v5, vcc, v7, v9, vcc
	v_add_co_u32_e32 v0, vcc, v4, v0
	v_addc_co_u32_e32 v1, vcc, v5, v1, vcc
	v_cmp_ne_u64_e32 vcc, 0, v[6:7]
	v_cndmask_b32_e32 v1, 0, v1, vcc
	v_cndmask_b32_e32 v0, 0, v0, vcc
	ds_write_b64 v0, v[0:1]
.LBB10_2727:                            ;   in Loop: Header=BB10_2725 Depth=2
	s_or_b64 exec, exec, s[26:27]
	buffer_load_dword v0, off, s[0:3], s33 offset:68 ; 4-byte Folded Reload
	s_waitcnt vmcnt(0)
	v_and_b32_e32 v0, 4, v0
	v_cmp_ne_u32_e32 vcc, 0, v0
	s_and_saveexec_b64 s[76:77], vcc
	s_cbranch_execz .LBB10_2749
; %bb.2728:                             ;   in Loop: Header=BB10_2725 Depth=2
	buffer_load_dword v0, off, s[0:3], s33 offset:80 ; 4-byte Folded Reload
	buffer_load_dword v1, off, s[0:3], s33 offset:84 ; 4-byte Folded Reload
	s_waitcnt vmcnt(0)
	v_add_co_u32_e32 v4, vcc, 2, v0
	v_addc_co_u32_e32 v5, vcc, 0, v1, vcc
	s_waitcnt lgkmcnt(0)
	v_cmp_lt_u64_e32 vcc, v[48:49], v[4:5]
	s_and_saveexec_b64 s[78:79], vcc
	s_cbranch_execz .LBB10_2740
; %bb.2729:                             ;   in Loop: Header=BB10_2725 Depth=2
	buffer_load_dword v0, off, s[0:3], s33 offset:68 ; 4-byte Folded Reload
	s_mov_b32 s50, 0
	s_mov_b64 s[88:89], 0
                                        ; implicit-def: $sgpr90_sgpr91
                                        ; implicit-def: $sgpr92_sgpr93
                                        ; implicit-def: $sgpr94_sgpr95
	s_waitcnt vmcnt(0)
	v_and_b32_e32 v0, 64, v0
	v_cmp_eq_u32_e32 vcc, 0, v0
	s_branch .LBB10_2733
.LBB10_2730:                            ;   in Loop: Header=BB10_2733 Depth=3
	s_waitcnt vmcnt(0) lgkmcnt(0)
	v_cmp_ge_u64_e64 s[26:27], v[48:49], v[4:5]
	s_or_b64 s[36:37], s[36:37], exec
	s_orn2_b64 s[34:35], s[26:27], exec
.LBB10_2731:                            ;   in Loop: Header=BB10_2733 Depth=3
	s_or_b64 exec, exec, s[48:49]
	s_andn2_b64 s[26:27], s[94:95], exec
	s_and_b64 s[94:95], s[36:37], exec
	s_or_b64 s[94:95], s[26:27], s[94:95]
	s_andn2_b64 s[26:27], s[92:93], exec
	s_and_b64 s[92:93], s[34:35], exec
	s_or_b64 s[92:93], s[26:27], s[92:93]
.LBB10_2732:                            ;   in Loop: Header=BB10_2733 Depth=3
	s_or_b64 exec, exec, s[30:31]
	s_and_b64 s[26:27], exec, s[92:93]
	s_or_b64 s[88:89], s[26:27], s[88:89]
	s_andn2_b64 s[26:27], s[90:91], exec
	s_and_b64 s[90:91], s[94:95], exec
	s_or_b64 s[90:91], s[26:27], s[90:91]
	s_andn2_b64 exec, exec, s[88:89]
	s_cbranch_execz .LBB10_2737
.LBB10_2733:                            ;   Parent Loop BB10_47 Depth=1
                                        ;     Parent Loop BB10_2725 Depth=2
                                        ; =>    This Inner Loop Header: Depth=3
	s_sleep 1
	buffer_load_dword v0, off, s[0:3], s33 offset:60 ; 4-byte Folded Reload
	buffer_load_dword v1, off, s[0:3], s33 offset:64 ; 4-byte Folded Reload
	s_or_b64 s[94:95], s[94:95], exec
	s_or_b64 s[92:93], s[92:93], exec
	s_waitcnt vmcnt(0) lgkmcnt(0)
	flat_load_dwordx2 v[48:49], v[0:1] glc
                                        ; implicit-def: $vgpr0
	s_and_saveexec_b64 s[30:31], vcc
	s_cbranch_execz .LBB10_2732
; %bb.2734:                             ;   in Loop: Header=BB10_2733 Depth=3
	s_cmpk_lt_i32 s50, 0x270f
	s_cselect_b64 s[38:39], -1, 0
	s_cmpk_gt_i32 s50, 0x270e
	s_mov_b64 s[34:35], -1
	s_cbranch_scc0 .LBB10_2736
; %bb.2735:                             ;   in Loop: Header=BB10_2733 Depth=3
	s_trap 2
	ds_read_b64 v[0:1], v0
	s_andn2_b64 s[38:39], s[38:39], exec
	s_mov_b32 s50, 0
	s_mov_b64 s[36:37], 0
	s_waitcnt vmcnt(0) lgkmcnt(0)
	flat_load_dword v0, v[0:1] glc
	s_waitcnt vmcnt(0) lgkmcnt(0)
	buffer_wbinvl1_vol
	v_cmp_eq_u32_e64 s[26:27], 0, v0
	s_and_b64 s[26:27], s[26:27], exec
	s_or_b64 s[38:39], s[38:39], s[26:27]
	s_and_saveexec_b64 s[48:49], s[38:39]
	s_cbranch_execz .LBB10_2731
	s_branch .LBB10_2730
.LBB10_2736:                            ;   in Loop: Header=BB10_2733 Depth=3
	s_add_i32 s50, s50, 1
	s_mov_b64 s[36:37], -1
                                        ; implicit-def: $vgpr0
	s_and_saveexec_b64 s[48:49], s[38:39]
	s_cbranch_execz .LBB10_2731
	s_branch .LBB10_2730
.LBB10_2737:                            ;   in Loop: Header=BB10_2725 Depth=2
	s_or_b64 exec, exec, s[88:89]
	s_xor_b64 s[26:27], s[90:91], -1
	s_and_saveexec_b64 s[88:89], s[26:27]
	s_xor_b64 s[26:27], exec, s[88:89]
	s_cbranch_execz .LBB10_2739
; %bb.2738:                             ;   in Loop: Header=BB10_2725 Depth=2
	s_waitcnt lgkmcnt(0)
	ds_write_b32 v0, v0
	s_trap 2
	buffer_load_dword v0, off, s[0:3], s33 offset:68 ; 4-byte Folded Reload
	s_waitcnt vmcnt(0)
	v_or_b32_e32 v0, 64, v0
	buffer_store_dword v0, off, s[0:3], s33 offset:68 ; 4-byte Folded Spill
.LBB10_2739:                            ;   in Loop: Header=BB10_2725 Depth=2
	s_or_b64 exec, exec, s[26:27]
.LBB10_2740:                            ;   in Loop: Header=BB10_2725 Depth=2
	s_or_b64 exec, exec, s[78:79]
	;;#ASMSTART
	s_wakeup
	;;#ASMEND
	buffer_load_dword v0, off, s[0:3], s33 offset:68 ; 4-byte Folded Reload
	s_mov_b64 s[26:27], -1
                                        ; implicit-def: $vgpr10_vgpr11
	s_waitcnt vmcnt(0)
	v_and_b32_e32 v0, 0x100, v0
	v_cmp_ne_u32_e32 vcc, 0, v0
	buffer_load_dword v0, off, s[0:3], s33 offset:80 ; 4-byte Folded Reload
	buffer_load_dword v1, off, s[0:3], s33 offset:84 ; 4-byte Folded Reload
	s_waitcnt vmcnt(0)
	v_and_b32_e32 v0, 7, v0
	s_and_saveexec_b64 s[78:79], vcc
	s_cbranch_execz .LBB10_2744
; %bb.2741:                             ;   in Loop: Header=BB10_2725 Depth=2
	buffer_load_dword v10, off, s[0:3], s33 offset:112 ; 4-byte Folded Reload
	buffer_load_dword v11, off, s[0:3], s33 offset:116 ; 4-byte Folded Reload
	;; [unrolled: 1-line block ×4, first 2 shown]
	s_waitcnt vmcnt(0)
	v_mad_u64_u32 v[12:13], s[26:27], v0, 24, v[10:11]
                                        ; implicit-def: $vgpr10_vgpr11
	flat_load_dword v1, v[12:13]
	s_waitcnt vmcnt(0) lgkmcnt(0)
	v_cmp_ne_u32_e32 vcc, 1, v1
	v_cmp_eq_u32_e64 s[26:27], 1, v1
	s_and_saveexec_b64 s[88:89], s[26:27]
	s_cbranch_execz .LBB10_2743
; %bb.2742:                             ;   in Loop: Header=BB10_2725 Depth=2
	flat_load_dword v6, v[12:13] offset:4 glc
	s_waitcnt vmcnt(0) lgkmcnt(0)
	v_ashrrev_i32_e32 v7, 31, v6
	v_lshrrev_b64 v[10:11], 1, v[6:7]
.LBB10_2743:                            ;   in Loop: Header=BB10_2725 Depth=2
	s_or_b64 exec, exec, s[88:89]
	s_orn2_b64 s[26:27], vcc, exec
.LBB10_2744:                            ;   in Loop: Header=BB10_2725 Depth=2
	s_or_b64 exec, exec, s[78:79]
	s_and_saveexec_b64 s[78:79], s[26:27]
	s_cbranch_execz .LBB10_2746
; %bb.2745:                             ;   in Loop: Header=BB10_2725 Depth=2
	buffer_load_dword v1, off, s[0:3], s33 offset:140 ; 4-byte Folded Reload
	s_waitcnt vmcnt(0)
	v_mad_i64_i32 v[10:11], s[26:27], v0, v1, 0
.LBB10_2746:                            ;   in Loop: Header=BB10_2725 Depth=2
	s_or_b64 exec, exec, s[78:79]
	buffer_load_dword v6, off, s[0:3], s33 offset:104 ; 4-byte Folded Reload
	buffer_load_dword v7, off, s[0:3], s33 offset:108 ; 4-byte Folded Reload
	v_lshlrev_b64 v[0:1], 1, v[10:11]
	s_waitcnt vmcnt(0)
	v_add_co_u32_e32 v0, vcc, v6, v0
	v_addc_co_u32_e32 v1, vcc, v7, v1, vcc
	ds_write_b64 v0, v[0:1] offset:720
	buffer_load_dword v0, off, s[0:3], s33 offset:68 ; 4-byte Folded Reload
	s_waitcnt vmcnt(0)
	v_and_b32_e32 v0, 0x2000, v0
	v_cmp_ne_u32_e32 vcc, 0, v0
	s_and_saveexec_b64 s[26:27], vcc
	s_cbranch_execz .LBB10_2748
; %bb.2747:                             ;   in Loop: Header=BB10_2725 Depth=2
	ds_read_b64 v[0:1], v0 offset:872
	s_waitcnt lgkmcnt(0)
	v_add_co_u32_e32 v0, vcc, 1, v0
	v_addc_co_u32_e32 v1, vcc, 0, v1, vcc
	ds_write_b64 v0, v[0:1] offset:872
.LBB10_2748:                            ;   in Loop: Header=BB10_2725 Depth=2
	s_or_b64 exec, exec, s[26:27]
	buffer_store_dword v4, off, s[0:3], s33 offset:80 ; 4-byte Folded Spill
	s_nop 0
	buffer_store_dword v5, off, s[0:3], s33 offset:84 ; 4-byte Folded Spill
.LBB10_2749:                            ;   in Loop: Header=BB10_2725 Depth=2
	s_or_b64 exec, exec, s[76:77]
	s_and_saveexec_b64 s[26:27], s[10:11]
	s_cbranch_execz .LBB10_2768
; %bb.2750:                             ;   in Loop: Header=BB10_2725 Depth=2
	s_and_saveexec_b64 s[76:77], s[56:57]
	s_xor_b64 s[76:77], exec, s[76:77]
	s_cbranch_execz .LBB10_2765
; %bb.2751:                             ;   in Loop: Header=BB10_2725 Depth=2
	s_and_saveexec_b64 s[78:79], s[16:17]
	s_cbranch_execz .LBB10_2764
; %bb.2752:                             ;   in Loop: Header=BB10_2725 Depth=2
	s_mov_b64 s[90:91], exec
	v_mbcnt_lo_u32_b32 v0, s90, 0
	v_mbcnt_hi_u32_b32 v0, s91, v0
	v_cmp_eq_u32_e32 vcc, 0, v0
	s_waitcnt vmcnt(0) lgkmcnt(0)
	buffer_wbinvl1_vol
	s_and_saveexec_b64 s[88:89], vcc
	s_cbranch_execz .LBB10_2754
; %bb.2753:                             ;   in Loop: Header=BB10_2725 Depth=2
	s_bcnt1_i32_b64 s90, s[90:91]
	v_mov_b32_e32 v0, s90
	v_mov_b32_e32 v1, v2
	ds_add_u64 v0, v[0:1]
	s_trap 2
.LBB10_2754:                            ;   in Loop: Header=BB10_2725 Depth=2
	s_or_b64 exec, exec, s[88:89]
	s_trap 2
	ds_read_b64 v[0:1], v0
	s_waitcnt lgkmcnt(0)
	buffer_load_dword v4, off, s[0:3], s33 offset:72 ; 4-byte Folded Reload
	buffer_load_dword v5, off, s[0:3], s33 offset:76 ; 4-byte Folded Reload
	;; [unrolled: 1-line block ×3, first 2 shown]
	s_waitcnt vmcnt(0)
	v_add_co_u32_e32 v4, vcc, v4, v6
	v_addc_co_u32_e32 v5, vcc, 0, v5, vcc
	buffer_store_dword v4, off, s[0:3], s33 offset:72 ; 4-byte Folded Spill
	s_nop 0
	buffer_store_dword v5, off, s[0:3], s33 offset:76 ; 4-byte Folded Spill
	v_cmp_lt_u64_e32 vcc, v[0:1], v[4:5]
	s_and_saveexec_b64 s[88:89], vcc
	s_cbranch_execz .LBB10_2763
; %bb.2755:                             ;   in Loop: Header=BB10_2725 Depth=2
	s_mov_b32 s36, 0
	s_mov_b64 s[90:91], 0
                                        ; implicit-def: $sgpr92_sgpr93
                                        ; implicit-def: $sgpr94_sgpr95
	s_branch .LBB10_2757
.LBB10_2756:                            ;   in Loop: Header=BB10_2757 Depth=3
	s_or_b64 exec, exec, s[34:35]
	s_and_b64 vcc, exec, vcc
	s_or_b64 s[90:91], vcc, s[90:91]
	s_andn2_b64 s[92:93], s[92:93], exec
	s_and_b64 vcc, s[94:95], exec
	s_or_b64 s[92:93], s[92:93], vcc
	s_andn2_b64 exec, exec, s[90:91]
	s_cbranch_execz .LBB10_2761
.LBB10_2757:                            ;   Parent Loop BB10_47 Depth=1
                                        ;     Parent Loop BB10_2725 Depth=2
                                        ; =>    This Inner Loop Header: Depth=3
	s_add_i32 s36, s36, 1
	s_cmpk_lg_i32 s36, 0x2710
	s_cselect_b64 s[30:31], -1, 0
	s_and_b64 vcc, exec, s[30:31]
	s_cbranch_vccz .LBB10_2759
; %bb.2758:                             ;   in Loop: Header=BB10_2757 Depth=3
	s_mov_b64 vcc, -1
	s_or_b64 s[94:95], s[94:95], exec
	s_and_saveexec_b64 s[34:35], s[30:31]
	s_cbranch_execz .LBB10_2756
	s_branch .LBB10_2760
.LBB10_2759:                            ;   in Loop: Header=BB10_2757 Depth=3
	s_trap 2
	ds_read_b64 v[0:1], v0
	s_andn2_b64 s[30:31], s[30:31], exec
	s_mov_b32 s36, 0
	s_waitcnt vmcnt(0) lgkmcnt(0)
	flat_load_dword v0, v[0:1] glc
	s_waitcnt vmcnt(0) lgkmcnt(0)
	buffer_wbinvl1_vol
	v_cmp_eq_u32_e32 vcc, 0, v0
	s_and_b64 vcc, vcc, exec
	s_or_b64 s[30:31], s[30:31], vcc
	s_mov_b64 vcc, -1
	s_or_b64 s[94:95], s[94:95], exec
	s_and_saveexec_b64 s[34:35], s[30:31]
	s_cbranch_execz .LBB10_2756
.LBB10_2760:                            ;   in Loop: Header=BB10_2757 Depth=3
	s_sleep 1
	s_trap 2
	ds_read_b64 v[0:1], v0
	s_waitcnt lgkmcnt(0)
	buffer_load_dword v4, off, s[0:3], s33 offset:72 ; 4-byte Folded Reload
	buffer_load_dword v5, off, s[0:3], s33 offset:76 ; 4-byte Folded Reload
	s_andn2_b64 s[94:95], s[94:95], exec
	s_waitcnt vmcnt(0)
	v_cmp_ge_u64_e32 vcc, v[0:1], v[4:5]
	s_orn2_b64 vcc, vcc, exec
	s_branch .LBB10_2756
.LBB10_2761:                            ;   in Loop: Header=BB10_2725 Depth=2
	s_or_b64 exec, exec, s[90:91]
	s_and_saveexec_b64 s[90:91], s[92:93]
	s_xor_b64 s[90:91], exec, s[90:91]
	s_cbranch_execz .LBB10_2763
; %bb.2762:                             ;   in Loop: Header=BB10_2725 Depth=2
	v_mov_b32_e32 v0, 1
	ds_write_b32 v0, v0
	s_trap 2
.LBB10_2763:                            ;   in Loop: Header=BB10_2725 Depth=2
	s_or_b64 exec, exec, s[88:89]
	;;#ASMSTART
	s_wakeup
	;;#ASMEND
.LBB10_2764:                            ;   in Loop: Header=BB10_2725 Depth=2
	s_or_b64 exec, exec, s[78:79]
.LBB10_2765:                            ;   in Loop: Header=BB10_2725 Depth=2
	s_andn2_saveexec_b64 s[76:77], s[76:77]
	s_cbranch_execz .LBB10_2767
; %bb.2766:                             ;   in Loop: Header=BB10_2725 Depth=2
	s_waitcnt vmcnt(0) lgkmcnt(0)
	buffer_wbinvl1_vol
	s_barrier
.LBB10_2767:                            ;   in Loop: Header=BB10_2725 Depth=2
	s_or_b64 exec, exec, s[76:77]
.LBB10_2768:                            ;   in Loop: Header=BB10_2725 Depth=2
	s_or_b64 exec, exec, s[26:27]
	s_trap 2
	buffer_load_dword v1, off, s[0:3], s33 offset:68 ; 4-byte Folded Reload
	ds_read_b32 v0, v0
	s_xor_b64 s[26:27], s[6:7], -1
	s_waitcnt vmcnt(0)
	v_and_b32_e32 v1, 0x4000, v1
	v_cmp_ne_u32_e32 vcc, 0, v1
	s_and_b64 s[76:77], s[26:27], vcc
	s_and_saveexec_b64 s[26:27], s[76:77]
	s_cbranch_execz .LBB10_2787
; %bb.2769:                             ;   in Loop: Header=BB10_2725 Depth=2
	s_and_saveexec_b64 s[76:77], s[56:57]
	s_xor_b64 s[76:77], exec, s[76:77]
	s_cbranch_execz .LBB10_2784
; %bb.2770:                             ;   in Loop: Header=BB10_2725 Depth=2
	s_and_saveexec_b64 s[78:79], s[16:17]
	s_cbranch_execz .LBB10_2783
; %bb.2771:                             ;   in Loop: Header=BB10_2725 Depth=2
	s_mov_b64 s[90:91], exec
	v_mbcnt_lo_u32_b32 v1, s90, 0
	v_mbcnt_hi_u32_b32 v1, s91, v1
	v_cmp_eq_u32_e32 vcc, 0, v1
	s_waitcnt lgkmcnt(0)
	buffer_wbinvl1_vol
	s_and_saveexec_b64 s[88:89], vcc
	s_cbranch_execz .LBB10_2773
; %bb.2772:                             ;   in Loop: Header=BB10_2725 Depth=2
	s_bcnt1_i32_b64 s90, s[90:91]
	v_mov_b32_e32 v4, s90
	v_mov_b32_e32 v5, v2
	ds_add_u64 v0, v[4:5]
	s_trap 2
.LBB10_2773:                            ;   in Loop: Header=BB10_2725 Depth=2
	s_or_b64 exec, exec, s[88:89]
	s_trap 2
	ds_read_b64 v[4:5], v0
	s_waitcnt lgkmcnt(0)
	buffer_load_dword v6, off, s[0:3], s33 offset:72 ; 4-byte Folded Reload
	buffer_load_dword v7, off, s[0:3], s33 offset:76 ; 4-byte Folded Reload
	;; [unrolled: 1-line block ×3, first 2 shown]
	s_waitcnt vmcnt(0)
	v_add_co_u32_e32 v6, vcc, v6, v1
	v_addc_co_u32_e32 v7, vcc, 0, v7, vcc
	buffer_store_dword v6, off, s[0:3], s33 offset:72 ; 4-byte Folded Spill
	s_nop 0
	buffer_store_dword v7, off, s[0:3], s33 offset:76 ; 4-byte Folded Spill
	v_cmp_lt_u64_e32 vcc, v[4:5], v[6:7]
	s_and_saveexec_b64 s[88:89], vcc
	s_cbranch_execz .LBB10_2782
; %bb.2774:                             ;   in Loop: Header=BB10_2725 Depth=2
	s_mov_b32 s36, 0
	s_mov_b64 s[90:91], 0
                                        ; implicit-def: $sgpr92_sgpr93
                                        ; implicit-def: $sgpr94_sgpr95
	s_branch .LBB10_2776
.LBB10_2775:                            ;   in Loop: Header=BB10_2776 Depth=3
	s_or_b64 exec, exec, s[34:35]
	s_and_b64 vcc, exec, vcc
	s_or_b64 s[90:91], vcc, s[90:91]
	s_andn2_b64 s[92:93], s[92:93], exec
	s_and_b64 vcc, s[94:95], exec
	s_or_b64 s[92:93], s[92:93], vcc
	s_andn2_b64 exec, exec, s[90:91]
	s_cbranch_execz .LBB10_2780
.LBB10_2776:                            ;   Parent Loop BB10_47 Depth=1
                                        ;     Parent Loop BB10_2725 Depth=2
                                        ; =>    This Inner Loop Header: Depth=3
	s_add_i32 s36, s36, 1
	s_cmpk_lg_i32 s36, 0x2710
	s_cselect_b64 s[30:31], -1, 0
	s_and_b64 vcc, exec, s[30:31]
	s_cbranch_vccz .LBB10_2778
; %bb.2777:                             ;   in Loop: Header=BB10_2776 Depth=3
	s_mov_b64 vcc, -1
	s_or_b64 s[94:95], s[94:95], exec
	s_and_saveexec_b64 s[34:35], s[30:31]
	s_cbranch_execz .LBB10_2775
	s_branch .LBB10_2779
.LBB10_2778:                            ;   in Loop: Header=BB10_2776 Depth=3
	s_trap 2
	ds_read_b64 v[4:5], v0
	s_andn2_b64 s[30:31], s[30:31], exec
	s_mov_b32 s36, 0
	s_waitcnt vmcnt(0) lgkmcnt(0)
	flat_load_dword v1, v[4:5] glc
	s_waitcnt vmcnt(0) lgkmcnt(0)
	buffer_wbinvl1_vol
	v_cmp_eq_u32_e32 vcc, 0, v1
	s_and_b64 vcc, vcc, exec
	s_or_b64 s[30:31], s[30:31], vcc
	s_mov_b64 vcc, -1
	s_or_b64 s[94:95], s[94:95], exec
	s_and_saveexec_b64 s[34:35], s[30:31]
	s_cbranch_execz .LBB10_2775
.LBB10_2779:                            ;   in Loop: Header=BB10_2776 Depth=3
	s_sleep 1
	s_trap 2
	ds_read_b64 v[4:5], v0
	s_waitcnt lgkmcnt(0)
	buffer_load_dword v6, off, s[0:3], s33 offset:72 ; 4-byte Folded Reload
	buffer_load_dword v7, off, s[0:3], s33 offset:76 ; 4-byte Folded Reload
	s_andn2_b64 s[94:95], s[94:95], exec
	s_waitcnt vmcnt(0)
	v_cmp_ge_u64_e32 vcc, v[4:5], v[6:7]
	s_orn2_b64 vcc, vcc, exec
	s_branch .LBB10_2775
.LBB10_2780:                            ;   in Loop: Header=BB10_2725 Depth=2
	s_or_b64 exec, exec, s[90:91]
	s_and_saveexec_b64 s[90:91], s[92:93]
	s_xor_b64 s[90:91], exec, s[90:91]
	s_cbranch_execz .LBB10_2782
; %bb.2781:                             ;   in Loop: Header=BB10_2725 Depth=2
	v_mov_b32_e32 v1, 1
	ds_write_b32 v0, v1
	s_trap 2
.LBB10_2782:                            ;   in Loop: Header=BB10_2725 Depth=2
	s_or_b64 exec, exec, s[88:89]
	;;#ASMSTART
	s_wakeup
	;;#ASMEND
.LBB10_2783:                            ;   in Loop: Header=BB10_2725 Depth=2
	s_or_b64 exec, exec, s[78:79]
.LBB10_2784:                            ;   in Loop: Header=BB10_2725 Depth=2
	s_andn2_saveexec_b64 s[76:77], s[76:77]
	s_cbranch_execz .LBB10_2786
; %bb.2785:                             ;   in Loop: Header=BB10_2725 Depth=2
	s_waitcnt vmcnt(0) lgkmcnt(0)
	buffer_wbinvl1_vol
	s_barrier
.LBB10_2786:                            ;   in Loop: Header=BB10_2725 Depth=2
	s_or_b64 exec, exec, s[76:77]
.LBB10_2787:                            ;   in Loop: Header=BB10_2725 Depth=2
	s_or_b64 exec, exec, s[26:27]
	s_trap 2
	s_waitcnt lgkmcnt(0)
	ds_read_b64 v[4:5], v0
	v_sub_u32_e32 v1, v16, v3
	v_min_i32_e32 v17, v17, v1
	s_waitcnt lgkmcnt(0)
	v_cmp_eq_u64_e32 vcc, 0, v[4:5]
	s_cbranch_vccnz .LBB10_2795
; %bb.2788:                             ;   in Loop: Header=BB10_2725 Depth=2
	s_trap 2
	ds_read_b64 v[10:11], v0
	s_waitcnt lgkmcnt(0)
	v_cmp_eq_u64_e32 vcc, 0, v[10:11]
	s_cbranch_vccnz .LBB10_2795
; %bb.2789:                             ;   in Loop: Header=BB10_2725 Depth=2
	s_mov_b64 s[26:27], -1
	s_and_saveexec_b64 s[76:77], s[20:21]
	s_cbranch_execz .LBB10_2791
; %bb.2790:                             ;   in Loop: Header=BB10_2725 Depth=2
	ds_read_b32 v1, v0 offset:720
	s_waitcnt lgkmcnt(0)
	v_and_b32_e32 v1, 15, v1
	v_cmp_eq_u32_e32 vcc, 0, v1
	s_orn2_b64 s[26:27], vcc, exec
.LBB10_2791:                            ;   in Loop: Header=BB10_2725 Depth=2
	s_or_b64 exec, exec, s[76:77]
	s_and_saveexec_b64 s[76:77], s[18:19]
	s_cbranch_execz .LBB10_2793
; %bb.2792:                             ;   in Loop: Header=BB10_2725 Depth=2
	ds_read_b32 v1, v0 offset:784
	s_waitcnt lgkmcnt(0)
	v_and_b32_e32 v1, 15, v1
	v_cmp_eq_u32_e32 vcc, 0, v1
	s_and_b64 s[78:79], s[26:27], vcc
	s_andn2_b64 s[26:27], s[26:27], exec
	s_and_b64 s[78:79], s[78:79], exec
	s_or_b64 s[26:27], s[26:27], s[78:79]
.LBB10_2793:                            ;   in Loop: Header=BB10_2725 Depth=2
	s_or_b64 exec, exec, s[76:77]
	v_cmp_eq_u32_e32 vcc, 0, v0
	s_xor_b64 s[26:27], s[26:27], -1
	v_cndmask_b32_e32 v0, 0, v17, vcc
	v_cndmask_b32_e64 v6, 0, 1, s[26:27]
	v_lshlrev_b32_e32 v1, 1, v0
	s_mov_b64 s[78:79], -1
	v_cmp_ne_u32_e32 vcc, 0, v6
	v_mov_b32_e32 v6, 0
	s_cbranch_vccz .LBB10_2800
; %bb.2794:                             ;   in Loop: Header=BB10_2725 Depth=2
	buffer_load_dword v7, off, s[0:3], s33 offset:180 ; 4-byte Folded Reload
	s_and_saveexec_b64 s[26:27], s[78:79]
	s_cbranch_execnz .LBB10_2811
	s_branch .LBB10_2819
.LBB10_2795:                            ;   in Loop: Header=BB10_2725 Depth=2
	s_mov_b64 s[26:27], 0
	s_and_saveexec_b64 s[76:77], s[10:11]
	s_cbranch_execnz .LBB10_2820
.LBB10_2796:                            ;   in Loop: Header=BB10_2725 Depth=2
	s_or_b64 exec, exec, s[76:77]
	s_and_saveexec_b64 s[76:77], s[24:25]
	s_xor_b64 s[76:77], exec, s[76:77]
	s_cbranch_execz .LBB10_2838
.LBB10_2797:                            ;   in Loop: Header=BB10_2725 Depth=2
	buffer_load_dword v0, off, s[0:3], s33 offset:68 ; 4-byte Folded Reload
	s_waitcnt vmcnt(0)
	v_and_b32_e32 v0, 16, v0
	v_cmp_ne_u32_e32 vcc, 0, v0
	s_and_b64 s[78:79], vcc, s[26:27]
	s_and_saveexec_b64 s[26:27], s[78:79]
	s_cbranch_execz .LBB10_2799
; %bb.2798:                             ;   in Loop: Header=BB10_2725 Depth=2
	s_waitcnt lgkmcnt(0)
	buffer_wbinvl1_vol
.LBB10_2799:                            ;   in Loop: Header=BB10_2725 Depth=2
	s_or_b64 exec, exec, s[26:27]
	s_andn2_saveexec_b64 s[26:27], s[76:77]
	s_cbranch_execz .LBB10_2857
	s_branch .LBB10_2839
.LBB10_2800:                            ;   in Loop: Header=BB10_2725 Depth=2
	buffer_load_dword v7, off, s[0:3], s33 offset:216 ; 4-byte Folded Reload
	v_ashrrev_i32_e32 v6, 31, v1
	v_lshrrev_b32_e32 v6, 19, v6
	v_add_u32_e32 v6, v1, v6
	v_ashrrev_i32_e32 v6, 13, v6
	s_waitcnt vmcnt(0)
	v_sub_u32_e32 v18, v6, v7
	v_cmp_lt_i32_e32 vcc, 0, v18
	s_and_saveexec_b64 s[76:77], vcc
	s_cbranch_execz .LBB10_2804
; %bb.2801:                             ;   in Loop: Header=BB10_2725 Depth=2
	buffer_load_dword v7, off, s[0:3], s33 offset:88 ; 4-byte Folded Reload
	buffer_load_dword v47, off, s[0:3], s33 offset:324 ; 4-byte Folded Reload
	;; [unrolled: 1-line block ×3, first 2 shown]
	v_mov_b32_e32 v13, v11
	v_mov_b32_e32 v15, v5
	s_mov_b64 s[78:79], 0
	v_mov_b32_e32 v12, v10
	v_mov_b32_e32 v14, v4
.LBB10_2802:                            ;   Parent Loop BB10_47 Depth=1
                                        ;     Parent Loop BB10_2725 Depth=2
                                        ; =>    This Inner Loop Header: Depth=3
	s_waitcnt vmcnt(0)
	v_add_co_u32_e32 v35, vcc, v58, v14
	v_addc_co_u32_e32 v36, vcc, 0, v15, vcc
	v_add_co_u32_e32 v54, vcc, s67, v35
	v_addc_co_u32_e32 v55, vcc, 0, v36, vcc
	global_load_dwordx4 v[19:22], v[35:36], off glc slc
	global_load_dwordx4 v[23:26], v[35:36], off offset:1024 glc slc
	global_load_dwordx4 v[27:30], v[35:36], off offset:2048 glc slc
	;; [unrolled: 1-line block ×3, first 2 shown]
	s_nop 0
	global_load_dwordx4 v[35:38], v[54:55], off glc slc
	global_load_dwordx4 v[50:53], v[54:55], off offset:1024 glc slc
	global_load_dwordx4 v[39:42], v[54:55], off offset:2048 glc slc
	;; [unrolled: 1-line block ×3, first 2 shown]
	v_add_co_u32_e32 v54, vcc, v58, v12
	v_addc_co_u32_e32 v55, vcc, 0, v13, vcc
	v_add_co_u32_e32 v14, vcc, v14, v47
	v_addc_co_u32_e32 v15, vcc, 0, v15, vcc
	v_sub_u32_e32 v18, v18, v7
	v_add_co_u32_e32 v12, vcc, v12, v47
	v_addc_co_u32_e32 v13, vcc, 0, v13, vcc
	v_cmp_gt_i32_e64 s[26:27], 1, v18
	v_add_co_u32_e32 v56, vcc, s67, v54
	s_or_b64 s[78:79], s[26:27], s[78:79]
	v_addc_co_u32_e32 v57, vcc, 0, v55, vcc
	s_waitcnt vmcnt(7)
	global_store_dwordx4 v[54:55], v[19:22], off glc slc
	s_waitcnt vmcnt(7)
	global_store_dwordx4 v[54:55], v[23:26], off offset:1024 glc slc
	s_waitcnt vmcnt(7)
	global_store_dwordx4 v[54:55], v[27:30], off offset:2048 glc slc
	;; [unrolled: 2-line block ×3, first 2 shown]
	s_waitcnt vmcnt(7)
	global_store_dwordx4 v[56:57], v[35:38], off glc slc
	s_waitcnt vmcnt(7)
	global_store_dwordx4 v[56:57], v[50:53], off offset:1024 glc slc
	s_waitcnt vmcnt(7)
	global_store_dwordx4 v[56:57], v[39:42], off offset:2048 glc slc
	;; [unrolled: 2-line block ×3, first 2 shown]
	s_andn2_b64 exec, exec, s[78:79]
	s_cbranch_execnz .LBB10_2802
; %bb.2803:                             ;   in Loop: Header=BB10_2725 Depth=2
	s_or_b64 exec, exec, s[78:79]
.LBB10_2804:                            ;   in Loop: Header=BB10_2725 Depth=2
	s_or_b64 exec, exec, s[76:77]
	v_lshlrev_b32_e32 v12, 13, v6
	v_cmp_ne_u32_e32 vcc, v1, v12
	s_mov_b64 s[78:79], 0
	v_mov_b32_e32 v6, 0
                                        ; implicit-def: $vgpr7
	s_and_saveexec_b64 s[76:77], vcc
	s_cbranch_execz .LBB10_2810
; %bb.2805:                             ;   in Loop: Header=BB10_2725 Depth=2
	buffer_load_dword v7, off, s[0:3], s33 offset:328 ; 4-byte Folded Reload
	v_lshlrev_b32_e32 v6, 6, v18
	v_sub_u32_e32 v13, v1, v12
	s_waitcnt vmcnt(0)
	v_sub_u32_e32 v6, v7, v6
	v_ashrrev_i32_e32 v7, 31, v6
	v_lshrrev_b32_e32 v7, 26, v7
	v_add_u32_e32 v7, v6, v7
	v_ashrrev_i32_e32 v14, 6, v7
	v_and_b32_e32 v7, 0xffffffc0, v7
	v_sub_u32_e32 v7, v6, v7
	v_lshlrev_b32_e32 v6, 4, v7
	v_lshl_add_u32 v18, v14, 10, v6
	v_ashrrev_i32_e32 v6, 31, v13
	v_lshrrev_b32_e32 v6, 22, v6
	v_add_u32_e32 v6, v13, v6
	v_ashrrev_i32_e32 v19, 10, v6
	v_and_b32_e32 v6, 0xfffffc00, v6
	v_sub_u32_e32 v15, v13, v18
	v_sub_u32_e32 v13, v13, v6
	v_cmp_lt_i32_e32 vcc, 15, v13
	v_addc_co_u32_e64 v19, s[26:27], 0, v19, vcc
	v_sub_u32_e32 v14, v19, v14
	v_cmp_lt_i32_e64 s[26:27], 15, v15
	s_and_saveexec_b64 s[78:79], s[26:27]
	s_cbranch_execz .LBB10_2809
; %bb.2806:                             ;   in Loop: Header=BB10_2725 Depth=2
	buffer_load_dword v26, off, s[0:3], s33 offset:88 ; 4-byte Folded Reload
	buffer_load_dword v27, off, s[0:3], s33 offset:136 ; 4-byte Folded Reload
	v_add_u32_e32 v18, v18, v12
	v_ashrrev_i32_e32 v19, 31, v18
	s_mov_b64 s[88:89], 0
.LBB10_2807:                            ;   Parent Loop BB10_47 Depth=1
                                        ;     Parent Loop BB10_2725 Depth=2
                                        ; =>    This Inner Loop Header: Depth=3
	v_add_co_u32_e64 v20, s[26:27], v4, v18
	v_addc_co_u32_e64 v21, s[26:27], v5, v19, s[26:27]
	global_load_dwordx4 v[20:23], v[20:21], off glc slc
	v_add_co_u32_e64 v24, s[26:27], v10, v18
	v_addc_co_u32_e64 v25, s[26:27], v11, v19, s[26:27]
	s_waitcnt vmcnt(1)
	v_add_co_u32_e64 v18, s[26:27], v18, v27
	v_sub_u32_e32 v15, v15, v27
	v_addc_co_u32_e64 v19, s[26:27], 0, v19, s[26:27]
	v_cmp_gt_i32_e64 s[26:27], 16, v15
	v_sub_u32_e32 v14, v14, v26
	s_or_b64 s[88:89], s[26:27], s[88:89]
	s_waitcnt vmcnt(0)
	global_store_dwordx4 v[24:25], v[20:23], off glc slc
	s_andn2_b64 exec, exec, s[88:89]
	s_cbranch_execnz .LBB10_2807
; %bb.2808:                             ;   in Loop: Header=BB10_2725 Depth=2
	s_or_b64 exec, exec, s[88:89]
.LBB10_2809:                            ;   in Loop: Header=BB10_2725 Depth=2
	s_or_b64 exec, exec, s[78:79]
	v_and_b32_e32 v1, 14, v1
	v_sub_u32_e32 v15, v13, v1
	v_cndmask_b32_e32 v15, 0, v15, vcc
	v_add3_u32 v6, v6, v12, v15
	buffer_load_dword v12, off, s[0:3], s33 offset:88 ; 4-byte Folded Reload
	v_cndmask_b32_e32 v1, v13, v1, vcc
	v_cmp_lt_i32_e32 vcc, 0, v14
	s_waitcnt vmcnt(0)
	v_cndmask_b32_e32 v12, 0, v12, vcc
	v_sub_u32_e32 v12, v12, v14
	v_cmp_ne_u32_e32 vcc, 0, v1
	v_lshl_add_u32 v7, v12, 6, v7
	s_and_b64 s[78:79], vcc, exec
.LBB10_2810:                            ;   in Loop: Header=BB10_2725 Depth=2
	s_or_b64 exec, exec, s[76:77]
	s_and_saveexec_b64 s[26:27], s[78:79]
	s_cbranch_execz .LBB10_2819
.LBB10_2811:                            ;   in Loop: Header=BB10_2725 Depth=2
	s_waitcnt vmcnt(0)
	v_ashrrev_i32_e32 v12, 31, v7
	v_ashrrev_i32_e32 v13, 31, v1
	v_lshrrev_b32_e32 v12, 26, v12
	v_lshrrev_b32_e32 v13, 21, v13
	v_add_u32_e32 v12, v7, v12
	v_add_u32_e32 v13, v1, v13
	v_ashrrev_i32_e32 v18, 6, v12
	v_ashrrev_i32_e32 v20, 11, v13
	v_sub_u32_e32 v19, v20, v18
	v_cmp_lt_i32_e32 vcc, 0, v19
	s_and_saveexec_b64 s[76:77], vcc
	s_cbranch_execz .LBB10_2815
; %bb.2812:                             ;   in Loop: Header=BB10_2725 Depth=2
	buffer_load_dword v51, off, s[0:3], s33 offset:88 ; 4-byte Folded Reload
	buffer_load_dword v52, off, s[0:3], s33 offset:92 ; 4-byte Folded Reload
	v_and_b32_e32 v12, 0x7fffffc0, v12
	v_sub_u32_e32 v12, v7, v12
	v_lshlrev_b32_e32 v12, 1, v12
	v_lshlrev_b32_e32 v13, 11, v18
	v_add3_u32 v21, v12, v6, v13
	v_mov_b32_e32 v13, v11
	v_mov_b32_e32 v15, v5
	v_ashrrev_i32_e32 v22, 31, v21
	s_mov_b64 s[78:79], 0
	v_mov_b32_e32 v12, v10
	v_mov_b32_e32 v14, v4
.LBB10_2813:                            ;   Parent Loop BB10_47 Depth=1
                                        ;     Parent Loop BB10_2725 Depth=2
                                        ; =>    This Inner Loop Header: Depth=3
	v_add_co_u32_e32 v23, vcc, v21, v14
	v_addc_co_u32_e32 v24, vcc, v22, v15, vcc
	flat_load_ushort v25, v[23:24] glc slc
	flat_load_ushort v26, v[23:24] offset:128 glc slc
	flat_load_ushort v27, v[23:24] offset:256 glc slc
	;; [unrolled: 1-line block ×15, first 2 shown]
	v_add_co_u32_e32 v23, vcc, v21, v12
	v_addc_co_u32_e32 v24, vcc, v22, v13, vcc
	s_waitcnt vmcnt(0)
	v_add_co_u32_e32 v14, vcc, v14, v52
	v_addc_co_u32_e32 v15, vcc, 0, v15, vcc
	v_add_co_u32_e32 v12, vcc, v12, v52
	v_sub_u32_e32 v19, v19, v51
	v_addc_co_u32_e32 v13, vcc, 0, v13, vcc
	v_cmp_gt_i32_e32 vcc, 1, v19
	s_or_b64 s[78:79], vcc, s[78:79]
	s_waitcnt lgkmcnt(0)
	flat_store_short v[23:24], v25 glc slc
	flat_store_short v[23:24], v26 offset:128 glc slc
	flat_store_short v[23:24], v27 offset:256 glc slc
	;; [unrolled: 1-line block ×15, first 2 shown]
	s_andn2_b64 exec, exec, s[78:79]
	s_cbranch_execnz .LBB10_2813
; %bb.2814:                             ;   in Loop: Header=BB10_2725 Depth=2
	s_or_b64 exec, exec, s[78:79]
.LBB10_2815:                            ;   in Loop: Header=BB10_2725 Depth=2
	s_or_b64 exec, exec, s[76:77]
	buffer_load_dword v15, off, s[0:3], s33 offset:96 ; 4-byte Folded Reload
	v_lshlrev_b32_e32 v12, 11, v20
	v_cmp_ne_u32_e32 vcc, v1, v12
	s_and_b64 s[76:77], exec, vcc
	s_mov_b64 exec, s[76:77]
	s_cbranch_execz .LBB10_2819
; %bb.2816:                             ;   in Loop: Header=BB10_2725 Depth=2
	v_lshlrev_b32_e32 v13, 6, v18
	v_sub_u32_e32 v7, v7, v13
	v_lshlrev_b32_e32 v13, 6, v19
	v_sub_u32_e32 v7, v7, v13
	v_ashrrev_i32_e32 v13, 31, v7
	v_lshrrev_b32_e32 v13, 26, v13
	v_add_u32_e32 v13, v7, v13
	v_and_b32_e32 v14, 0x7fffffc0, v13
	v_sub_u32_e32 v7, v7, v14
	v_lshlrev_b32_e32 v13, 1, v13
	v_and_b32_e32 v13, 0xffffff80, v13
	v_lshlrev_b32_e32 v7, 1, v7
	v_add3_u32 v7, v13, v7, v12
	v_sub_u32_e32 v1, v1, v7
	v_cmp_lt_i32_e32 vcc, 1, v1
	s_and_b64 exec, exec, vcc
	s_cbranch_execz .LBB10_2819
; %bb.2817:                             ;   in Loop: Header=BB10_2725 Depth=2
	v_add_u32_e32 v6, v7, v6
	v_ashrrev_i32_e32 v7, 31, v6
	s_mov_b64 s[76:77], 0
.LBB10_2818:                            ;   Parent Loop BB10_47 Depth=1
                                        ;     Parent Loop BB10_2725 Depth=2
                                        ; =>    This Inner Loop Header: Depth=3
	v_add_co_u32_e32 v12, vcc, v4, v6
	v_addc_co_u32_e32 v13, vcc, v5, v7, vcc
	flat_load_ushort v14, v[12:13] glc slc
	v_add_co_u32_e32 v12, vcc, v10, v6
	v_addc_co_u32_e32 v13, vcc, v11, v7, vcc
	s_waitcnt vmcnt(0)
	v_add_co_u32_e32 v6, vcc, v6, v15
	v_sub_u32_e32 v1, v1, v15
	v_addc_co_u32_e32 v7, vcc, 0, v7, vcc
	v_cmp_gt_i32_e32 vcc, 2, v1
	s_or_b64 s[76:77], vcc, s[76:77]
	s_waitcnt lgkmcnt(0)
	flat_store_short v[12:13], v14 glc slc
	s_andn2_b64 exec, exec, s[76:77]
	s_cbranch_execnz .LBB10_2818
.LBB10_2819:                            ;   in Loop: Header=BB10_2725 Depth=2
	s_or_b64 exec, exec, s[26:27]
	v_cmp_lt_i32_e64 s[26:27], 0, v0
	s_and_saveexec_b64 s[76:77], s[10:11]
	s_cbranch_execz .LBB10_2796
.LBB10_2820:                            ;   in Loop: Header=BB10_2725 Depth=2
	s_and_saveexec_b64 s[78:79], s[56:57]
	s_xor_b64 s[78:79], exec, s[78:79]
	s_cbranch_execz .LBB10_2835
; %bb.2821:                             ;   in Loop: Header=BB10_2725 Depth=2
	s_and_saveexec_b64 s[88:89], s[16:17]
	s_cbranch_execz .LBB10_2834
; %bb.2822:                             ;   in Loop: Header=BB10_2725 Depth=2
	s_mov_b64 s[92:93], exec
	v_mbcnt_lo_u32_b32 v0, s92, 0
	v_mbcnt_hi_u32_b32 v0, s93, v0
	v_cmp_eq_u32_e32 vcc, 0, v0
	s_waitcnt vmcnt(0) lgkmcnt(0)
	buffer_wbinvl1_vol
	s_and_saveexec_b64 s[90:91], vcc
	s_cbranch_execz .LBB10_2824
; %bb.2823:                             ;   in Loop: Header=BB10_2725 Depth=2
	s_bcnt1_i32_b64 s92, s[92:93]
	v_mov_b32_e32 v0, s92
	v_mov_b32_e32 v1, v2
	ds_add_u64 v0, v[0:1]
	s_trap 2
.LBB10_2824:                            ;   in Loop: Header=BB10_2725 Depth=2
	s_or_b64 exec, exec, s[90:91]
	s_trap 2
	ds_read_b64 v[0:1], v0
	s_waitcnt lgkmcnt(0)
	buffer_load_dword v4, off, s[0:3], s33 offset:72 ; 4-byte Folded Reload
	buffer_load_dword v5, off, s[0:3], s33 offset:76 ; 4-byte Folded Reload
	buffer_load_dword v6, off, s[0:3], s33 offset:88 ; 4-byte Folded Reload
	s_waitcnt vmcnt(0)
	v_add_co_u32_e32 v4, vcc, v4, v6
	v_addc_co_u32_e32 v5, vcc, 0, v5, vcc
	buffer_store_dword v4, off, s[0:3], s33 offset:72 ; 4-byte Folded Spill
	s_nop 0
	buffer_store_dword v5, off, s[0:3], s33 offset:76 ; 4-byte Folded Spill
	v_cmp_lt_u64_e32 vcc, v[0:1], v[4:5]
	s_and_saveexec_b64 s[90:91], vcc
	s_cbranch_execz .LBB10_2833
; %bb.2825:                             ;   in Loop: Header=BB10_2725 Depth=2
	s_mov_b32 s38, 0
	s_mov_b64 s[92:93], 0
                                        ; implicit-def: $sgpr94_sgpr95
                                        ; implicit-def: $sgpr30_sgpr31
	s_branch .LBB10_2827
.LBB10_2826:                            ;   in Loop: Header=BB10_2827 Depth=3
	s_or_b64 exec, exec, s[36:37]
	s_and_b64 vcc, exec, vcc
	s_or_b64 s[92:93], vcc, s[92:93]
	s_andn2_b64 s[94:95], s[94:95], exec
	s_and_b64 vcc, s[30:31], exec
	s_or_b64 s[94:95], s[94:95], vcc
	s_andn2_b64 exec, exec, s[92:93]
	s_cbranch_execz .LBB10_2831
.LBB10_2827:                            ;   Parent Loop BB10_47 Depth=1
                                        ;     Parent Loop BB10_2725 Depth=2
                                        ; =>    This Inner Loop Header: Depth=3
	s_add_i32 s38, s38, 1
	s_cmpk_lg_i32 s38, 0x2710
	s_cselect_b64 s[34:35], -1, 0
	s_and_b64 vcc, exec, s[34:35]
	s_cbranch_vccz .LBB10_2829
; %bb.2828:                             ;   in Loop: Header=BB10_2827 Depth=3
	s_mov_b64 vcc, -1
	s_or_b64 s[30:31], s[30:31], exec
	s_and_saveexec_b64 s[36:37], s[34:35]
	s_cbranch_execz .LBB10_2826
	s_branch .LBB10_2830
.LBB10_2829:                            ;   in Loop: Header=BB10_2827 Depth=3
	s_trap 2
	ds_read_b64 v[0:1], v0
	s_andn2_b64 s[34:35], s[34:35], exec
	s_mov_b32 s38, 0
	s_waitcnt vmcnt(0) lgkmcnt(0)
	flat_load_dword v0, v[0:1] glc
	s_waitcnt vmcnt(0) lgkmcnt(0)
	buffer_wbinvl1_vol
	v_cmp_eq_u32_e32 vcc, 0, v0
	s_and_b64 vcc, vcc, exec
	s_or_b64 s[34:35], s[34:35], vcc
	s_mov_b64 vcc, -1
	s_or_b64 s[30:31], s[30:31], exec
	s_and_saveexec_b64 s[36:37], s[34:35]
	s_cbranch_execz .LBB10_2826
.LBB10_2830:                            ;   in Loop: Header=BB10_2827 Depth=3
	s_sleep 1
	s_trap 2
	ds_read_b64 v[0:1], v0
	s_waitcnt lgkmcnt(0)
	buffer_load_dword v4, off, s[0:3], s33 offset:72 ; 4-byte Folded Reload
	buffer_load_dword v5, off, s[0:3], s33 offset:76 ; 4-byte Folded Reload
	s_andn2_b64 s[30:31], s[30:31], exec
	s_waitcnt vmcnt(0)
	v_cmp_ge_u64_e32 vcc, v[0:1], v[4:5]
	s_orn2_b64 vcc, vcc, exec
	s_branch .LBB10_2826
.LBB10_2831:                            ;   in Loop: Header=BB10_2725 Depth=2
	s_or_b64 exec, exec, s[92:93]
	s_and_saveexec_b64 s[92:93], s[94:95]
	s_xor_b64 s[92:93], exec, s[92:93]
	s_cbranch_execz .LBB10_2833
; %bb.2832:                             ;   in Loop: Header=BB10_2725 Depth=2
	v_mov_b32_e32 v0, 1
	ds_write_b32 v0, v0
	s_trap 2
.LBB10_2833:                            ;   in Loop: Header=BB10_2725 Depth=2
	s_or_b64 exec, exec, s[90:91]
	;;#ASMSTART
	s_wakeup
	;;#ASMEND
.LBB10_2834:                            ;   in Loop: Header=BB10_2725 Depth=2
	s_or_b64 exec, exec, s[88:89]
.LBB10_2835:                            ;   in Loop: Header=BB10_2725 Depth=2
	s_andn2_saveexec_b64 s[78:79], s[78:79]
	s_cbranch_execz .LBB10_2837
; %bb.2836:                             ;   in Loop: Header=BB10_2725 Depth=2
	s_waitcnt vmcnt(0) lgkmcnt(0)
	buffer_wbinvl1_vol
	s_barrier
.LBB10_2837:                            ;   in Loop: Header=BB10_2725 Depth=2
	s_or_b64 exec, exec, s[78:79]
	s_or_b64 exec, exec, s[76:77]
	s_and_saveexec_b64 s[76:77], s[24:25]
	s_xor_b64 s[76:77], exec, s[76:77]
	s_cbranch_execnz .LBB10_2797
.LBB10_2838:                            ;   in Loop: Header=BB10_2725 Depth=2
	s_andn2_saveexec_b64 s[26:27], s[76:77]
	s_cbranch_execz .LBB10_2857
.LBB10_2839:                            ;   in Loop: Header=BB10_2725 Depth=2
	s_and_saveexec_b64 s[76:77], s[56:57]
	s_xor_b64 s[76:77], exec, s[76:77]
	s_cbranch_execz .LBB10_2854
; %bb.2840:                             ;   in Loop: Header=BB10_2725 Depth=2
	s_and_saveexec_b64 s[78:79], s[16:17]
	s_cbranch_execz .LBB10_2853
; %bb.2841:                             ;   in Loop: Header=BB10_2725 Depth=2
	s_mov_b64 s[90:91], exec
	v_mbcnt_lo_u32_b32 v0, s90, 0
	v_mbcnt_hi_u32_b32 v0, s91, v0
	v_cmp_eq_u32_e32 vcc, 0, v0
	;;#ASMSTART
	s_waitcnt lgkmcnt(0) vmcnt(0)
	;;#ASMEND
	s_and_saveexec_b64 s[88:89], vcc
	s_cbranch_execz .LBB10_2843
; %bb.2842:                             ;   in Loop: Header=BB10_2725 Depth=2
	s_bcnt1_i32_b64 s90, s[90:91]
	v_mov_b32_e32 v0, s90
	v_mov_b32_e32 v1, v2
	s_waitcnt lgkmcnt(0)
	ds_add_u64 v0, v[0:1]
	s_trap 2
.LBB10_2843:                            ;   in Loop: Header=BB10_2725 Depth=2
	s_or_b64 exec, exec, s[88:89]
	s_trap 2
	ds_read_b64 v[0:1], v0
	s_waitcnt lgkmcnt(0)
	buffer_load_dword v4, off, s[0:3], s33 offset:72 ; 4-byte Folded Reload
	buffer_load_dword v5, off, s[0:3], s33 offset:76 ; 4-byte Folded Reload
	;; [unrolled: 1-line block ×3, first 2 shown]
	s_waitcnt vmcnt(0)
	v_add_co_u32_e32 v4, vcc, v4, v6
	v_addc_co_u32_e32 v5, vcc, 0, v5, vcc
	buffer_store_dword v4, off, s[0:3], s33 offset:72 ; 4-byte Folded Spill
	s_nop 0
	buffer_store_dword v5, off, s[0:3], s33 offset:76 ; 4-byte Folded Spill
	v_cmp_lt_u64_e32 vcc, v[0:1], v[4:5]
	s_and_saveexec_b64 s[88:89], vcc
	s_cbranch_execz .LBB10_2852
; %bb.2844:                             ;   in Loop: Header=BB10_2725 Depth=2
	s_mov_b32 s36, 0
	s_mov_b64 s[90:91], 0
                                        ; implicit-def: $sgpr92_sgpr93
                                        ; implicit-def: $sgpr94_sgpr95
	s_branch .LBB10_2846
.LBB10_2845:                            ;   in Loop: Header=BB10_2846 Depth=3
	s_or_b64 exec, exec, s[34:35]
	s_and_b64 vcc, exec, vcc
	s_or_b64 s[90:91], vcc, s[90:91]
	s_andn2_b64 s[92:93], s[92:93], exec
	s_and_b64 vcc, s[94:95], exec
	s_or_b64 s[92:93], s[92:93], vcc
	s_andn2_b64 exec, exec, s[90:91]
	s_cbranch_execz .LBB10_2850
.LBB10_2846:                            ;   Parent Loop BB10_47 Depth=1
                                        ;     Parent Loop BB10_2725 Depth=2
                                        ; =>    This Inner Loop Header: Depth=3
	s_add_i32 s36, s36, 1
	s_cmpk_lg_i32 s36, 0x2710
	s_cselect_b64 s[30:31], -1, 0
	s_and_b64 vcc, exec, s[30:31]
	s_cbranch_vccz .LBB10_2848
; %bb.2847:                             ;   in Loop: Header=BB10_2846 Depth=3
	s_mov_b64 vcc, -1
	s_or_b64 s[94:95], s[94:95], exec
	s_and_saveexec_b64 s[34:35], s[30:31]
	s_cbranch_execz .LBB10_2845
	s_branch .LBB10_2849
.LBB10_2848:                            ;   in Loop: Header=BB10_2846 Depth=3
	s_trap 2
	ds_read_b64 v[0:1], v0
	s_andn2_b64 s[30:31], s[30:31], exec
	s_mov_b32 s36, 0
	s_waitcnt vmcnt(0) lgkmcnt(0)
	flat_load_dword v0, v[0:1] glc
	s_waitcnt vmcnt(0) lgkmcnt(0)
	buffer_wbinvl1_vol
	v_cmp_eq_u32_e32 vcc, 0, v0
	s_and_b64 vcc, vcc, exec
	s_or_b64 s[30:31], s[30:31], vcc
	s_mov_b64 vcc, -1
	s_or_b64 s[94:95], s[94:95], exec
	s_and_saveexec_b64 s[34:35], s[30:31]
	s_cbranch_execz .LBB10_2845
.LBB10_2849:                            ;   in Loop: Header=BB10_2846 Depth=3
	s_sleep 1
	s_trap 2
	ds_read_b64 v[0:1], v0
	s_waitcnt lgkmcnt(0)
	buffer_load_dword v4, off, s[0:3], s33 offset:72 ; 4-byte Folded Reload
	buffer_load_dword v5, off, s[0:3], s33 offset:76 ; 4-byte Folded Reload
	s_andn2_b64 s[94:95], s[94:95], exec
	s_waitcnt vmcnt(0)
	v_cmp_ge_u64_e32 vcc, v[0:1], v[4:5]
	s_orn2_b64 vcc, vcc, exec
	s_branch .LBB10_2845
.LBB10_2850:                            ;   in Loop: Header=BB10_2725 Depth=2
	s_or_b64 exec, exec, s[90:91]
	s_and_saveexec_b64 s[90:91], s[92:93]
	s_xor_b64 s[90:91], exec, s[90:91]
	s_cbranch_execz .LBB10_2852
; %bb.2851:                             ;   in Loop: Header=BB10_2725 Depth=2
	v_mov_b32_e32 v0, 1
	ds_write_b32 v0, v0
	s_trap 2
.LBB10_2852:                            ;   in Loop: Header=BB10_2725 Depth=2
	s_or_b64 exec, exec, s[88:89]
	;;#ASMSTART
	s_wakeup
	;;#ASMEND
.LBB10_2853:                            ;   in Loop: Header=BB10_2725 Depth=2
	s_or_b64 exec, exec, s[78:79]
.LBB10_2854:                            ;   in Loop: Header=BB10_2725 Depth=2
	s_andn2_saveexec_b64 s[76:77], s[76:77]
	s_cbranch_execz .LBB10_2856
; %bb.2855:                             ;   in Loop: Header=BB10_2725 Depth=2
	;;#ASMSTART
	s_waitcnt lgkmcnt(0) vmcnt(0)
	;;#ASMEND
	s_waitcnt vmcnt(0) lgkmcnt(0)
	s_barrier
.LBB10_2856:                            ;   in Loop: Header=BB10_2725 Depth=2
	s_or_b64 exec, exec, s[76:77]
.LBB10_2857:                            ;   in Loop: Header=BB10_2725 Depth=2
	s_or_b64 exec, exec, s[26:27]
	buffer_load_dword v0, off, s[0:3], s33 offset:68 ; 4-byte Folded Reload
	s_waitcnt vmcnt(0)
	v_and_b32_e32 v0, 32, v0
	v_cmp_ne_u32_e32 vcc, 0, v0
	s_and_saveexec_b64 s[26:27], vcc
	s_cbranch_execz .LBB10_2724
; %bb.2858:                             ;   in Loop: Header=BB10_2725 Depth=2
	buffer_load_dword v4, off, s[0:3], s33 offset:80 ; 4-byte Folded Reload
	buffer_load_dword v5, off, s[0:3], s33 offset:84 ; 4-byte Folded Reload
	;; [unrolled: 1-line block ×4, first 2 shown]
	s_waitcnt vmcnt(0)
	v_add_co_u32_e32 v4, vcc, 2, v4
	v_addc_co_u32_e32 v5, vcc, 0, v5, vcc
	buffer_store_dword v4, off, s[0:3], s33 offset:80 ; 4-byte Folded Spill
	s_nop 0
	buffer_store_dword v5, off, s[0:3], s33 offset:84 ; 4-byte Folded Spill
	flat_store_dwordx2 v[0:1], v[4:5]
	s_branch .LBB10_2724
.LBB10_2859:                            ;   in Loop: Header=BB10_47 Depth=1
	s_or_b64 exec, exec, s[40:41]
.LBB10_2860:                            ;   in Loop: Header=BB10_47 Depth=1
	s_or_b64 exec, exec, s[28:29]
	v_cmp_gt_i32_e32 vcc, 2, v0
	s_and_saveexec_b64 s[28:29], vcc
	s_cbranch_execz .LBB10_46
; %bb.2861:                             ;   in Loop: Header=BB10_47 Depth=1
	v_cmp_eq_u32_e64 s[42:43], 0, v0
	s_mov_b64 s[40:41], 0
	s_branch .LBB10_2863
.LBB10_2862:                            ;   in Loop: Header=BB10_2863 Depth=2
	s_or_b64 exec, exec, s[26:27]
	v_add_u32_e32 v3, v17, v3
	s_mov_b64 s[42:43], 0
	s_andn2_b64 exec, exec, s[40:41]
	s_cbranch_execz .LBB10_45
.LBB10_2863:                            ;   Parent Loop BB10_47 Depth=1
                                        ; =>  This Loop Header: Depth=2
                                        ;       Child Loop BB10_2869 Depth 3
                                        ;       Child Loop BB10_2893 Depth 3
	;; [unrolled: 1-line block ×3, first 2 shown]
	buffer_load_dword v0, off, s[0:3], s33 offset:68 ; 4-byte Folded Reload
	s_waitcnt vmcnt(0)
	v_and_b32_e32 v0, 4, v0
	v_cmp_ne_u32_e32 vcc, 0, v0
	s_and_saveexec_b64 s[76:77], vcc
	s_cbranch_execz .LBB10_2885
; %bb.2864:                             ;   in Loop: Header=BB10_2863 Depth=2
	buffer_load_dword v0, off, s[0:3], s33 offset:80 ; 4-byte Folded Reload
	buffer_load_dword v1, off, s[0:3], s33 offset:84 ; 4-byte Folded Reload
	s_waitcnt vmcnt(0)
	v_add_co_u32_e32 v4, vcc, 2, v0
	v_addc_co_u32_e32 v5, vcc, 0, v1, vcc
	s_waitcnt lgkmcnt(0)
	v_cmp_lt_u64_e32 vcc, v[48:49], v[4:5]
	s_and_saveexec_b64 s[78:79], vcc
	s_cbranch_execz .LBB10_2876
; %bb.2865:                             ;   in Loop: Header=BB10_2863 Depth=2
	buffer_load_dword v0, off, s[0:3], s33 offset:68 ; 4-byte Folded Reload
	s_mov_b32 s75, 0
	s_mov_b64 s[88:89], 0
                                        ; implicit-def: $sgpr90_sgpr91
                                        ; implicit-def: $sgpr92_sgpr93
                                        ; implicit-def: $sgpr94_sgpr95
	s_waitcnt vmcnt(0)
	v_and_b32_e32 v0, 64, v0
	v_cmp_eq_u32_e32 vcc, 0, v0
	s_branch .LBB10_2869
.LBB10_2866:                            ;   in Loop: Header=BB10_2869 Depth=3
	s_waitcnt vmcnt(0) lgkmcnt(0)
	v_cmp_ge_u64_e64 s[26:27], v[48:49], v[4:5]
	s_or_b64 s[36:37], s[36:37], exec
	s_orn2_b64 s[34:35], s[26:27], exec
.LBB10_2867:                            ;   in Loop: Header=BB10_2869 Depth=3
	s_or_b64 exec, exec, s[48:49]
	s_andn2_b64 s[26:27], s[94:95], exec
	s_and_b64 s[94:95], s[36:37], exec
	s_or_b64 s[94:95], s[26:27], s[94:95]
	s_andn2_b64 s[26:27], s[92:93], exec
	s_and_b64 s[92:93], s[34:35], exec
	s_or_b64 s[92:93], s[26:27], s[92:93]
.LBB10_2868:                            ;   in Loop: Header=BB10_2869 Depth=3
	s_or_b64 exec, exec, s[30:31]
	s_and_b64 s[26:27], exec, s[92:93]
	s_or_b64 s[88:89], s[26:27], s[88:89]
	s_andn2_b64 s[26:27], s[90:91], exec
	s_and_b64 s[90:91], s[94:95], exec
	s_or_b64 s[90:91], s[26:27], s[90:91]
	s_andn2_b64 exec, exec, s[88:89]
	s_cbranch_execz .LBB10_2873
.LBB10_2869:                            ;   Parent Loop BB10_47 Depth=1
                                        ;     Parent Loop BB10_2863 Depth=2
                                        ; =>    This Inner Loop Header: Depth=3
	s_sleep 1
	buffer_load_dword v0, off, s[0:3], s33 offset:60 ; 4-byte Folded Reload
	buffer_load_dword v1, off, s[0:3], s33 offset:64 ; 4-byte Folded Reload
	s_or_b64 s[94:95], s[94:95], exec
	s_or_b64 s[92:93], s[92:93], exec
	s_waitcnt vmcnt(0) lgkmcnt(0)
	flat_load_dwordx2 v[48:49], v[0:1] glc
                                        ; implicit-def: $vgpr0
	s_and_saveexec_b64 s[30:31], vcc
	s_cbranch_execz .LBB10_2868
; %bb.2870:                             ;   in Loop: Header=BB10_2869 Depth=3
	s_cmpk_lt_i32 s75, 0x270f
	s_cselect_b64 s[38:39], -1, 0
	s_cmpk_gt_i32 s75, 0x270e
	s_mov_b64 s[34:35], -1
	s_cbranch_scc0 .LBB10_2872
; %bb.2871:                             ;   in Loop: Header=BB10_2869 Depth=3
	s_trap 2
	ds_read_b64 v[0:1], v0
	s_andn2_b64 s[38:39], s[38:39], exec
	s_mov_b32 s75, 0
	s_mov_b64 s[36:37], 0
	s_waitcnt vmcnt(0) lgkmcnt(0)
	flat_load_dword v0, v[0:1] glc
	s_waitcnt vmcnt(0) lgkmcnt(0)
	buffer_wbinvl1_vol
	v_cmp_eq_u32_e64 s[26:27], 0, v0
	s_and_b64 s[26:27], s[26:27], exec
	s_or_b64 s[38:39], s[38:39], s[26:27]
	s_and_saveexec_b64 s[48:49], s[38:39]
	s_cbranch_execz .LBB10_2867
	s_branch .LBB10_2866
.LBB10_2872:                            ;   in Loop: Header=BB10_2869 Depth=3
	s_add_i32 s75, s75, 1
	s_mov_b64 s[36:37], -1
                                        ; implicit-def: $vgpr0
	s_and_saveexec_b64 s[48:49], s[38:39]
	s_cbranch_execz .LBB10_2867
	s_branch .LBB10_2866
.LBB10_2873:                            ;   in Loop: Header=BB10_2863 Depth=2
	s_or_b64 exec, exec, s[88:89]
	s_xor_b64 s[26:27], s[90:91], -1
	s_and_saveexec_b64 s[88:89], s[26:27]
	s_xor_b64 s[26:27], exec, s[88:89]
	s_cbranch_execz .LBB10_2875
; %bb.2874:                             ;   in Loop: Header=BB10_2863 Depth=2
	s_waitcnt lgkmcnt(0)
	ds_write_b32 v0, v0
	s_trap 2
	buffer_load_dword v0, off, s[0:3], s33 offset:68 ; 4-byte Folded Reload
	s_waitcnt vmcnt(0)
	v_or_b32_e32 v0, 64, v0
	buffer_store_dword v0, off, s[0:3], s33 offset:68 ; 4-byte Folded Spill
.LBB10_2875:                            ;   in Loop: Header=BB10_2863 Depth=2
	s_or_b64 exec, exec, s[26:27]
.LBB10_2876:                            ;   in Loop: Header=BB10_2863 Depth=2
	s_or_b64 exec, exec, s[78:79]
	;;#ASMSTART
	s_wakeup
	;;#ASMEND
	buffer_load_dword v0, off, s[0:3], s33 offset:68 ; 4-byte Folded Reload
	s_mov_b64 s[26:27], -1
                                        ; implicit-def: $vgpr8_vgpr9
	s_waitcnt vmcnt(0)
	v_and_b32_e32 v0, 0x100, v0
	v_cmp_ne_u32_e32 vcc, 0, v0
	buffer_load_dword v0, off, s[0:3], s33 offset:80 ; 4-byte Folded Reload
	buffer_load_dword v1, off, s[0:3], s33 offset:84 ; 4-byte Folded Reload
	s_waitcnt vmcnt(0)
	v_and_b32_e32 v0, 7, v0
	s_and_saveexec_b64 s[78:79], vcc
	s_cbranch_execz .LBB10_2880
; %bb.2877:                             ;   in Loop: Header=BB10_2863 Depth=2
	buffer_load_dword v6, off, s[0:3], s33 offset:112 ; 4-byte Folded Reload
	buffer_load_dword v7, off, s[0:3], s33 offset:116 ; 4-byte Folded Reload
	;; [unrolled: 1-line block ×4, first 2 shown]
                                        ; implicit-def: $vgpr8_vgpr9
	s_waitcnt vmcnt(0)
	v_mad_u64_u32 v[10:11], s[26:27], v0, 24, v[6:7]
	flat_load_dword v1, v[10:11]
	s_waitcnt vmcnt(0) lgkmcnt(0)
	v_cmp_ne_u32_e32 vcc, 1, v1
	v_cmp_eq_u32_e64 s[26:27], 1, v1
	s_and_saveexec_b64 s[88:89], s[26:27]
	s_cbranch_execz .LBB10_2879
; %bb.2878:                             ;   in Loop: Header=BB10_2863 Depth=2
	flat_load_dword v6, v[10:11] offset:4 glc
	s_waitcnt vmcnt(0) lgkmcnt(0)
	v_ashrrev_i32_e32 v7, 31, v6
	v_lshrrev_b64 v[8:9], 1, v[6:7]
.LBB10_2879:                            ;   in Loop: Header=BB10_2863 Depth=2
	s_or_b64 exec, exec, s[88:89]
	s_orn2_b64 s[26:27], vcc, exec
.LBB10_2880:                            ;   in Loop: Header=BB10_2863 Depth=2
	s_or_b64 exec, exec, s[78:79]
	s_and_saveexec_b64 s[78:79], s[26:27]
	s_cbranch_execz .LBB10_2882
; %bb.2881:                             ;   in Loop: Header=BB10_2863 Depth=2
	buffer_load_dword v1, off, s[0:3], s33 offset:140 ; 4-byte Folded Reload
	s_waitcnt vmcnt(0)
	v_mad_i64_i32 v[8:9], s[26:27], v0, v1, 0
.LBB10_2882:                            ;   in Loop: Header=BB10_2863 Depth=2
	s_or_b64 exec, exec, s[78:79]
	buffer_load_dword v6, off, s[0:3], s33 offset:104 ; 4-byte Folded Reload
	buffer_load_dword v7, off, s[0:3], s33 offset:108 ; 4-byte Folded Reload
	v_lshlrev_b64 v[0:1], 1, v[8:9]
	s_waitcnt vmcnt(0)
	v_add_co_u32_e32 v0, vcc, v6, v0
	v_addc_co_u32_e32 v1, vcc, v7, v1, vcc
	ds_write_b64 v0, v[0:1] offset:720
	buffer_load_dword v0, off, s[0:3], s33 offset:68 ; 4-byte Folded Reload
	s_waitcnt vmcnt(0)
	v_and_b32_e32 v0, 0x2000, v0
	v_cmp_ne_u32_e32 vcc, 0, v0
	s_and_saveexec_b64 s[26:27], vcc
	s_cbranch_execz .LBB10_2884
; %bb.2883:                             ;   in Loop: Header=BB10_2863 Depth=2
	ds_read_b64 v[0:1], v0 offset:872
	s_waitcnt lgkmcnt(0)
	v_add_co_u32_e32 v0, vcc, 1, v0
	v_addc_co_u32_e32 v1, vcc, 0, v1, vcc
	ds_write_b64 v0, v[0:1] offset:872
.LBB10_2884:                            ;   in Loop: Header=BB10_2863 Depth=2
	s_or_b64 exec, exec, s[26:27]
	buffer_store_dword v4, off, s[0:3], s33 offset:80 ; 4-byte Folded Spill
	s_nop 0
	buffer_store_dword v5, off, s[0:3], s33 offset:84 ; 4-byte Folded Spill
.LBB10_2885:                            ;   in Loop: Header=BB10_2863 Depth=2
	s_or_b64 exec, exec, s[76:77]
	s_xor_b64 s[26:27], s[42:43], -1
	s_and_b64 s[26:27], exec, s[26:27]
	s_or_b64 s[40:41], s[26:27], s[40:41]
	s_and_saveexec_b64 s[26:27], s[10:11]
	s_cbranch_execz .LBB10_2904
; %bb.2886:                             ;   in Loop: Header=BB10_2863 Depth=2
	s_and_saveexec_b64 s[42:43], s[56:57]
	s_xor_b64 s[42:43], exec, s[42:43]
	s_cbranch_execz .LBB10_2901
; %bb.2887:                             ;   in Loop: Header=BB10_2863 Depth=2
	s_and_saveexec_b64 s[76:77], s[16:17]
	s_cbranch_execz .LBB10_2900
; %bb.2888:                             ;   in Loop: Header=BB10_2863 Depth=2
	s_mov_b64 s[88:89], exec
	v_mbcnt_lo_u32_b32 v0, s88, 0
	v_mbcnt_hi_u32_b32 v0, s89, v0
	v_cmp_eq_u32_e32 vcc, 0, v0
	s_waitcnt vmcnt(0) lgkmcnt(0)
	buffer_wbinvl1_vol
	s_and_saveexec_b64 s[78:79], vcc
	s_cbranch_execz .LBB10_2890
; %bb.2889:                             ;   in Loop: Header=BB10_2863 Depth=2
	s_bcnt1_i32_b64 s75, s[88:89]
	v_mov_b32_e32 v0, s75
	v_mov_b32_e32 v1, v2
	ds_add_u64 v0, v[0:1]
	s_trap 2
.LBB10_2890:                            ;   in Loop: Header=BB10_2863 Depth=2
	s_or_b64 exec, exec, s[78:79]
	s_trap 2
	ds_read_b64 v[0:1], v0
	s_waitcnt lgkmcnt(0)
	buffer_load_dword v4, off, s[0:3], s33 offset:72 ; 4-byte Folded Reload
	buffer_load_dword v5, off, s[0:3], s33 offset:76 ; 4-byte Folded Reload
	buffer_load_dword v6, off, s[0:3], s33 offset:88 ; 4-byte Folded Reload
	s_waitcnt vmcnt(0)
	v_add_co_u32_e32 v4, vcc, v4, v6
	v_addc_co_u32_e32 v5, vcc, 0, v5, vcc
	buffer_store_dword v4, off, s[0:3], s33 offset:72 ; 4-byte Folded Spill
	s_nop 0
	buffer_store_dword v5, off, s[0:3], s33 offset:76 ; 4-byte Folded Spill
	v_cmp_lt_u64_e32 vcc, v[0:1], v[4:5]
	s_and_saveexec_b64 s[78:79], vcc
	s_cbranch_execz .LBB10_2899
; %bb.2891:                             ;   in Loop: Header=BB10_2863 Depth=2
	s_mov_b32 s75, 0
	s_mov_b64 s[88:89], 0
                                        ; implicit-def: $sgpr90_sgpr91
                                        ; implicit-def: $sgpr92_sgpr93
	s_branch .LBB10_2893
.LBB10_2892:                            ;   in Loop: Header=BB10_2893 Depth=3
	s_or_b64 exec, exec, s[30:31]
	s_and_b64 s[94:95], exec, vcc
	s_or_b64 s[88:89], s[94:95], s[88:89]
	s_andn2_b64 s[90:91], s[90:91], exec
	s_and_b64 s[94:95], s[92:93], exec
	s_or_b64 s[90:91], s[90:91], s[94:95]
	s_andn2_b64 exec, exec, s[88:89]
	s_cbranch_execz .LBB10_2897
.LBB10_2893:                            ;   Parent Loop BB10_47 Depth=1
                                        ;     Parent Loop BB10_2863 Depth=2
                                        ; =>    This Inner Loop Header: Depth=3
	s_add_i32 s75, s75, 1
	s_cmpk_lg_i32 s75, 0x2710
	s_cselect_b64 s[94:95], -1, 0
	s_and_b64 vcc, exec, s[94:95]
	s_cbranch_vccz .LBB10_2895
; %bb.2894:                             ;   in Loop: Header=BB10_2893 Depth=3
	s_mov_b64 vcc, -1
	s_or_b64 s[92:93], s[92:93], exec
	s_and_saveexec_b64 s[30:31], s[94:95]
	s_cbranch_execz .LBB10_2892
	s_branch .LBB10_2896
.LBB10_2895:                            ;   in Loop: Header=BB10_2893 Depth=3
	s_trap 2
	ds_read_b64 v[0:1], v0
	s_andn2_b64 s[94:95], s[94:95], exec
	s_mov_b32 s75, 0
	s_waitcnt vmcnt(0) lgkmcnt(0)
	flat_load_dword v0, v[0:1] glc
	s_waitcnt vmcnt(0) lgkmcnt(0)
	buffer_wbinvl1_vol
	v_cmp_eq_u32_e32 vcc, 0, v0
	s_and_b64 vcc, vcc, exec
	s_or_b64 s[94:95], s[94:95], vcc
	s_mov_b64 vcc, -1
	s_or_b64 s[92:93], s[92:93], exec
	s_and_saveexec_b64 s[30:31], s[94:95]
	s_cbranch_execz .LBB10_2892
.LBB10_2896:                            ;   in Loop: Header=BB10_2893 Depth=3
	s_sleep 1
	s_trap 2
	ds_read_b64 v[0:1], v0
	s_waitcnt lgkmcnt(0)
	buffer_load_dword v4, off, s[0:3], s33 offset:72 ; 4-byte Folded Reload
	buffer_load_dword v5, off, s[0:3], s33 offset:76 ; 4-byte Folded Reload
	s_andn2_b64 s[92:93], s[92:93], exec
	s_waitcnt vmcnt(0)
	v_cmp_ge_u64_e32 vcc, v[0:1], v[4:5]
	s_orn2_b64 vcc, vcc, exec
	s_branch .LBB10_2892
.LBB10_2897:                            ;   in Loop: Header=BB10_2863 Depth=2
	s_or_b64 exec, exec, s[88:89]
	s_and_saveexec_b64 s[88:89], s[90:91]
	s_xor_b64 s[88:89], exec, s[88:89]
	s_cbranch_execz .LBB10_2899
; %bb.2898:                             ;   in Loop: Header=BB10_2863 Depth=2
	v_mov_b32_e32 v0, 1
	ds_write_b32 v0, v0
	s_trap 2
.LBB10_2899:                            ;   in Loop: Header=BB10_2863 Depth=2
	s_or_b64 exec, exec, s[78:79]
	;;#ASMSTART
	s_wakeup
	;;#ASMEND
.LBB10_2900:                            ;   in Loop: Header=BB10_2863 Depth=2
	s_or_b64 exec, exec, s[76:77]
.LBB10_2901:                            ;   in Loop: Header=BB10_2863 Depth=2
	s_andn2_saveexec_b64 s[42:43], s[42:43]
	s_cbranch_execz .LBB10_2903
; %bb.2902:                             ;   in Loop: Header=BB10_2863 Depth=2
	s_waitcnt vmcnt(0) lgkmcnt(0)
	buffer_wbinvl1_vol
	s_barrier
.LBB10_2903:                            ;   in Loop: Header=BB10_2863 Depth=2
	s_or_b64 exec, exec, s[42:43]
.LBB10_2904:                            ;   in Loop: Header=BB10_2863 Depth=2
	s_or_b64 exec, exec, s[26:27]
	v_sub_u32_e32 v0, v16, v3
	v_min_i32_e32 v17, v17, v0
	s_and_saveexec_b64 s[26:27], s[24:25]
	s_xor_b64 s[26:27], exec, s[26:27]
	s_cbranch_execz .LBB10_2908
; %bb.2905:                             ;   in Loop: Header=BB10_2863 Depth=2
	s_trap 2
	buffer_load_dword v1, off, s[0:3], s33 offset:68 ; 4-byte Folded Reload
	ds_read_b32 v0, v0
	v_cmp_lt_i32_e32 vcc, 0, v17
	s_waitcnt lgkmcnt(0)
	v_readfirstlane_b32 s42, v0
	s_cmp_eq_u32 s42, 0
	s_cselect_b64 s[42:43], -1, 0
	s_and_b64 s[42:43], vcc, s[42:43]
	s_waitcnt vmcnt(0)
	v_and_b32_e32 v1, 16, v1
	v_cmp_ne_u32_e32 vcc, 0, v1
	s_and_b64 s[76:77], vcc, s[42:43]
	s_and_saveexec_b64 s[42:43], s[76:77]
	s_cbranch_execz .LBB10_2907
; %bb.2906:                             ;   in Loop: Header=BB10_2863 Depth=2
	buffer_wbinvl1_vol
.LBB10_2907:                            ;   in Loop: Header=BB10_2863 Depth=2
	s_or_b64 exec, exec, s[42:43]
.LBB10_2908:                            ;   in Loop: Header=BB10_2863 Depth=2
	s_andn2_saveexec_b64 s[26:27], s[26:27]
	s_cbranch_execz .LBB10_2927
; %bb.2909:                             ;   in Loop: Header=BB10_2863 Depth=2
	s_and_saveexec_b64 s[42:43], s[56:57]
	s_xor_b64 s[42:43], exec, s[42:43]
	s_cbranch_execz .LBB10_2924
; %bb.2910:                             ;   in Loop: Header=BB10_2863 Depth=2
	s_and_saveexec_b64 s[76:77], s[16:17]
	s_cbranch_execz .LBB10_2923
; %bb.2911:                             ;   in Loop: Header=BB10_2863 Depth=2
	s_mov_b64 s[88:89], exec
	v_mbcnt_lo_u32_b32 v0, s88, 0
	v_mbcnt_hi_u32_b32 v0, s89, v0
	v_cmp_eq_u32_e32 vcc, 0, v0
	;;#ASMSTART
	s_waitcnt lgkmcnt(0) vmcnt(0)
	;;#ASMEND
	s_and_saveexec_b64 s[78:79], vcc
	s_cbranch_execz .LBB10_2913
; %bb.2912:                             ;   in Loop: Header=BB10_2863 Depth=2
	s_bcnt1_i32_b64 s75, s[88:89]
	v_mov_b32_e32 v0, s75
	v_mov_b32_e32 v1, v2
	s_waitcnt lgkmcnt(0)
	ds_add_u64 v0, v[0:1]
	s_trap 2
.LBB10_2913:                            ;   in Loop: Header=BB10_2863 Depth=2
	s_or_b64 exec, exec, s[78:79]
	s_trap 2
	ds_read_b64 v[0:1], v0
	s_waitcnt lgkmcnt(0)
	buffer_load_dword v4, off, s[0:3], s33 offset:72 ; 4-byte Folded Reload
	buffer_load_dword v5, off, s[0:3], s33 offset:76 ; 4-byte Folded Reload
	;; [unrolled: 1-line block ×3, first 2 shown]
	s_waitcnt vmcnt(0)
	v_add_co_u32_e32 v4, vcc, v4, v6
	v_addc_co_u32_e32 v5, vcc, 0, v5, vcc
	buffer_store_dword v4, off, s[0:3], s33 offset:72 ; 4-byte Folded Spill
	s_nop 0
	buffer_store_dword v5, off, s[0:3], s33 offset:76 ; 4-byte Folded Spill
	v_cmp_lt_u64_e32 vcc, v[0:1], v[4:5]
	s_and_saveexec_b64 s[78:79], vcc
	s_cbranch_execz .LBB10_2922
; %bb.2914:                             ;   in Loop: Header=BB10_2863 Depth=2
	s_mov_b32 s75, 0
	s_mov_b64 s[88:89], 0
                                        ; implicit-def: $sgpr90_sgpr91
                                        ; implicit-def: $sgpr92_sgpr93
	s_branch .LBB10_2916
.LBB10_2915:                            ;   in Loop: Header=BB10_2916 Depth=3
	s_or_b64 exec, exec, s[30:31]
	s_and_b64 s[94:95], exec, vcc
	s_or_b64 s[88:89], s[94:95], s[88:89]
	s_andn2_b64 s[90:91], s[90:91], exec
	s_and_b64 s[94:95], s[92:93], exec
	s_or_b64 s[90:91], s[90:91], s[94:95]
	s_andn2_b64 exec, exec, s[88:89]
	s_cbranch_execz .LBB10_2920
.LBB10_2916:                            ;   Parent Loop BB10_47 Depth=1
                                        ;     Parent Loop BB10_2863 Depth=2
                                        ; =>    This Inner Loop Header: Depth=3
	s_add_i32 s75, s75, 1
	s_cmpk_lg_i32 s75, 0x2710
	s_cselect_b64 s[94:95], -1, 0
	s_and_b64 vcc, exec, s[94:95]
	s_cbranch_vccz .LBB10_2918
; %bb.2917:                             ;   in Loop: Header=BB10_2916 Depth=3
	s_mov_b64 vcc, -1
	s_or_b64 s[92:93], s[92:93], exec
	s_and_saveexec_b64 s[30:31], s[94:95]
	s_cbranch_execz .LBB10_2915
	s_branch .LBB10_2919
.LBB10_2918:                            ;   in Loop: Header=BB10_2916 Depth=3
	s_trap 2
	ds_read_b64 v[0:1], v0
	s_andn2_b64 s[94:95], s[94:95], exec
	s_mov_b32 s75, 0
	s_waitcnt vmcnt(0) lgkmcnt(0)
	flat_load_dword v0, v[0:1] glc
	s_waitcnt vmcnt(0) lgkmcnt(0)
	buffer_wbinvl1_vol
	v_cmp_eq_u32_e32 vcc, 0, v0
	s_and_b64 vcc, vcc, exec
	s_or_b64 s[94:95], s[94:95], vcc
	s_mov_b64 vcc, -1
	s_or_b64 s[92:93], s[92:93], exec
	s_and_saveexec_b64 s[30:31], s[94:95]
	s_cbranch_execz .LBB10_2915
.LBB10_2919:                            ;   in Loop: Header=BB10_2916 Depth=3
	s_sleep 1
	s_trap 2
	ds_read_b64 v[0:1], v0
	s_waitcnt lgkmcnt(0)
	buffer_load_dword v4, off, s[0:3], s33 offset:72 ; 4-byte Folded Reload
	buffer_load_dword v5, off, s[0:3], s33 offset:76 ; 4-byte Folded Reload
	s_andn2_b64 s[92:93], s[92:93], exec
	s_waitcnt vmcnt(0)
	v_cmp_ge_u64_e32 vcc, v[0:1], v[4:5]
	s_orn2_b64 vcc, vcc, exec
	s_branch .LBB10_2915
.LBB10_2920:                            ;   in Loop: Header=BB10_2863 Depth=2
	s_or_b64 exec, exec, s[88:89]
	s_and_saveexec_b64 s[88:89], s[90:91]
	s_xor_b64 s[88:89], exec, s[88:89]
	s_cbranch_execz .LBB10_2922
; %bb.2921:                             ;   in Loop: Header=BB10_2863 Depth=2
	v_mov_b32_e32 v0, 1
	ds_write_b32 v0, v0
	s_trap 2
.LBB10_2922:                            ;   in Loop: Header=BB10_2863 Depth=2
	s_or_b64 exec, exec, s[78:79]
	;;#ASMSTART
	s_wakeup
	;;#ASMEND
.LBB10_2923:                            ;   in Loop: Header=BB10_2863 Depth=2
	s_or_b64 exec, exec, s[76:77]
.LBB10_2924:                            ;   in Loop: Header=BB10_2863 Depth=2
	s_andn2_saveexec_b64 s[42:43], s[42:43]
	s_cbranch_execz .LBB10_2926
; %bb.2925:                             ;   in Loop: Header=BB10_2863 Depth=2
	;;#ASMSTART
	s_waitcnt lgkmcnt(0) vmcnt(0)
	;;#ASMEND
	s_waitcnt vmcnt(0) lgkmcnt(0)
	s_barrier
.LBB10_2926:                            ;   in Loop: Header=BB10_2863 Depth=2
	s_or_b64 exec, exec, s[42:43]
.LBB10_2927:                            ;   in Loop: Header=BB10_2863 Depth=2
	s_or_b64 exec, exec, s[26:27]
	buffer_load_dword v0, off, s[0:3], s33 offset:68 ; 4-byte Folded Reload
	s_waitcnt vmcnt(0)
	v_and_b32_e32 v0, 32, v0
	v_cmp_ne_u32_e32 vcc, 0, v0
	s_and_saveexec_b64 s[26:27], vcc
	s_cbranch_execz .LBB10_2862
; %bb.2928:                             ;   in Loop: Header=BB10_2863 Depth=2
	buffer_load_dword v4, off, s[0:3], s33 offset:80 ; 4-byte Folded Reload
	buffer_load_dword v5, off, s[0:3], s33 offset:84 ; 4-byte Folded Reload
	;; [unrolled: 1-line block ×4, first 2 shown]
	s_waitcnt vmcnt(0)
	v_add_co_u32_e32 v4, vcc, 2, v4
	v_addc_co_u32_e32 v5, vcc, 0, v5, vcc
	buffer_store_dword v4, off, s[0:3], s33 offset:80 ; 4-byte Folded Spill
	s_nop 0
	buffer_store_dword v5, off, s[0:3], s33 offset:84 ; 4-byte Folded Spill
	flat_store_dwordx2 v[0:1], v[4:5]
	s_branch .LBB10_2862
.LBB10_2929:
	s_or_b64 exec, exec, s[58:59]
.LBB10_2930:
	s_or_b64 exec, exec, s[46:47]
	buffer_load_dword v1, off, s[0:3], s33 offset:68 ; 4-byte Folded Reload
	s_waitcnt vmcnt(0)
	v_and_b32_e32 v0, 0x800, v1
	v_cmp_eq_u32_e32 vcc, 0, v0
	s_and_saveexec_b64 s[6:7], vcc
	s_cbranch_execz .LBB10_2963
; %bb.2931:
	v_and_b32_e32 v0, 48, v1
	v_cmp_ne_u32_e32 vcc, 0, v0
	s_and_saveexec_b64 s[4:5], vcc
	s_cbranch_execz .LBB10_2933
; %bb.2932:
	buffer_load_dword v0, off, s[0:3], s33 offset:416 ; 4-byte Folded Reload
	buffer_load_dword v1, off, s[0:3], s33 offset:420 ; 4-byte Folded Reload
	;; [unrolled: 1-line block ×4, first 2 shown]
	s_waitcnt vmcnt(0)
	flat_store_dwordx2 v[0:1], v[2:3] offset:104
.LBB10_2933:
	s_or_b64 exec, exec, s[4:5]
	buffer_load_dword v5, off, s[0:3], s33 offset:68 ; 4-byte Folded Reload
	s_movk_i32 s4, 0x88
	s_waitcnt vmcnt(0)
	v_and_b32_e32 v0, 0x88, v5
	v_cmp_eq_u32_e32 vcc, s4, v0
	s_and_saveexec_b64 s[10:11], vcc
	s_cbranch_execz .LBB10_2943
; %bb.2934:
	buffer_load_dword v0, off, s[0:3], s33 offset:80 ; 4-byte Folded Reload
	buffer_load_dword v1, off, s[0:3], s33 offset:84 ; 4-byte Folded Reload
	buffer_load_dword v1, off, s[0:3], s33 offset:112 ; 4-byte Folded Reload
	buffer_load_dword v2, off, s[0:3], s33 offset:116 ; 4-byte Folded Reload
	buffer_load_dword v3, off, s[0:3], s33 offset:120 ; 4-byte Folded Reload
	buffer_load_dword v4, off, s[0:3], s33 offset:124 ; 4-byte Folded Reload
	s_waitcnt vmcnt(0)
	v_and_b32_e32 v4, 64, v5
	s_mov_b32 s22, 0
	v_add_u32_e32 v0, 6, v0
	v_and_b32_e32 v0, 7, v0
	v_mad_u64_u32 v[2:3], s[4:5], v0, 24, v[1:2]
	v_cmp_eq_u32_e64 s[4:5], 0, v4
	flat_load_dwordx2 v[0:1], v[2:3] offset:8 glc
	s_waitcnt vmcnt(0) lgkmcnt(0)
	v_cmp_ne_u64_e32 vcc, -1, v[0:1]
	s_and_b64 s[4:5], vcc, s[4:5]
	s_and_b64 exec, exec, s[4:5]
	s_cbranch_execz .LBB10_2943
; %bb.2935:
	s_mov_b64 s[4:5], 0
                                        ; implicit-def: $sgpr12_sgpr13
                                        ; implicit-def: $sgpr14_sgpr15
	s_branch .LBB10_2938
.LBB10_2936:                            ;   in Loop: Header=BB10_2938 Depth=1
	flat_load_dwordx2 v[4:5], v[2:3] offset:8 glc
	s_waitcnt vmcnt(0)
	s_andn2_b64 s[14:15], s[14:15], exec
	s_waitcnt lgkmcnt(0)
	v_cmp_eq_u64_e32 vcc, -1, v[4:5]
	s_orn2_b64 s[18:19], vcc, exec
.LBB10_2937:                            ;   in Loop: Header=BB10_2938 Depth=1
	s_or_b64 exec, exec, s[20:21]
	s_and_b64 s[16:17], exec, s[18:19]
	s_or_b64 s[4:5], s[16:17], s[4:5]
	s_andn2_b64 s[12:13], s[12:13], exec
	s_and_b64 s[16:17], s[14:15], exec
	s_or_b64 s[12:13], s[12:13], s[16:17]
	s_andn2_b64 exec, exec, s[4:5]
	s_cbranch_execz .LBB10_2941
.LBB10_2938:                            ; =>This Inner Loop Header: Depth=1
	s_cmpk_lt_i32 s22, 0x270f
	s_cselect_b64 s[16:17], -1, 0
	s_and_b64 vcc, exec, s[16:17]
	s_cbranch_vccnz .LBB10_2940
; %bb.2939:                             ;   in Loop: Header=BB10_2938 Depth=1
	s_trap 2
	ds_read_b64 v[0:1], v0
	s_andn2_b64 s[16:17], s[16:17], exec
	s_mov_b32 s22, 0
	s_waitcnt lgkmcnt(0)
	flat_load_dword v0, v[0:1] glc
	s_waitcnt vmcnt(0) lgkmcnt(0)
	buffer_wbinvl1_vol
	v_cmp_eq_u32_e32 vcc, 0, v0
	s_and_b64 s[18:19], vcc, exec
	s_or_b64 s[16:17], s[16:17], s[18:19]
	s_mov_b64 s[18:19], -1
	s_or_b64 s[14:15], s[14:15], exec
	s_and_saveexec_b64 s[20:21], s[16:17]
	s_cbranch_execz .LBB10_2937
	s_branch .LBB10_2936
.LBB10_2940:                            ;   in Loop: Header=BB10_2938 Depth=1
	s_add_i32 s22, s22, 1
                                        ; implicit-def: $vgpr0
	s_mov_b64 s[18:19], -1
	s_or_b64 s[14:15], s[14:15], exec
	s_and_saveexec_b64 s[20:21], s[16:17]
	s_cbranch_execz .LBB10_2937
	s_branch .LBB10_2936
.LBB10_2941:
	s_or_b64 exec, exec, s[4:5]
	s_mov_b64 s[4:5], exec
	buffer_load_dword v5, off, s[0:3], s33 offset:68 ; 4-byte Folded Reload
	s_and_b64 s[12:13], s[4:5], s[12:13]
	s_xor_b64 s[4:5], s[12:13], s[4:5]
	s_mov_b64 exec, s[12:13]
	s_cbranch_execz .LBB10_2943
; %bb.2942:
	ds_write_b32 v0, v0
	s_trap 2
.LBB10_2943:
	s_or_b64 exec, exec, s[10:11]
	s_waitcnt vmcnt(0)
	v_and_b32_e32 v0, 0x2000, v5
	v_cmp_ne_u32_e32 vcc, 0, v0
	s_and_saveexec_b64 s[4:5], vcc
	s_cbranch_execz .LBB10_2945
; %bb.2944:
	s_trap 2
	ds_read_b64 v[0:1], v0
	buffer_load_dword v2, off, s[0:3], s33 offset:432 ; 4-byte Folded Reload
	buffer_load_dword v3, off, s[0:3], s33 offset:436 ; 4-byte Folded Reload
	s_waitcnt vmcnt(0) lgkmcnt(0)
	flat_store_dwordx2 v[2:3], v[0:1] offset:16
.LBB10_2945:
	s_or_b64 exec, exec, s[4:5]
	buffer_load_dword v0, off, s[0:3], s33 offset:412 ; 4-byte Folded Reload
	s_waitcnt vmcnt(0)
	v_cmp_ne_u32_e32 vcc, 64, v0
	s_and_b64 exec, exec, vcc
	s_cbranch_execz .LBB10_2963
; %bb.2946:
	buffer_load_dword v0, off, s[0:3], s33 offset:412 ; 4-byte Folded Reload
	buffer_load_dword v1, off, s[0:3], s33 offset:428 ; 4-byte Folded Reload
	s_waitcnt vmcnt(0)
	v_cmp_ne_u32_sdwa s[4:5], v0, v1 src0_sel:DWORD src1_sel:WORD_0
	s_and_saveexec_b64 s[10:11], s[4:5]
	s_xor_b64 s[4:5], exec, s[10:11]
	s_cbranch_execz .LBB10_2961
; %bb.2947:
	buffer_load_dword v0, off, s[0:3], s33 offset:424 ; 4-byte Folded Reload
	s_waitcnt vmcnt(0)
	v_and_b32_e32 v0, 63, v0
	v_cmp_eq_u32_e32 vcc, 0, v0
	s_and_saveexec_b64 s[10:11], vcc
	s_cbranch_execz .LBB10_2960
; %bb.2948:
	s_mov_b64 s[14:15], exec
	v_mbcnt_lo_u32_b32 v0, s14, 0
	v_mbcnt_hi_u32_b32 v0, s15, v0
	v_cmp_eq_u32_e32 vcc, 0, v0
	s_waitcnt lgkmcnt(0)
	buffer_wbinvl1_vol
	s_and_saveexec_b64 s[12:13], vcc
	s_cbranch_execz .LBB10_2950
; %bb.2949:
	s_bcnt1_i32_b64 s14, s[14:15]
	v_mov_b32_e32 v0, s14
	v_mov_b32_e32 v1, 0
	ds_add_u64 v0, v[0:1]
	s_trap 2
.LBB10_2950:
	s_or_b64 exec, exec, s[12:13]
	buffer_load_dword v0, off, s[0:3], s33 offset:412 ; 4-byte Folded Reload
	s_trap 2
	s_waitcnt vmcnt(0)
	v_lshrrev_b32_e32 v0, 6, v0
	ds_read_b64 v[2:3], v0
	s_waitcnt lgkmcnt(0)
	buffer_load_dword v4, off, s[0:3], s33 offset:72 ; 4-byte Folded Reload
	buffer_load_dword v5, off, s[0:3], s33 offset:76 ; 4-byte Folded Reload
	s_waitcnt vmcnt(1)
	v_add_co_u32_e32 v0, vcc, v4, v0
	s_waitcnt vmcnt(0)
	v_addc_co_u32_e32 v1, vcc, 0, v5, vcc
	v_cmp_lt_u64_e32 vcc, v[2:3], v[0:1]
	s_and_saveexec_b64 s[12:13], vcc
	s_cbranch_execz .LBB10_2959
; %bb.2951:
	s_mov_b32 s26, 0
	s_mov_b64 s[14:15], 0
                                        ; implicit-def: $sgpr16_sgpr17
                                        ; implicit-def: $sgpr18_sgpr19
	s_branch .LBB10_2953
.LBB10_2952:                            ;   in Loop: Header=BB10_2953 Depth=1
	s_or_b64 exec, exec, s[22:23]
	s_and_b64 s[20:21], exec, s[24:25]
	s_or_b64 s[14:15], s[20:21], s[14:15]
	s_andn2_b64 s[16:17], s[16:17], exec
	s_and_b64 s[20:21], s[18:19], exec
	s_or_b64 s[16:17], s[16:17], s[20:21]
	s_andn2_b64 exec, exec, s[14:15]
	s_cbranch_execz .LBB10_2957
.LBB10_2953:                            ; =>This Inner Loop Header: Depth=1
	s_add_i32 s26, s26, 1
	s_cmpk_lg_i32 s26, 0x2710
	s_cselect_b64 s[20:21], -1, 0
	s_and_b64 vcc, exec, s[20:21]
	s_cbranch_vccz .LBB10_2955
; %bb.2954:                             ;   in Loop: Header=BB10_2953 Depth=1
	s_mov_b64 s[24:25], -1
	s_or_b64 s[18:19], s[18:19], exec
	s_and_saveexec_b64 s[22:23], s[20:21]
	s_cbranch_execz .LBB10_2952
	s_branch .LBB10_2956
.LBB10_2955:                            ;   in Loop: Header=BB10_2953 Depth=1
	s_trap 2
	ds_read_b64 v[2:3], v0
	s_andn2_b64 s[20:21], s[20:21], exec
	s_mov_b32 s26, 0
	s_waitcnt lgkmcnt(0)
	flat_load_dword v2, v[2:3] glc
	s_waitcnt vmcnt(0) lgkmcnt(0)
	buffer_wbinvl1_vol
	v_cmp_eq_u32_e32 vcc, 0, v2
	s_and_b64 s[22:23], vcc, exec
	s_or_b64 s[20:21], s[20:21], s[22:23]
	s_mov_b64 s[24:25], -1
	s_or_b64 s[18:19], s[18:19], exec
	s_and_saveexec_b64 s[22:23], s[20:21]
	s_cbranch_execz .LBB10_2952
.LBB10_2956:                            ;   in Loop: Header=BB10_2953 Depth=1
	s_sleep 1
	s_trap 2
	ds_read_b64 v[2:3], v0
	s_waitcnt lgkmcnt(0)
	s_andn2_b64 s[18:19], s[18:19], exec
	v_cmp_ge_u64_e32 vcc, v[2:3], v[0:1]
	s_orn2_b64 s[24:25], vcc, exec
	s_branch .LBB10_2952
.LBB10_2957:
	s_or_b64 exec, exec, s[14:15]
	s_and_saveexec_b64 s[14:15], s[16:17]
	s_xor_b64 s[14:15], exec, s[14:15]
	s_cbranch_execz .LBB10_2959
; %bb.2958:
	v_mov_b32_e32 v0, 1
	ds_write_b32 v0, v0
	s_trap 2
.LBB10_2959:
	s_or_b64 exec, exec, s[12:13]
	;;#ASMSTART
	s_wakeup
	;;#ASMEND
.LBB10_2960:
	s_or_b64 exec, exec, s[10:11]
.LBB10_2961:
	s_andn2_saveexec_b64 s[4:5], s[4:5]
	s_cbranch_execz .LBB10_2963
; %bb.2962:
	s_waitcnt lgkmcnt(0)
	buffer_wbinvl1_vol
	s_barrier
.LBB10_2963:
	s_or_b64 exec, exec, s[6:7]
.LBB10_2964:
	s_andn2_saveexec_b64 s[26:27], s[44:45]
	s_cbranch_execz .LBB10_2966
; %bb.2965:
	s_getpc_b64 s[4:5]
	s_add_u32 s4, s4, __PRETTY_FUNCTION__._ZN10PrimitivesI12hip_bfloat1613FuncPreMulSumIS0_E12FanSymmetricILi1EELi0E11ProtoSimpleILi2ELi2ELi0ELi4ELi0ELi0EELi0ELb0ELi0ELi0ELi0EEC2EiiPKiS9_PKvPvmhhhP15ncclDevWorkCollP14ncclDevWorkP2pii@rel32@lo+4
	s_addc_u32 s5, s5, __PRETTY_FUNCTION__._ZN10PrimitivesI12hip_bfloat1613FuncPreMulSumIS0_E12FanSymmetricILi1EELi0E11ProtoSimpleILi2ELi2ELi0ELi4ELi0ELi0EELi0ELb0ELi0ELi0ELi0EEC2EiiPKiS9_PKvPvmhhhP15ncclDevWorkCollP14ncclDevWorkP2pii@rel32@hi+12
	s_getpc_b64 s[6:7]
	s_add_u32 s6, s6, __assert_fail@rel32@lo+4
	s_addc_u32 s7, s7, __assert_fail@rel32@hi+12
	v_mov_b32_e32 v0, s4
	v_mov_b32_e32 v1, s5
	s_swappc_b64 s[30:31], s[6:7]
	; divergent unreachable
.LBB10_2966:
	s_or_b64 exec, exec, s[26:27]
	buffer_load_dword v62, off, s[0:3], s33 ; 4-byte Folded Reload
	buffer_load_dword v61, off, s[0:3], s33 offset:4 ; 4-byte Folded Reload
	buffer_load_dword v60, off, s[0:3], s33 offset:8 ; 4-byte Folded Reload
	;; [unrolled: 1-line block ×14, first 2 shown]
	v_readlane_b32 s30, v63, 30
	v_readlane_b32 s31, v63, 31
	;; [unrolled: 1-line block ×32, first 2 shown]
	s_mov_b32 s32, s33
	v_readlane_b32 s4, v63, 32
	s_or_saveexec_b64 s[6:7], -1
	buffer_load_dword v63, off, s[0:3], s33 offset:440 ; 4-byte Folded Reload
	s_mov_b64 exec, s[6:7]
	s_mov_b32 s33, s4
	s_waitcnt vmcnt(0) lgkmcnt(0)
	s_setpc_b64 s[30:31]
.Lfunc_end10:
	.size	_ZN12_GLOBAL__N_17runRingI12hip_bfloat1613FuncPreMulSumIS1_E11ProtoSimpleILi2ELi2ELi0ELi4ELi0ELi0EELi0ELi0ELi4ELi0EEEviiP15ncclDevWorkColl, .Lfunc_end10-_ZN12_GLOBAL__N_17runRingI12hip_bfloat1613FuncPreMulSumIS1_E11ProtoSimpleILi2ELi2ELi0ELi4ELi0ELi0EELi0ELi0ELi4ELi0EEEviiP15ncclDevWorkColl
                                        ; -- End function
	.set .L_ZN12_GLOBAL__N_17runRingI12hip_bfloat1613FuncPreMulSumIS1_E11ProtoSimpleILi2ELi2ELi0ELi4ELi0ELi0EELi0ELi0ELi4ELi0EEEviiP15ncclDevWorkColl.num_vgpr, max(64, .L__assert_fail.num_vgpr)
	.set .L_ZN12_GLOBAL__N_17runRingI12hip_bfloat1613FuncPreMulSumIS1_E11ProtoSimpleILi2ELi2ELi0ELi4ELi0ELi0EELi0ELi0ELi4ELi0EEEviiP15ncclDevWorkColl.num_agpr, max(0, .L__assert_fail.num_agpr)
	.set .L_ZN12_GLOBAL__N_17runRingI12hip_bfloat1613FuncPreMulSumIS1_E11ProtoSimpleILi2ELi2ELi0ELi4ELi0ELi0EELi0ELi0ELi4ELi0EEEviiP15ncclDevWorkColl.numbered_sgpr, max(96, .L__assert_fail.numbered_sgpr)
	.set .L_ZN12_GLOBAL__N_17runRingI12hip_bfloat1613FuncPreMulSumIS1_E11ProtoSimpleILi2ELi2ELi0ELi4ELi0ELi0EELi0ELi0ELi4ELi0EEEviiP15ncclDevWorkColl.num_named_barrier, max(0, .L__assert_fail.num_named_barrier)
	.set .L_ZN12_GLOBAL__N_17runRingI12hip_bfloat1613FuncPreMulSumIS1_E11ProtoSimpleILi2ELi2ELi0ELi4ELi0ELi0EELi0ELi0ELi4ELi0EEEviiP15ncclDevWorkColl.private_seg_size, 448+max(.L__assert_fail.private_seg_size)
	.set .L_ZN12_GLOBAL__N_17runRingI12hip_bfloat1613FuncPreMulSumIS1_E11ProtoSimpleILi2ELi2ELi0ELi4ELi0ELi0EELi0ELi0ELi4ELi0EEEviiP15ncclDevWorkColl.uses_vcc, or(1, .L__assert_fail.uses_vcc)
	.set .L_ZN12_GLOBAL__N_17runRingI12hip_bfloat1613FuncPreMulSumIS1_E11ProtoSimpleILi2ELi2ELi0ELi4ELi0ELi0EELi0ELi0ELi4ELi0EEEviiP15ncclDevWorkColl.uses_flat_scratch, or(0, .L__assert_fail.uses_flat_scratch)
	.set .L_ZN12_GLOBAL__N_17runRingI12hip_bfloat1613FuncPreMulSumIS1_E11ProtoSimpleILi2ELi2ELi0ELi4ELi0ELi0EELi0ELi0ELi4ELi0EEEviiP15ncclDevWorkColl.has_dyn_sized_stack, or(0, .L__assert_fail.has_dyn_sized_stack)
	.set .L_ZN12_GLOBAL__N_17runRingI12hip_bfloat1613FuncPreMulSumIS1_E11ProtoSimpleILi2ELi2ELi0ELi4ELi0ELi0EELi0ELi0ELi4ELi0EEEviiP15ncclDevWorkColl.has_recursion, or(1, .L__assert_fail.has_recursion)
	.set .L_ZN12_GLOBAL__N_17runRingI12hip_bfloat1613FuncPreMulSumIS1_E11ProtoSimpleILi2ELi2ELi0ELi4ELi0ELi0EELi0ELi0ELi4ELi0EEEviiP15ncclDevWorkColl.has_indirect_call, or(0, .L__assert_fail.has_indirect_call)
	.section	.AMDGPU.csdata,"",@progbits
; Function info:
; codeLenInByte = 85760
; TotalNumSgprs: 100
; NumVgprs: 64
; ScratchSize: 512
; MemoryBound: 1
	.text
	.p2align	2                               ; -- Begin function _Z54ncclDevFunc_AllReduce_RING_SIMPLE_PreMulSum_bf16_0_0_4v
	.type	_Z54ncclDevFunc_AllReduce_RING_SIMPLE_PreMulSum_bf16_0_0_4v,@function
_Z54ncclDevFunc_AllReduce_RING_SIMPLE_PreMulSum_bf16_0_0_4v: ; @_Z54ncclDevFunc_AllReduce_RING_SIMPLE_PreMulSum_bf16_0_0_4v
; %bb.0:
	s_waitcnt vmcnt(0) expcnt(0) lgkmcnt(0)
	s_mov_b32 s4, s33
	s_mov_b32 s33, s32
	s_or_saveexec_b64 s[6:7], -1
	buffer_store_dword v43, off, s[0:3], s33 offset:16 ; 4-byte Folded Spill
	buffer_store_dword v44, off, s[0:3], s33 offset:20 ; 4-byte Folded Spill
	s_mov_b64 exec, s[6:7]
	v_writelane_b32 v44, s4, 38
	v_writelane_b32 v44, s100, 36
	;; [unrolled: 1-line block ×3, first 2 shown]
	s_addk_i32 s32, 0x800
	buffer_store_dword v40, off, s[0:3], s33 offset:8 ; 4-byte Folded Spill
	buffer_store_dword v41, off, s[0:3], s33 offset:4 ; 4-byte Folded Spill
	buffer_store_dword v42, off, s[0:3], s33 ; 4-byte Folded Spill
	v_writelane_b32 v44, s34, 0
	v_writelane_b32 v44, s35, 1
	;; [unrolled: 1-line block ×36, first 2 shown]
                                        ; implicit-def: $vgpr43 : SGPR spill to VGPR lane
	v_mov_b32_e32 v40, v31
	s_mov_b32 s97, s12
	v_writelane_b32 v43, s8, 0
	v_writelane_b32 v43, s9, 1
	s_or_saveexec_b64 s[100:101], -1
	buffer_store_dword v43, off, s[0:3], s33 offset:12 ; 4-byte Folded Spill
	s_mov_b64 exec, s[100:101]
	s_trap 2
	ds_read_b32 v0, v0
	v_and_b32_e32 v41, 0x3ff, v40
	s_waitcnt lgkmcnt(0)
	v_cmp_lt_i32_e32 vcc, v41, v0
	s_and_saveexec_b64 s[4:5], vcc
	s_cbranch_execz .LBB11_5
; %bb.1:
	s_or_saveexec_b64 s[100:101], -1
	buffer_load_dword v43, off, s[0:3], s33 offset:12 ; 4-byte Folded Reload
	s_mov_b64 exec, s[100:101]
	s_waitcnt vmcnt(0)
	v_readlane_b32 s8, v43, 0
	v_readlane_b32 s9, v43, 1
	s_load_dword s6, s[8:9], 0x0
	v_mov_b32_e32 v1, 0
	s_mov_b32 s10, 0
	v_mov_b32_e32 v4, v41
                                        ; implicit-def: $vgpr3
	s_waitcnt lgkmcnt(0)
	s_cmp_lt_u32 s97, s6
	s_cselect_b32 s6, 12, 18
	s_add_u32 s6, s8, s6
	s_addc_u32 s7, s9, 0
	global_load_ushort v1, v1, s[6:7]
	s_trap 2
	ds_read_b32 v2, v0
	s_mov_b64 s[6:7], 0
	s_waitcnt vmcnt(0) lgkmcnt(0)
	v_mul_lo_u32 v2, v2, v1
	s_branch .LBB11_3
.LBB11_2:                               ;   in Loop: Header=BB11_3 Depth=1
	s_or_b64 exec, exec, s[8:9]
	v_add_u32_e32 v4, v4, v1
	v_cmp_ge_i32_e32 vcc, v4, v0
	s_or_b64 s[6:7], vcc, s[6:7]
	v_add_u32_e32 v3, v3, v2
	s_andn2_b64 exec, exec, s[6:7]
	s_cbranch_execz .LBB11_5
.LBB11_3:                               ; =>This Inner Loop Header: Depth=1
	ds_read_b32 v5, v3
	s_waitcnt lgkmcnt(0)
	v_and_b32_e32 v5, 0x1000000, v5
	v_cmp_ne_u32_e32 vcc, 0, v5
	s_and_saveexec_b64 s[8:9], vcc
	s_cbranch_execz .LBB11_2
; %bb.4:                                ;   in Loop: Header=BB11_3 Depth=1
	ds_read_b64 v[5:6], v3 offset:104
	s_waitcnt lgkmcnt(0)
	flat_load_ushort v5, v[5:6]
	v_mov_b32_e32 v6, s10
	s_waitcnt vmcnt(0) lgkmcnt(0)
	v_and_b32_e32 v5, 0xffff, v5
	ds_write_b64 v3, v[5:6] offset:104
	s_branch .LBB11_2
.LBB11_5:
	s_or_b64 exec, exec, s[4:5]
	s_waitcnt vmcnt(0) lgkmcnt(0)
	s_barrier
	s_trap 2
	ds_read_b32 v0, v0
	s_waitcnt lgkmcnt(0)
	v_cmp_gt_i32_e32 vcc, 1, v0
	s_cbranch_vccnz .LBB11_13
; %bb.6:
	s_mov_b32 s96, 0
	v_mov_b32_e32 v42, 6
	s_branch .LBB11_8
.LBB11_7:                               ;   in Loop: Header=BB11_8 Depth=1
	s_or_b64 exec, exec, s[98:99]
	s_trap 2
	ds_read_b32 v0, v0
	s_add_i32 s96, s96, 1
	s_waitcnt lgkmcnt(0)
	v_cmp_lt_i32_e32 vcc, s96, v0
	s_cbranch_vccz .LBB11_13
.LBB11_8:                               ; =>This Inner Loop Header: Depth=1
	s_trap 2
	ds_read_b32 v0, v0
	s_cmp_eq_u32 s96, 0
	s_cbranch_scc1 .LBB11_11
; %bb.9:                                ;   in Loop: Header=BB11_8 Depth=1
	s_trap 2
	s_waitcnt lgkmcnt(0)
	ds_read_b32 v1, v0
	s_waitcnt lgkmcnt(0)
	v_xor_b32_e32 v1, v1, v0
	v_and_b32_e32 v1, 0xff0000, v1
	v_cmp_eq_u32_e32 vcc, 0, v1
	s_cbranch_vccnz .LBB11_11
; %bb.10:                               ;   in Loop: Header=BB11_8 Depth=1
	s_barrier
	ds_read_b32 v0, v0
.LBB11_11:                              ;   in Loop: Header=BB11_8 Depth=1
	s_waitcnt lgkmcnt(0)
	v_lshlrev_b32_sdwa v1, v42, v0 dst_sel:DWORD dst_unused:UNUSED_PAD src0_sel:DWORD src1_sel:BYTE_2
	v_cmp_lt_u32_e32 vcc, v41, v1
	s_and_saveexec_b64 s[98:99], vcc
	s_cbranch_execz .LBB11_7
; %bb.12:                               ;   in Loop: Header=BB11_8 Depth=1
	s_mov_b64 s[4:5], src_shared_base
	s_getpc_b64 s[6:7]
	s_add_u32 s6, s6, _ZN12_GLOBAL__N_17runRingI12hip_bfloat1613FuncPreMulSumIS1_E11ProtoSimpleILi2ELi2ELi0ELi4ELi0ELi0EELi0ELi0ELi4ELi0EEEviiP15ncclDevWorkColl@rel32@lo+4
	s_addc_u32 s7, s7, _ZN12_GLOBAL__N_17runRingI12hip_bfloat1613FuncPreMulSumIS1_E11ProtoSimpleILi2ELi2ELi0ELi4ELi0ELi0EELi0ELi0ELi4ELi0EEEviiP15ncclDevWorkColl@rel32@hi+12
	s_or_saveexec_b64 s[100:101], -1
	buffer_load_dword v43, off, s[0:3], s33 offset:12 ; 4-byte Folded Reload
	s_mov_b64 exec, s[100:101]
	s_waitcnt vmcnt(0)
	v_readlane_b32 s8, v43, 0
	v_readlane_b32 s9, v43, 1
	s_mov_b32 s12, s97
	v_mov_b32_e32 v31, v40
	v_mov_b32_e32 v0, v41
	;; [unrolled: 1-line block ×3, first 2 shown]
	s_swappc_b64 s[30:31], s[6:7]
	s_branch .LBB11_7
.LBB11_13:
	buffer_load_dword v42, off, s[0:3], s33 ; 4-byte Folded Reload
	buffer_load_dword v41, off, s[0:3], s33 offset:4 ; 4-byte Folded Reload
	buffer_load_dword v40, off, s[0:3], s33 offset:8 ; 4-byte Folded Reload
	v_readlane_b32 s30, v44, 34
	v_readlane_b32 s31, v44, 35
	v_readlane_b32 s99, v44, 33
	v_readlane_b32 s98, v44, 32
	v_readlane_b32 s97, v44, 31
	v_readlane_b32 s96, v44, 30
	v_readlane_b32 s87, v44, 29
	v_readlane_b32 s86, v44, 28
	v_readlane_b32 s85, v44, 27
	v_readlane_b32 s84, v44, 26
	v_readlane_b32 s83, v44, 25
	v_readlane_b32 s82, v44, 24
	v_readlane_b32 s81, v44, 23
	v_readlane_b32 s80, v44, 22
	v_readlane_b32 s71, v44, 21
	v_readlane_b32 s70, v44, 20
	v_readlane_b32 s69, v44, 19
	v_readlane_b32 s68, v44, 18
	v_readlane_b32 s67, v44, 17
	v_readlane_b32 s66, v44, 16
	v_readlane_b32 s65, v44, 15
	v_readlane_b32 s64, v44, 14
	v_readlane_b32 s55, v44, 13
	v_readlane_b32 s54, v44, 12
	v_readlane_b32 s53, v44, 11
	v_readlane_b32 s52, v44, 10
	v_readlane_b32 s51, v44, 9
	v_readlane_b32 s50, v44, 8
	v_readlane_b32 s49, v44, 7
	v_readlane_b32 s48, v44, 6
	v_readlane_b32 s39, v44, 5
	v_readlane_b32 s38, v44, 4
	v_readlane_b32 s37, v44, 3
	v_readlane_b32 s36, v44, 2
	v_readlane_b32 s35, v44, 1
	v_readlane_b32 s34, v44, 0
	s_mov_b32 s32, s33
	v_readlane_b32 s4, v44, 38
	v_readlane_b32 s100, v44, 36
	v_readlane_b32 s101, v44, 37
	s_or_saveexec_b64 s[6:7], -1
	buffer_load_dword v43, off, s[0:3], s33 offset:16 ; 4-byte Folded Reload
	buffer_load_dword v44, off, s[0:3], s33 offset:20 ; 4-byte Folded Reload
	s_mov_b64 exec, s[6:7]
	s_mov_b32 s33, s4
	s_waitcnt vmcnt(0)
	s_setpc_b64 s[30:31]
.Lfunc_end11:
	.size	_Z54ncclDevFunc_AllReduce_RING_SIMPLE_PreMulSum_bf16_0_0_4v, .Lfunc_end11-_Z54ncclDevFunc_AllReduce_RING_SIMPLE_PreMulSum_bf16_0_0_4v
                                        ; -- End function
	.set .L_Z54ncclDevFunc_AllReduce_RING_SIMPLE_PreMulSum_bf16_0_0_4v.num_vgpr, max(45, .L_ZN12_GLOBAL__N_17runRingI12hip_bfloat1613FuncPreMulSumIS1_E11ProtoSimpleILi2ELi2ELi0ELi4ELi0ELi0EELi0ELi0ELi4ELi0EEEviiP15ncclDevWorkColl.num_vgpr)
	.set .L_Z54ncclDevFunc_AllReduce_RING_SIMPLE_PreMulSum_bf16_0_0_4v.num_agpr, max(0, .L_ZN12_GLOBAL__N_17runRingI12hip_bfloat1613FuncPreMulSumIS1_E11ProtoSimpleILi2ELi2ELi0ELi4ELi0ELi0EELi0ELi0ELi4ELi0EEEviiP15ncclDevWorkColl.num_agpr)
	.set .L_Z54ncclDevFunc_AllReduce_RING_SIMPLE_PreMulSum_bf16_0_0_4v.numbered_sgpr, max(102, .L_ZN12_GLOBAL__N_17runRingI12hip_bfloat1613FuncPreMulSumIS1_E11ProtoSimpleILi2ELi2ELi0ELi4ELi0ELi0EELi0ELi0ELi4ELi0EEEviiP15ncclDevWorkColl.numbered_sgpr)
	.set .L_Z54ncclDevFunc_AllReduce_RING_SIMPLE_PreMulSum_bf16_0_0_4v.num_named_barrier, max(0, .L_ZN12_GLOBAL__N_17runRingI12hip_bfloat1613FuncPreMulSumIS1_E11ProtoSimpleILi2ELi2ELi0ELi4ELi0ELi0EELi0ELi0ELi4ELi0EEEviiP15ncclDevWorkColl.num_named_barrier)
	.set .L_Z54ncclDevFunc_AllReduce_RING_SIMPLE_PreMulSum_bf16_0_0_4v.private_seg_size, 32+max(.L_ZN12_GLOBAL__N_17runRingI12hip_bfloat1613FuncPreMulSumIS1_E11ProtoSimpleILi2ELi2ELi0ELi4ELi0ELi0EELi0ELi0ELi4ELi0EEEviiP15ncclDevWorkColl.private_seg_size)
	.set .L_Z54ncclDevFunc_AllReduce_RING_SIMPLE_PreMulSum_bf16_0_0_4v.uses_vcc, or(1, .L_ZN12_GLOBAL__N_17runRingI12hip_bfloat1613FuncPreMulSumIS1_E11ProtoSimpleILi2ELi2ELi0ELi4ELi0ELi0EELi0ELi0ELi4ELi0EEEviiP15ncclDevWorkColl.uses_vcc)
	.set .L_Z54ncclDevFunc_AllReduce_RING_SIMPLE_PreMulSum_bf16_0_0_4v.uses_flat_scratch, or(0, .L_ZN12_GLOBAL__N_17runRingI12hip_bfloat1613FuncPreMulSumIS1_E11ProtoSimpleILi2ELi2ELi0ELi4ELi0ELi0EELi0ELi0ELi4ELi0EEEviiP15ncclDevWorkColl.uses_flat_scratch)
	.set .L_Z54ncclDevFunc_AllReduce_RING_SIMPLE_PreMulSum_bf16_0_0_4v.has_dyn_sized_stack, or(0, .L_ZN12_GLOBAL__N_17runRingI12hip_bfloat1613FuncPreMulSumIS1_E11ProtoSimpleILi2ELi2ELi0ELi4ELi0ELi0EELi0ELi0ELi4ELi0EEEviiP15ncclDevWorkColl.has_dyn_sized_stack)
	.set .L_Z54ncclDevFunc_AllReduce_RING_SIMPLE_PreMulSum_bf16_0_0_4v.has_recursion, or(1, .L_ZN12_GLOBAL__N_17runRingI12hip_bfloat1613FuncPreMulSumIS1_E11ProtoSimpleILi2ELi2ELi0ELi4ELi0ELi0EELi0ELi0ELi4ELi0EEEviiP15ncclDevWorkColl.has_recursion)
	.set .L_Z54ncclDevFunc_AllReduce_RING_SIMPLE_PreMulSum_bf16_0_0_4v.has_indirect_call, or(0, .L_ZN12_GLOBAL__N_17runRingI12hip_bfloat1613FuncPreMulSumIS1_E11ProtoSimpleILi2ELi2ELi0ELi4ELi0ELi0EELi0ELi0ELi4ELi0EEEviiP15ncclDevWorkColl.has_indirect_call)
	.section	.AMDGPU.csdata,"",@progbits
; Function info:
; codeLenInByte = 1312
; TotalNumSgprs: 106
; NumVgprs: 64
; ScratchSize: 544
; MemoryBound: 0
	.text
	.p2align	2                               ; -- Begin function _ZN12_GLOBAL__N_17runRingI12hip_bfloat1613FuncPreMulSumIS1_E11ProtoSimpleILi2ELi2ELi0ELi4ELi0ELi0EELi0ELi0ELi4ELi1EEEviiP15ncclDevWorkColl
	.type	_ZN12_GLOBAL__N_17runRingI12hip_bfloat1613FuncPreMulSumIS1_E11ProtoSimpleILi2ELi2ELi0ELi4ELi0ELi0EELi0ELi0ELi4ELi1EEEviiP15ncclDevWorkColl,@function
_ZN12_GLOBAL__N_17runRingI12hip_bfloat1613FuncPreMulSumIS1_E11ProtoSimpleILi2ELi2ELi0ELi4ELi0ELi0EELi0ELi0ELi4ELi1EEEviiP15ncclDevWorkColl: ; @_ZN12_GLOBAL__N_17runRingI12hip_bfloat1613FuncPreMulSumIS1_E11ProtoSimpleILi2ELi2ELi0ELi4ELi0ELi0EELi0ELi0ELi4ELi1EEEviiP15ncclDevWorkColl
; %bb.0:
	s_waitcnt vmcnt(0) expcnt(0) lgkmcnt(0)
	s_mov_b32 s4, s33
	s_mov_b32 s33, s32
	s_or_saveexec_b64 s[6:7], -1
	buffer_store_dword v63, off, s[0:3], s33 offset:792 ; 4-byte Folded Spill
	buffer_store_dword v62, off, s[0:3], s33 offset:796 ; 4-byte Folded Spill
	s_mov_b64 exec, s[6:7]
	v_writelane_b32 v63, s4, 34
	s_add_i32 s32, s32, 0xcc00
	buffer_store_dword v40, off, s[0:3], s33 offset:52 ; 4-byte Folded Spill
	buffer_store_dword v41, off, s[0:3], s33 offset:48 ; 4-byte Folded Spill
	;; [unrolled: 1-line block ×13, first 2 shown]
	buffer_store_dword v61, off, s[0:3], s33 ; 4-byte Folded Spill
	v_writelane_b32 v63, s34, 0
	v_writelane_b32 v63, s35, 1
	;; [unrolled: 1-line block ×34, first 2 shown]
	buffer_store_dword v31, off, s[0:3], s33 offset:776 ; 4-byte Folded Spill
	buffer_store_dword v1, off, s[0:3], s33 offset:764 ; 4-byte Folded Spill
	;; [unrolled: 1-line block ×3, first 2 shown]
	s_trap 2
	flat_load_dword v5, v[2:3]
	ds_read_b32 v6, v0
                                        ; implicit-def: $vgpr7_vgpr8
	s_mov_b64 s[28:29], s[8:9]
                                        ; kill: killed $vgpr7_vgpr8
                                        ; implicit-def: $vgpr7_vgpr8
                                        ; implicit-def: $vgpr0_vgpr1
	buffer_store_dword v7, off, s[0:3], s33 offset:732 ; 4-byte Folded Spill
	s_nop 0
	buffer_store_dword v8, off, s[0:3], s33 offset:736 ; 4-byte Folded Spill
	buffer_store_dword v9, off, s[0:3], s33 offset:740 ; 4-byte Folded Spill
	;; [unrolled: 1-line block ×3, first 2 shown]
	s_waitcnt lgkmcnt(0)
	v_readfirstlane_b32 s52, v6
	s_waitcnt vmcnt(0)
	v_cmp_ne_u32_sdwa s[4:5], v6, v5 src0_sel:DWORD src1_sel:BYTE_0
	s_and_saveexec_b64 s[6:7], s[4:5]
	s_xor_b64 s[4:5], exec, s[6:7]
	s_cbranch_execz .LBB12_6
; %bb.1:
                                        ; implicit-def: $vgpr7_vgpr8
	v_not_b32_sdwa v4, v5 dst_sel:DWORD dst_unused:UNUSED_PAD src0_sel:BYTE_0
	v_cmp_ne_u32_sdwa s[6:7], v6, v5 src0_sel:DWORD src1_sel:BYTE_1
                                        ; kill: killed $vgpr7_vgpr8
                                        ; implicit-def: $vgpr7_vgpr8
                                        ; implicit-def: $vgpr0_vgpr1
	buffer_store_dword v7, off, s[0:3], s33 offset:732 ; 4-byte Folded Spill
	s_nop 0
	buffer_store_dword v8, off, s[0:3], s33 offset:736 ; 4-byte Folded Spill
	buffer_store_dword v9, off, s[0:3], s33 offset:740 ; 4-byte Folded Spill
	;; [unrolled: 1-line block ×3, first 2 shown]
	s_and_saveexec_b64 s[8:9], s[6:7]
	s_xor_b64 s[6:7], exec, s[8:9]
	s_cbranch_execz .LBB12_3
; %bb.2:
	flat_load_dwordx4 v[7:10], v[2:3] offset:72
	flat_load_dwordx2 v[0:1], v[2:3] offset:96
	v_add_u32_e32 v4, v6, v4
	v_ashrrev_i32_e32 v5, 31, v4
	s_waitcnt vmcnt(0) lgkmcnt(0)
	v_mul_lo_u32 v5, v9, v5
	v_mad_u64_u32 v[6:7], s[8:9], v9, v4, v[7:8]
	v_mul_lo_u32 v4, v10, v4
	v_lshrrev_b64 v[0:1], 13, v[0:1]
	v_add3_u32 v7, v4, v7, v5
	buffer_store_dword v6, off, s[0:3], s33 offset:748 ; 4-byte Folded Spill
	s_nop 0
	buffer_store_dword v7, off, s[0:3], s33 offset:752 ; 4-byte Folded Spill
	v_mov_b32_e32 v4, v9
	v_mov_b32_e32 v5, v10
	buffer_store_dword v4, off, s[0:3], s33 offset:732 ; 4-byte Folded Spill
	s_nop 0
	buffer_store_dword v5, off, s[0:3], s33 offset:736 ; 4-byte Folded Spill
	buffer_store_dword v6, off, s[0:3], s33 offset:740 ; 4-byte Folded Spill
	;; [unrolled: 1-line block ×3, first 2 shown]
                                        ; implicit-def: $vgpr5
                                        ; implicit-def: $vgpr4
.LBB12_3:
	s_andn2_saveexec_b64 s[6:7], s[6:7]
	s_cbranch_execz .LBB12_5
; %bb.4:
	flat_load_dwordx4 v[6:9], v[2:3] offset:72
	flat_load_dwordx4 v[10:13], v[2:3] offset:88
	v_add_u32_sdwa v0, v5, v4 dst_sel:DWORD dst_unused:UNUSED_PAD src0_sel:BYTE_1 src1_sel:DWORD
	v_ashrrev_i32_e32 v1, 31, v0
	s_waitcnt vmcnt(0) lgkmcnt(0)
	v_mul_lo_u32 v1, v8, v1
	v_mad_u64_u32 v[4:5], s[8:9], v8, v0, v[6:7]
	v_mul_lo_u32 v0, v9, v0
	v_add3_u32 v5, v0, v5, v1
	v_mov_b32_e32 v0, v10
	v_mov_b32_e32 v1, v11
	buffer_store_dword v4, off, s[0:3], s33 offset:748 ; 4-byte Folded Spill
	s_nop 0
	buffer_store_dword v5, off, s[0:3], s33 offset:752 ; 4-byte Folded Spill
	buffer_store_dword v0, off, s[0:3], s33 offset:732 ; 4-byte Folded Spill
	s_nop 0
	buffer_store_dword v1, off, s[0:3], s33 offset:736 ; 4-byte Folded Spill
	buffer_store_dword v2, off, s[0:3], s33 offset:740 ; 4-byte Folded Spill
	;; [unrolled: 1-line block ×3, first 2 shown]
	v_lshrrev_b32_e32 v0, 2, v13
.LBB12_5:
	s_or_b64 exec, exec, s[6:7]
.LBB12_6:
	s_andn2_saveexec_b64 s[4:5], s[4:5]
	s_cbranch_execz .LBB12_8
; %bb.7:
	flat_load_dwordx2 v[0:1], v[2:3] offset:96
	flat_load_dwordx2 v[4:5], v[2:3] offset:72
	s_waitcnt vmcnt(0) lgkmcnt(0)
	buffer_store_dword v4, off, s[0:3], s33 offset:732 ; 4-byte Folded Spill
	s_nop 0
	buffer_store_dword v5, off, s[0:3], s33 offset:736 ; 4-byte Folded Spill
	buffer_store_dword v6, off, s[0:3], s33 offset:740 ; 4-byte Folded Spill
	;; [unrolled: 1-line block ×3, first 2 shown]
	v_lshlrev_b64 v[0:1], 8, v[0:1]
	v_mov_b32_e32 v4, 0
	v_mov_b32_e32 v5, 0
	buffer_store_dword v4, off, s[0:3], s33 offset:748 ; 4-byte Folded Spill
	s_nop 0
	buffer_store_dword v5, off, s[0:3], s33 offset:752 ; 4-byte Folded Spill
.LBB12_8:
	s_or_b64 exec, exec, s[4:5]
	s_trap 2
	ds_read_b64 v[4:5], v0
	s_waitcnt lgkmcnt(0)
	v_cmp_ne_u32_e32 vcc, -1, v4
	v_cndmask_b32_e64 v1, 0, 1, vcc
	v_cmp_ne_u32_e32 vcc, -1, v5
	buffer_load_dword v5, off, s[0:3], s33 offset:764 ; 4-byte Folded Reload
	v_addc_co_u32_e64 v10, s[4:5], 0, v1, vcc
	v_lshlrev_b32_e32 v4, 1, v10
	s_waitcnt vmcnt(0)
	v_cmp_le_u32_e64 s[4:5], v4, v5
	s_and_saveexec_b64 s[6:7], s[4:5]
	s_xor_b64 s[6:7], exec, s[6:7]
                                        ; implicit-def: $vgpr62 : SGPR spill to VGPR lane
	v_writelane_b32 v62, s6, 0
	v_writelane_b32 v62, s7, 1
	s_cbranch_execnz .LBB12_9
; %bb.6668:
	s_getpc_b64 s[98:99]
.Lpost_getpc0:
	s_add_u32 s98, s98, (.LBB12_6665-.Lpost_getpc0)&4294967295
	s_addc_u32 s99, s99, (.LBB12_6665-.Lpost_getpc0)>>32
	s_setpc_b64 s[98:99]
.LBB12_9:
	flat_load_dwordx4 v[4:7], v[2:3] offset:16
	flat_load_dwordx2 v[8:9], v[2:3] offset:104
	flat_load_ushort v12, v[2:3] offset:8
	flat_load_dword v11, v[2:3] offset:4
	s_trap 2
	s_load_dword s4, s[28:29], 0x0
	v_mov_b32_e32 v13, 0
	s_waitcnt lgkmcnt(0)
	s_cmp_lt_u32 s12, s4
	s_cselect_b32 s4, 12, 18
	s_add_u32 s4, s28, s4
	s_addc_u32 s5, s29, 0
	global_load_ushort v13, v13, s[4:5]
	s_waitcnt vmcnt(0)
	buffer_store_dword v13, off, s[0:3], s33 offset:780 ; 4-byte Folded Spill
	ds_read_b32 v13, v0
	s_waitcnt lgkmcnt(0)
	v_readfirstlane_b32 s24, v13
	buffer_load_dword v13, off, s[0:3], s33 offset:596 ; 4-byte Folded Reload
	s_waitcnt vmcnt(0)
	v_cmp_ge_u32_e64 s[4:5], v13, v1
	v_mov_b32_e32 v13, 4
	s_and_saveexec_b64 s[6:7], s[4:5]
	s_cbranch_execz .LBB12_19
; %bb.10:
	buffer_load_dword v13, off, s[0:3], s33 offset:596 ; 4-byte Folded Reload
	s_waitcnt vmcnt(0)
	v_cmp_ge_u32_e64 s[4:5], v13, v10
                                        ; implicit-def: $vgpr13
	s_and_saveexec_b64 s[8:9], s[4:5]
	s_xor_b64 s[4:5], exec, s[8:9]
	s_cbranch_execz .LBB12_16
; %bb.11:
	buffer_load_dword v14, off, s[0:3], s33 offset:764 ; 4-byte Folded Reload
	v_cndmask_b32_e64 v13, 0, 1, vcc
	s_waitcnt vmcnt(0)
	v_sub_u32_e32 v13, v14, v13
	buffer_load_dword v14, off, s[0:3], s33 offset:596 ; 4-byte Folded Reload
	s_waitcnt vmcnt(0)
	v_cmp_ge_u32_e32 vcc, v14, v13
	s_and_saveexec_b64 s[8:9], vcc
	s_xor_b64 s[10:11], exec, s[8:9]
; %bb.12:
                                        ; implicit-def: $vgpr10
; %bb.13:
	s_or_saveexec_b64 s[10:11], s[10:11]
	v_mov_b32_e32 v13, 16
	s_xor_b64 exec, exec, s[10:11]
	s_cbranch_execz .LBB12_15
; %bb.14:
	buffer_load_dword v13, off, s[0:3], s33 offset:764 ; 4-byte Folded Reload
	s_waitcnt vmcnt(0)
	v_sub_u32_e32 v10, v13, v10
	buffer_load_dword v13, off, s[0:3], s33 offset:596 ; 4-byte Folded Reload
	s_waitcnt vmcnt(0)
	v_cmp_lt_i32_e32 vcc, v13, v10
	v_cndmask_b32_e64 v13, 32, 0, vcc
.LBB12_15:
	s_or_b64 exec, exec, s[10:11]
.LBB12_16:
	s_andn2_saveexec_b64 s[4:5], s[4:5]
; %bb.17:
	v_mov_b32_e32 v13, 8
; %bb.18:
	s_or_b64 exec, exec, s[4:5]
.LBB12_19:
	s_or_b64 exec, exec, s[6:7]
	v_and_b32_e32 v10, 36, v13
	v_cmp_ne_u32_e32 vcc, 0, v10
	v_mov_b32_e32 v10, -1
	buffer_store_dword v13, off, s[0:3], s33 offset:156 ; 4-byte Folded Spill
	s_and_saveexec_b64 s[4:5], vcc
	s_cbranch_execz .LBB12_21
; %bb.20:
	s_trap 2
	ds_read_b32 v10, v0
.LBB12_21:
	s_or_b64 exec, exec, s[4:5]
	buffer_load_dword v13, off, s[0:3], s33 offset:156 ; 4-byte Folded Reload
	s_waitcnt vmcnt(0)
	v_and_b32_e32 v13, 24, v13
	v_cmp_ne_u32_e64 s[4:5], 0, v13
	s_and_saveexec_b64 s[6:7], s[4:5]
	s_cbranch_execz .LBB12_23
; %bb.22:
	s_trap 2
	s_waitcnt lgkmcnt(0)
	ds_read_b32 v10, v0
.LBB12_23:
	s_or_b64 exec, exec, s[6:7]
	v_lshrrev_b64 v[11:12], 31, v[11:12]
	v_mov_b32_e32 v12, 0
	v_mov_b32_e32 v13, 0
	buffer_store_dword v12, off, s[0:3], s33 offset:768 ; 4-byte Folded Spill
	s_nop 0
	buffer_store_dword v13, off, s[0:3], s33 offset:772 ; 4-byte Folded Spill
	v_and_b32_e32 v14, 3, v11
	v_mov_b32_e32 v11, 0
	v_mov_b32_e32 v12, 0
	buffer_store_dword v11, off, s[0:3], s33 offset:532 ; 4-byte Folded Spill
	s_nop 0
	buffer_store_dword v12, off, s[0:3], s33 offset:536 ; 4-byte Folded Spill
	buffer_store_dword v13, off, s[0:3], s33 offset:540 ; 4-byte Folded Spill
	;; [unrolled: 1-line block ×3, first 2 shown]
                                        ; implicit-def: $vgpr12_vgpr13
                                        ; kill: killed $vgpr12_vgpr13
	s_waitcnt lgkmcnt(0)
	v_ashrrev_i32_e32 v11, 31, v10
                                        ; implicit-def: $vgpr12
                                        ; kill: killed $vgpr12
                                        ; implicit-def: $vgpr12_vgpr13
                                        ; kill: killed $vgpr12_vgpr13
                                        ; implicit-def: $vgpr12_vgpr13
                                        ; kill: killed $vgpr12_vgpr13
	;; [unrolled: 2-line block ×4, first 2 shown]
	s_and_saveexec_b64 s[4:5], vcc
	s_cbranch_execz .LBB12_33
; %bb.24:
	s_trap 2
	ds_read_b64 v[12:13], v0
	v_lshlrev_b64 v[15:16], 3, v[10:11]
	s_movk_i32 s6, 0xa8
	s_waitcnt lgkmcnt(0)
	v_add_co_u32_e32 v12, vcc, v12, v15
	v_addc_co_u32_e32 v13, vcc, v13, v16, vcc
	flat_load_dwordx2 v[12:13], v[12:13]
	v_and_b32_e32 v15, 0xffff, v14
	s_waitcnt vmcnt(0) lgkmcnt(0)
	v_mad_u64_u32 v[12:13], s[6:7], v15, s6, v[12:13]
	flat_load_dword v15, v[12:13] offset:640
	s_waitcnt vmcnt(0) lgkmcnt(0)
	v_cmp_eq_u32_e32 vcc, 1, v15
                                        ; implicit-def: $vgpr15_vgpr16
                                        ; kill: killed $vgpr15_vgpr16
	s_and_saveexec_b64 s[6:7], vcc
	s_cbranch_execz .LBB12_26
; %bb.25:
	flat_load_dwordx2 v[17:18], v[12:13] offset:648
	s_waitcnt vmcnt(0) lgkmcnt(0)
	flat_load_dwordx2 v[15:16], v[17:18]
	s_trap 2
	s_waitcnt vmcnt(0) lgkmcnt(0)
	ds_write_b64 v0, v[15:16]
	flat_load_dwordx2 v[15:16], v[17:18] offset:8
	s_waitcnt vmcnt(0) lgkmcnt(0)
	ds_write_b64 v0, v[15:16]
	buffer_store_dword v17, off, s[0:3], s33 offset:784 ; 4-byte Folded Spill
	s_nop 0
	buffer_store_dword v18, off, s[0:3], s33 offset:788 ; 4-byte Folded Spill
	flat_load_dwordx2 v[15:16], v[17:18] offset:16
	s_waitcnt vmcnt(0) lgkmcnt(0)
	ds_write_b64 v0, v[15:16]
	buffer_load_dword v15, off, s[0:3], s33 offset:156 ; 4-byte Folded Reload
	s_waitcnt vmcnt(0)
	v_or_b32_e32 v15, 0x2000, v15
	buffer_store_dword v15, off, s[0:3], s33 offset:156 ; 4-byte Folded Spill
.LBB12_26:
	s_or_b64 exec, exec, s[6:7]
	flat_load_dwordx2 v[15:16], v[12:13] offset:608
	buffer_load_dword v17, off, s[0:3], s33 offset:156 ; 4-byte Folded Reload
	s_waitcnt vmcnt(0) lgkmcnt(0)
	v_add_co_u32_e32 v15, vcc, 3, v15
	v_and_b32_e32 v17, 32, v17
	v_addc_co_u32_e32 v16, vcc, 0, v16, vcc
	v_and_b32_e32 v15, -4, v15
	buffer_store_dword v15, off, s[0:3], s33 offset:256 ; 4-byte Folded Spill
	s_nop 0
	buffer_store_dword v16, off, s[0:3], s33 offset:260 ; 4-byte Folded Spill
	v_cmp_ne_u32_e32 vcc, 0, v17
                                        ; implicit-def: $vgpr15_vgpr16
                                        ; kill: killed $vgpr15_vgpr16
	s_and_saveexec_b64 s[6:7], vcc
	s_cbranch_execz .LBB12_28
; %bb.27:
	flat_load_dwordx2 v[15:16], v[12:13] offset:560
	s_waitcnt vmcnt(0) lgkmcnt(0)
	buffer_store_dword v15, off, s[0:3], s33 offset:144 ; 4-byte Folded Spill
	s_nop 0
	buffer_store_dword v16, off, s[0:3], s33 offset:148 ; 4-byte Folded Spill
	buffer_load_dword v17, off, s[0:3], s33 offset:256 ; 4-byte Folded Reload
	buffer_load_dword v18, off, s[0:3], s33 offset:260 ; 4-byte Folded Reload
	s_waitcnt vmcnt(0)
	flat_store_dwordx2 v[15:16], v[17:18]
.LBB12_28:
	s_or_b64 exec, exec, s[6:7]
	v_add_co_u32_e32 v15, vcc, 0x1f8, v12
	v_addc_co_u32_e32 v16, vcc, 0, v13, vcc
	buffer_store_dword v15, off, s[0:3], s33 offset:768 ; 4-byte Folded Spill
	s_nop 0
	buffer_store_dword v16, off, s[0:3], s33 offset:772 ; 4-byte Folded Spill
	buffer_load_dword v15, off, s[0:3], s33 offset:156 ; 4-byte Folded Reload
	v_mov_b32_e32 v16, 0
	v_mov_b32_e32 v17, 0
	buffer_store_dword v16, off, s[0:3], s33 offset:532 ; 4-byte Folded Spill
	s_nop 0
	buffer_store_dword v17, off, s[0:3], s33 offset:536 ; 4-byte Folded Spill
	buffer_store_dword v18, off, s[0:3], s33 offset:540 ; 4-byte Folded Spill
	;; [unrolled: 1-line block ×3, first 2 shown]
	s_waitcnt vmcnt(0)
	v_and_b32_e32 v15, 4, v15
	v_cmp_ne_u32_e32 vcc, 0, v15
                                        ; implicit-def: $vgpr15
                                        ; kill: killed $vgpr15
                                        ; implicit-def: $vgpr15_vgpr16
                                        ; kill: killed $vgpr15_vgpr16
                                        ; implicit-def: $vgpr15_vgpr16
                                        ; kill: killed $vgpr15_vgpr16
	s_and_saveexec_b64 s[6:7], vcc
	s_cbranch_execz .LBB12_32
; %bb.29:
	buffer_load_dword v15, off, s[0:3], s33 offset:156 ; 4-byte Folded Reload
	s_waitcnt vmcnt(0)
	v_and_b32_e32 v15, 0x800, v15
	v_cmp_eq_u32_e32 vcc, 0, v15
	s_and_saveexec_b64 s[10:11], vcc
	s_cbranch_execz .LBB12_31
; %bb.30:
	s_trap 2
	buffer_load_dword v15, off, s[0:3], s33 offset:768 ; 4-byte Folded Reload
	buffer_load_dword v16, off, s[0:3], s33 offset:772 ; 4-byte Folded Reload
	s_waitcnt vmcnt(0)
	ds_write_b64 v0, v[15:16]
.LBB12_31:
	s_or_b64 exec, exec, s[10:11]
	flat_load_dwordx2 v[15:16], v[12:13] offset:552
	s_waitcnt vmcnt(0) lgkmcnt(0)
	buffer_store_dword v15, off, s[0:3], s33 offset:144 ; 4-byte Folded Spill
	s_nop 0
	buffer_store_dword v16, off, s[0:3], s33 offset:148 ; 4-byte Folded Spill
	flat_load_dwordx2 v[15:16], v[15:16] glc
	s_waitcnt vmcnt(0) lgkmcnt(0)
	buffer_store_dword v15, off, s[0:3], s33 offset:136 ; 4-byte Folded Spill
	s_nop 0
	buffer_store_dword v16, off, s[0:3], s33 offset:140 ; 4-byte Folded Spill
	flat_load_dword v15, v[12:13] offset:576
	s_nop 0
	flat_load_dwordx2 v[17:18], v[12:13] offset:600
	s_nop 0
	flat_load_dwordx2 v[12:13], v[12:13] offset:520
	s_waitcnt vmcnt(0) lgkmcnt(0)
	buffer_store_dword v12, off, s[0:3], s33 offset:524 ; 4-byte Folded Spill
	s_nop 0
	buffer_store_dword v13, off, s[0:3], s33 offset:528 ; 4-byte Folded Spill
	v_ashrrev_i32_e32 v15, 1, v15
	buffer_load_dword v13, off, s[0:3], s33 offset:156 ; 4-byte Folded Reload
	s_waitcnt vmcnt(0)
	v_or_b32_e32 v12, 0x100, v13
	buffer_store_dword v15, off, s[0:3], s33 offset:564 ; 4-byte Folded Spill
	v_mov_b32_e32 v15, v17
	v_mov_b32_e32 v16, v18
	buffer_store_dword v15, off, s[0:3], s33 offset:532 ; 4-byte Folded Spill
	s_nop 0
	buffer_store_dword v16, off, s[0:3], s33 offset:536 ; 4-byte Folded Spill
	buffer_store_dword v17, off, s[0:3], s33 offset:540 ; 4-byte Folded Spill
	;; [unrolled: 1-line block ×3, first 2 shown]
	v_cmp_eq_u64_e32 vcc, 0, v[17:18]
	v_cndmask_b32_e32 v13, v12, v13, vcc
	buffer_store_dword v13, off, s[0:3], s33 offset:156 ; 4-byte Folded Spill
.LBB12_32:
	s_or_b64 exec, exec, s[6:7]
.LBB12_33:
	s_or_b64 exec, exec, s[4:5]
	buffer_load_dword v12, off, s[0:3], s33 offset:156 ; 4-byte Folded Reload
	s_waitcnt vmcnt(0)
	v_and_b32_e32 v12, 24, v12
	v_cmp_ne_u32_e32 vcc, 0, v12
                                        ; implicit-def: $vgpr12_vgpr13
                                        ; kill: killed $vgpr12_vgpr13
	s_and_saveexec_b64 s[4:5], vcc
	s_cbranch_execz .LBB12_41
; %bb.34:
	s_trap 2
	ds_read_b64 v[12:13], v0
	v_lshlrev_b64 v[10:11], 3, v[10:11]
	s_movk_i32 s6, 0xa8
	s_waitcnt lgkmcnt(0)
	v_add_co_u32_e32 v10, vcc, v12, v10
	v_addc_co_u32_e32 v11, vcc, v13, v11, vcc
	flat_load_dwordx2 v[10:11], v[10:11]
	v_and_b32_e32 v12, 0xffff, v14
	s_waitcnt vmcnt(0) lgkmcnt(0)
	v_mad_u64_u32 v[10:11], s[6:7], v12, s6, v[10:11]
	buffer_store_dword v10, off, s[0:3], s33 offset:768 ; 4-byte Folded Spill
	s_nop 0
	buffer_store_dword v11, off, s[0:3], s33 offset:772 ; 4-byte Folded Spill
	flat_load_dwordx4 v[12:15], v[10:11] offset:96
	s_nop 0
	buffer_load_dword v11, off, s[0:3], s33 offset:156 ; 4-byte Folded Reload
	s_waitcnt vmcnt(0) lgkmcnt(0)
	buffer_store_dword v12, off, s[0:3], s33 offset:532 ; 4-byte Folded Spill
	s_nop 0
	buffer_store_dword v13, off, s[0:3], s33 offset:536 ; 4-byte Folded Spill
	buffer_store_dword v14, off, s[0:3], s33 offset:540 ; 4-byte Folded Spill
	;; [unrolled: 1-line block ×3, first 2 shown]
	v_or_b32_e32 v10, 0x100, v11
	v_cmp_eq_u64_e32 vcc, 0, v[12:13]
	v_cndmask_b32_e32 v11, v10, v11, vcc
	v_and_b32_e32 v10, 16, v11
	v_cmp_ne_u32_e32 vcc, 0, v10
	buffer_store_dword v11, off, s[0:3], s33 offset:156 ; 4-byte Folded Spill
                                        ; implicit-def: $vgpr10_vgpr11
                                        ; kill: killed $vgpr10_vgpr11
	s_and_saveexec_b64 s[6:7], vcc
	s_cbranch_execz .LBB12_36
; %bb.35:
	buffer_load_dword v10, off, s[0:3], s33 offset:768 ; 4-byte Folded Reload
	buffer_load_dword v11, off, s[0:3], s33 offset:772 ; 4-byte Folded Reload
	s_waitcnt vmcnt(0)
	flat_load_dwordx2 v[12:13], v[10:11] offset:48
	s_waitcnt vmcnt(0) lgkmcnt(0)
	buffer_store_dword v12, off, s[0:3], s33 offset:144 ; 4-byte Folded Spill
	s_nop 0
	buffer_store_dword v13, off, s[0:3], s33 offset:148 ; 4-byte Folded Spill
	flat_load_dwordx2 v[12:13], v[10:11] offset:120
	s_waitcnt vmcnt(0) lgkmcnt(0)
	buffer_store_dword v12, off, s[0:3], s33 offset:548 ; 4-byte Folded Spill
	s_nop 0
	buffer_store_dword v13, off, s[0:3], s33 offset:552 ; 4-byte Folded Spill
	;; [unrolled: 5-line block ×3, first 2 shown]
.LBB12_36:
	s_or_b64 exec, exec, s[6:7]
	buffer_load_dword v10, off, s[0:3], s33 offset:532 ; 4-byte Folded Reload
	buffer_load_dword v11, off, s[0:3], s33 offset:536 ; 4-byte Folded Reload
	;; [unrolled: 1-line block ×4, first 2 shown]
	s_waitcnt vmcnt(1)
	v_add_co_u32_e32 v10, vcc, 3, v12
	s_waitcnt vmcnt(0)
	v_addc_co_u32_e32 v11, vcc, 0, v13, vcc
	v_and_b32_e32 v10, -4, v10
	buffer_store_dword v10, off, s[0:3], s33 offset:256 ; 4-byte Folded Spill
	s_nop 0
	buffer_store_dword v11, off, s[0:3], s33 offset:260 ; 4-byte Folded Spill
	buffer_load_dword v10, off, s[0:3], s33 offset:156 ; 4-byte Folded Reload
	s_waitcnt vmcnt(0)
	v_and_b32_e32 v10, 8, v10
	v_cmp_ne_u32_e32 vcc, 0, v10
	s_and_saveexec_b64 s[6:7], vcc
	s_cbranch_execz .LBB12_40
; %bb.37:
	buffer_load_dword v10, off, s[0:3], s33 offset:156 ; 4-byte Folded Reload
	s_waitcnt vmcnt(0)
	v_and_b32_e32 v10, 0x800, v10
	v_cmp_eq_u32_e32 vcc, 0, v10
	s_and_saveexec_b64 s[10:11], vcc
	s_cbranch_execz .LBB12_39
; %bb.38:
	s_trap 2
	buffer_load_dword v10, off, s[0:3], s33 offset:768 ; 4-byte Folded Reload
	buffer_load_dword v11, off, s[0:3], s33 offset:772 ; 4-byte Folded Reload
	s_waitcnt vmcnt(0)
	ds_write_b64 v0, v[10:11]
.LBB12_39:
	s_or_b64 exec, exec, s[10:11]
	buffer_load_dword v11, off, s[0:3], s33 offset:768 ; 4-byte Folded Reload
	buffer_load_dword v12, off, s[0:3], s33 offset:772 ; 4-byte Folded Reload
	s_waitcnt vmcnt(0)
	flat_load_dwordx2 v[13:14], v[11:12] offset:56
	s_waitcnt vmcnt(0) lgkmcnt(0)
	buffer_store_dword v13, off, s[0:3], s33 offset:144 ; 4-byte Folded Spill
	s_nop 0
	buffer_store_dword v14, off, s[0:3], s33 offset:148 ; 4-byte Folded Spill
	flat_load_dwordx2 v[13:14], v[13:14] glc
	s_waitcnt vmcnt(0) lgkmcnt(0)
	buffer_store_dword v13, off, s[0:3], s33 offset:136 ; 4-byte Folded Spill
	s_nop 0
	buffer_store_dword v14, off, s[0:3], s33 offset:140 ; 4-byte Folded Spill
	flat_load_dword v10, v[11:12] offset:72
	s_nop 0
	flat_load_dwordx2 v[11:12], v[11:12] offset:16
	s_waitcnt vmcnt(0) lgkmcnt(0)
	buffer_store_dword v11, off, s[0:3], s33 offset:524 ; 4-byte Folded Spill
	s_nop 0
	buffer_store_dword v12, off, s[0:3], s33 offset:528 ; 4-byte Folded Spill
	v_ashrrev_i32_e32 v10, 1, v10
	buffer_store_dword v10, off, s[0:3], s33 offset:564 ; 4-byte Folded Spill
.LBB12_40:
	s_or_b64 exec, exec, s[6:7]
.LBB12_41:
	s_or_b64 exec, exec, s[4:5]
	buffer_load_dword v10, off, s[0:3], s33 offset:596 ; 4-byte Folded Reload
	s_waitcnt vmcnt(0)
	v_cmp_eq_u32_e64 s[4:5], 0, v10
	s_and_saveexec_b64 s[6:7], s[4:5]
	s_cbranch_execz .LBB12_43
; %bb.42:
	flat_load_dwordx2 v[10:11], v[2:3] offset:32
	ds_write2_b64 v0, v[6:7], v[4:5] offset1:1
	s_trap 2
	s_waitcnt vmcnt(0) lgkmcnt(0)
	ds_write_b64 v0, v[10:11]
	ds_write_b64 v0, v[8:9]
.LBB12_43:
	s_or_b64 exec, exec, s[6:7]
	v_mov_b32_e32 v4, 0
	v_mov_b32_e32 v5, 0
	buffer_store_dword v4, off, s[0:3], s33 offset:160 ; 4-byte Folded Spill
	s_nop 0
	buffer_store_dword v5, off, s[0:3], s33 offset:164 ; 4-byte Folded Spill
	buffer_load_dword v4, off, s[0:3], s33 offset:732 ; 4-byte Folded Reload
	s_nop 0
	buffer_load_dword v5, off, s[0:3], s33 offset:736 ; 4-byte Folded Reload
	buffer_load_dword v6, off, s[0:3], s33 offset:740 ; 4-byte Folded Reload
	;; [unrolled: 1-line block ×3, first 2 shown]
	s_waitcnt vmcnt(0)
	v_cmp_lt_i64_e32 vcc, 0, v[4:5]
	s_mov_b64 s[6:7], exec
	v_writelane_b32 v62, s6, 2
	v_writelane_b32 v62, s7, 3
	s_and_b64 s[6:7], s[6:7], vcc
	s_mov_b64 exec, s[6:7]
	s_cbranch_execnz .LBB12_44
; %bb.6670:
	s_getpc_b64 s[98:99]
.Lpost_getpc1:
	s_add_u32 s98, s98, (.LBB12_6631-.Lpost_getpc1)&4294967295
	s_addc_u32 s99, s99, (.LBB12_6631-.Lpost_getpc1)>>32
	s_setpc_b64 s[98:99]
.LBB12_44:
	flat_load_dword v2, v[2:3] offset:4
	v_and_b32_e32 v11, 0x1fffff00, v0
	buffer_load_dword v3, off, s[0:3], s33 offset:764 ; 4-byte Folded Reload
	buffer_load_dword v4, off, s[0:3], s33 offset:596 ; 4-byte Folded Reload
	;; [unrolled: 1-line block ×4, first 2 shown]
	v_mov_b32_e32 v7, 0
	s_ashr_i32 s16, s24, 31
	s_movk_i32 s54, 0x2000
	s_movk_i32 s64, 0x800
	;; [unrolled: 1-line block ×4, first 2 shown]
	s_ashr_i32 s53, s52, 31
	s_movk_i32 s81, 0x1000
	v_writelane_b32 v62, s28, 4
	v_writelane_b32 v62, s29, 5
	s_mov_b64 s[58:59], 0
	s_mov_b32 s97, 0x7f800000
	s_movk_i32 s46, 0x7fff
	s_mov_b32 s47, 0xffff0000
	s_movk_i32 s44, 0x108
	s_waitcnt vmcnt(0)
	v_cmp_eq_u32_e64 s[6:7], 64, v3
	v_and_b32_e32 v9, 63, v4
	v_and_b32_e32 v0, 63, v0
	v_ashrrev_i32_e32 v5, 31, v5
	buffer_store_dword v5, off, s[0:3], s33 offset:576 ; 4-byte Folded Spill
	s_trap 2
	buffer_load_dword v5, off, s[0:3], s33 offset:780 ; 4-byte Folded Reload
	v_cmp_ge_u32_e32 vcc, v4, v3
	v_cmp_ne_u32_e64 s[10:11], 64, v3
	v_lshrrev_b32_e32 v8, 6, v3
	v_lshrrev_b32_e32 v10, 6, v4
	v_mov_b32_e32 v4, 0xfffff800
	v_cmp_lt_u32_e64 s[20:21], v9, v1
	v_cmp_le_u32_e64 s[22:23], v9, v1
	v_lshlrev_b32_e32 v14, 7, v8
	v_cmp_eq_u32_e64 s[18:19], 0, v9
	s_waitcnt vmcnt(0)
	v_cmp_ne_u32_sdwa s[56:57], v3, v5 src0_sel:DWORD src1_sel:WORD_0
	buffer_load_dword v5, off, s[0:3], s33 offset:548 ; 4-byte Folded Reload
	buffer_load_dword v6, off, s[0:3], s33 offset:552 ; 4-byte Folded Reload
	v_mov_b32_e32 v3, 0xffffe000
	v_lshl_add_u32 v3, v8, 13, v3
	s_waitcnt vmcnt(0)
	v_cmp_eq_u64_e64 s[12:13], 0, v[5:6]
	v_cmp_ne_u64_e64 s[14:15], 0, v[5:6]
	v_mov_b32_e32 v6, 0
	buffer_store_dword v6, off, s[0:3], s33 offset:128 ; 4-byte Folded Spill
	s_nop 0
	buffer_store_dword v7, off, s[0:3], s33 offset:132 ; 4-byte Folded Spill
	v_mov_b32_e32 v5, 0xfffff000
	v_mov_b32_e32 v12, v7
	buffer_store_dword v11, off, s[0:3], s33 offset:680 ; 4-byte Folded Spill
	s_nop 0
	buffer_store_dword v12, off, s[0:3], s33 offset:684 ; 4-byte Folded Spill
	v_lshl_add_u32 v12, v8, 11, v4
	v_ashrrev_i32_e32 v4, 31, v3
	buffer_store_dword v9, off, s[0:3], s33 offset:580 ; 4-byte Folded Spill
	buffer_store_dword v14, off, s[0:3], s33 offset:280 ; 4-byte Folded Spill
	;; [unrolled: 1-line block ×3, first 2 shown]
	v_ashrrev_i32_e32 v13, 31, v12
	v_mad_i64_i32 v[6:7], s[8:9], v11, s52, 0
	s_lshr_b32 s8, s16, 29
	v_cmp_eq_u32_e64 s[16:17], 0, v0
	v_lshlrev_b32_e32 v0, 4, v9
	v_lshl_or_b32 v1, v10, 13, v0
	v_lshl_or_b32 v0, v10, 12, v0
	v_lshlrev_b32_e32 v11, 10, v8
	s_add_i32 s9, s24, s8
	buffer_store_dword v0, off, s[0:3], s33 offset:592 ; 4-byte Folded Spill
	v_add_co_u32_e64 v0, s[24:25], s54, v3
	buffer_store_dword v1, off, s[0:3], s33 offset:668 ; 4-byte Folded Spill
	buffer_store_dword v11, off, s[0:3], s33 offset:384 ; 4-byte Folded Spill
	;; [unrolled: 1-line block ×4, first 2 shown]
	s_nop 0
	buffer_store_dword v4, off, s[0:3], s33 offset:572 ; 4-byte Folded Spill
	v_add_u32_e32 v1, 0xfffffc00, v11
	v_add_u32_e32 v9, 0xffffff80, v14
	v_ashrrev_i32_e32 v10, 31, v9
	s_ashr_i32 s27, s9, 4
	s_add_u32 s8, s52, -1
	s_addc_u32 s66, s53, -1
	s_add_i32 s67, s52, s52
	v_addc_co_u32_e64 v0, s[24:25], 0, v4, s[24:25]
	v_add_co_u32_e64 v3, s[24:25], s64, v12
	buffer_store_dword v0, off, s[0:3], s33 offset:432 ; 4-byte Folded Spill
	buffer_store_dword v3, off, s[0:3], s33 offset:232 ; 4-byte Folded Spill
	;; [unrolled: 1-line block ×3, first 2 shown]
	s_nop 0
	buffer_store_dword v13, off, s[0:3], s33 offset:276 ; 4-byte Folded Spill
	v_ashrrev_i32_e32 v0, 31, v1
	buffer_store_dword v1, off, s[0:3], s33 offset:412 ; 4-byte Folded Spill
	v_addc_co_u32_e64 v3, s[24:25], 0, v13, s[24:25]
	v_add_co_u32_e64 v1, s[24:25], s55, v1
	buffer_store_dword v3, off, s[0:3], s33 offset:236 ; 4-byte Folded Spill
	buffer_store_dword v1, off, s[0:3], s33 offset:420 ; 4-byte Folded Spill
	;; [unrolled: 1-line block ×3, first 2 shown]
	v_addc_co_u32_e64 v0, s[24:25], 0, v0, s[24:25]
	buffer_store_dword v0, off, s[0:3], s33 offset:424 ; 4-byte Folded Spill
	v_add_co_u32_e64 v0, s[24:25], s26, v9
	buffer_store_dword v0, off, s[0:3], s33 offset:396 ; 4-byte Folded Spill
	buffer_store_dword v9, off, s[0:3], s33 offset:388 ; 4-byte Folded Spill
	s_nop 0
	buffer_store_dword v10, off, s[0:3], s33 offset:392 ; 4-byte Folded Spill
	buffer_store_dword v8, off, s[0:3], s33 offset:152 ; 4-byte Folded Spill
	v_addc_co_u32_e64 v0, s[24:25], 0, v10, s[24:25]
	s_not_b32 s24, s52
	s_cmp_gt_i32 s52, 0
	s_cselect_b32 s24, s24, -1
	s_ashr_i32 s9, s9, 31
	buffer_store_dword v0, off, s[0:3], s33 offset:400 ; 4-byte Folded Spill
	s_lshr_b32 s9, s9, 28
	s_waitcnt lgkmcnt(0)
	v_and_b32_e32 v0, 1, v2
	s_add_i32 s68, s24, s67
	s_add_i32 s27, s27, s9
	v_cmp_eq_u32_e64 s[24:25], 1, v0
	v_lshl_add_u32 v0, v8, 12, v5
	s_ashr_i32 s70, s27, 4
	v_ashrrev_i32_e32 v1, 31, v0
	v_add_co_u32_e64 v2, s[26:27], s81, v0
	buffer_store_dword v2, off, s[0:3], s33 offset:264 ; 4-byte Folded Spill
	buffer_store_dword v0, off, s[0:3], s33 offset:404 ; 4-byte Folded Spill
	s_nop 0
	buffer_store_dword v1, off, s[0:3], s33 offset:408 ; 4-byte Folded Spill
	s_ashr_i32 s69, s68, 31
	s_cmp_gt_i32 s52, 2
	s_cselect_b64 s[60:61], -1, 0
	s_lshr_b32 s9, s33, 6
	s_add_i32 s71, s9, 0x70
	s_lshr_b32 s9, s33, 6
	s_add_i32 s80, s9, 0x50
	;; [unrolled: 2-line block ×5, first 2 shown]
	s_lshr_b32 s9, s33, 6
	s_xor_b64 s[62:63], s[24:25], -1
	s_add_i32 s85, s9, 0x50
	s_add_i32 s9, s52, 1
	s_cmp_ge_i32 s9, s52
	v_mov_b32_e32 v4, 0
	v_mov_b32_e32 v5, 0
	v_addc_co_u32_e64 v0, s[26:27], 0, v1, s[26:27]
	buffer_store_dword v0, off, s[0:3], s33 offset:268 ; 4-byte Folded Spill
	v_mov_b32_e32 v0, 0
	v_mov_b32_e32 v1, 0
	buffer_store_dword v0, off, s[0:3], s33 offset:160 ; 4-byte Folded Spill
	s_nop 0
	buffer_store_dword v1, off, s[0:3], s33 offset:164 ; 4-byte Folded Spill
	buffer_load_dword v0, off, s[0:3], s33 offset:732 ; 4-byte Folded Reload
	s_nop 0
	buffer_load_dword v1, off, s[0:3], s33 offset:736 ; 4-byte Folded Reload
	buffer_load_dword v2, off, s[0:3], s33 offset:740 ; 4-byte Folded Reload
	;; [unrolled: 1-line block ×3, first 2 shown]
	s_cselect_b32 s26, s52, 0
	s_sub_i32 s86, s9, s26
	s_ashr_i32 s87, s86, 31
	s_add_i32 s96, s52, -2
	s_xor_b64 s[72:73], vcc, -1
	s_ashr_i32 s74, s53, 31
	buffer_store_dword v6, off, s[0:3], s33 offset:756 ; 4-byte Folded Spill
	s_nop 0
	buffer_store_dword v7, off, s[0:3], s33 offset:760 ; 4-byte Folded Spill
	s_branch .LBB12_47
.LBB12_45:                              ;   in Loop: Header=BB12_47 Depth=1
	s_or_b64 exec, exec, s[40:41]
.LBB12_46:                              ;   in Loop: Header=BB12_47 Depth=1
	s_or_b64 exec, exec, s[28:29]
	buffer_load_dword v6, off, s[0:3], s33 offset:756 ; 4-byte Folded Reload
	buffer_load_dword v7, off, s[0:3], s33 offset:760 ; 4-byte Folded Reload
	;; [unrolled: 1-line block ×8, first 2 shown]
	s_waitcnt vmcnt(0)
	v_add_co_u32_e32 v4, vcc, v4, v6
	v_addc_co_u32_e32 v5, vcc, v5, v7, vcc
	v_cmp_ge_i64_e32 vcc, v[4:5], v[0:1]
	s_or_b64 s[58:59], vcc, s[58:59]
	s_andn2_b64 exec, exec, s[58:59]
	s_cbranch_execnz .LBB12_47
; %bb.6672:
	s_getpc_b64 s[98:99]
.Lpost_getpc2:
	s_add_u32 s98, s98, (.LBB12_6630-.Lpost_getpc2)&4294967295
	s_addc_u32 s99, s99, (.LBB12_6630-.Lpost_getpc2)>>32
	s_setpc_b64 s[98:99]
.LBB12_47:                              ; =>This Loop Header: Depth=1
                                        ;     Child Loop BB12_57 Depth 2
                                        ;       Child Loop BB12_65 Depth 3
                                        ;       Child Loop BB12_89 Depth 3
	;; [unrolled: 1-line block ×9, first 2 shown]
                                        ;     Child Loop BB12_1296 Depth 2
                                        ;       Child Loop BB12_1302 Depth 3
                                        ;       Child Loop BB12_1326 Depth 3
	;; [unrolled: 1-line block ×3, first 2 shown]
                                        ;     Child Loop BB12_1368 Depth 2
                                        ;       Child Loop BB12_1371 Depth 3
                                        ;         Child Loop BB12_1379 Depth 4
                                        ;         Child Loop BB12_1407 Depth 4
	;; [unrolled: 1-line block ×5, first 2 shown]
                                        ;           Child Loop BB12_2238 Depth 5
                                        ;           Child Loop BB12_2307 Depth 5
                                        ;         Child Loop BB12_2448 Depth 4
                                        ;         Child Loop BB12_2843 Depth 4
                                        ;           Child Loop BB12_2844 Depth 5
                                        ;           Child Loop BB12_2857 Depth 5
                                        ;         Child Loop BB12_2884 Depth 4
                                        ;         Child Loop BB12_2903 Depth 4
                                        ;       Child Loop BB12_2922 Depth 3
                                        ;         Child Loop BB12_2928 Depth 4
                                        ;         Child Loop BB12_2956 Depth 4
	;; [unrolled: 1-line block ×3, first 2 shown]
                                        ;     Child Loop BB12_2997 Depth 2
                                        ;       Child Loop BB12_3005 Depth 3
                                        ;       Child Loop BB12_3033 Depth 3
	;; [unrolled: 1-line block ×5, first 2 shown]
                                        ;         Child Loop BB12_3860 Depth 4
                                        ;         Child Loop BB12_3927 Depth 4
	;; [unrolled: 1-line block ×4, first 2 shown]
                                        ;       Child Loop BB12_4067 Depth 3
                                        ;       Child Loop BB12_4075 Depth 3
	;; [unrolled: 1-line block ×3, first 2 shown]
                                        ;         Child Loop BB12_4473 Depth 4
                                        ;         Child Loop BB12_4484 Depth 4
	;; [unrolled: 1-line block ×4, first 2 shown]
                                        ;       Child Loop BB12_4511 Depth 3
                                        ;       Child Loop BB12_4523 Depth 3
	;; [unrolled: 1-line block ×3, first 2 shown]
                                        ;         Child Loop BB12_5307 Depth 4
                                        ;         Child Loop BB12_5376 Depth 4
                                        ;       Child Loop BB12_5517 Depth 3
                                        ;       Child Loop BB12_5912 Depth 3
                                        ;         Child Loop BB12_5913 Depth 4
                                        ;         Child Loop BB12_5926 Depth 4
                                        ;       Child Loop BB12_5954 Depth 3
                                        ;       Child Loop BB12_5977 Depth 3
                                        ;     Child Loop BB12_5995 Depth 2
                                        ;       Child Loop BB12_6001 Depth 3
                                        ;       Child Loop BB12_6029 Depth 3
	;; [unrolled: 1-line block ×3, first 2 shown]
                                        ;     Child Loop BB12_6071 Depth 2
                                        ;       Child Loop BB12_6074 Depth 3
                                        ;         Child Loop BB12_6082 Depth 4
                                        ;         Child Loop BB12_6110 Depth 4
	;; [unrolled: 1-line block ×5, first 2 shown]
                                        ;           Child Loop BB12_6172 Depth 5
                                        ;           Child Loop BB12_6177 Depth 5
                                        ;         Child Loop BB12_6183 Depth 4
                                        ;         Child Loop BB12_6191 Depth 4
	;; [unrolled: 1-line block ×3, first 2 shown]
                                        ;           Child Loop BB12_6203 Depth 5
                                        ;           Child Loop BB12_6208 Depth 5
                                        ;         Child Loop BB12_6212 Depth 4
                                        ;         Child Loop BB12_6224 Depth 4
	;; [unrolled: 1-line block ×7, first 2 shown]
                                        ;       Child Loop BB12_6316 Depth 3
                                        ;         Child Loop BB12_6322 Depth 4
                                        ;         Child Loop BB12_6350 Depth 4
	;; [unrolled: 1-line block ×3, first 2 shown]
                                        ;     Child Loop BB12_6395 Depth 2
                                        ;       Child Loop BB12_6403 Depth 3
                                        ;       Child Loop BB12_6427 Depth 3
	;; [unrolled: 1-line block ×9, first 2 shown]
                                        ;     Child Loop BB12_6564 Depth 2
                                        ;       Child Loop BB12_6570 Depth 3
                                        ;       Child Loop BB12_6594 Depth 3
	;; [unrolled: 1-line block ×3, first 2 shown]
	s_waitcnt vmcnt(0)
	v_sub_co_u32_e32 v0, vcc, v0, v4
	buffer_store_dword v4, off, s[0:3], s33 offset:724 ; 4-byte Folded Spill
	s_nop 0
	buffer_store_dword v5, off, s[0:3], s33 offset:728 ; 4-byte Folded Spill
	s_waitcnt vmcnt(6)
	v_subb_co_u32_e32 v1, vcc, v1, v5, vcc
	buffer_store_dword v0, off, s[0:3], s33 offset:672 ; 4-byte Folded Spill
	s_nop 0
	buffer_store_dword v1, off, s[0:3], s33 offset:676 ; 4-byte Folded Spill
	v_cmp_lt_i64_e32 vcc, v[0:1], v[6:7]
	s_and_saveexec_b64 s[28:29], vcc
	s_cbranch_execz .LBB12_53
; %bb.48:                               ;   in Loop: Header=BB12_47 Depth=1
	buffer_load_dword v2, off, s[0:3], s33 offset:672 ; 4-byte Folded Reload
	buffer_load_dword v3, off, s[0:3], s33 offset:676 ; 4-byte Folded Reload
	v_mov_b32_e32 v0, s66
	s_waitcnt vmcnt(0)
	v_add_co_u32_e32 v2, vcc, s8, v2
	s_waitcnt vmcnt(0)
	v_addc_co_u32_e32 v3, vcc, v0, v3, vcc
	buffer_load_dword v0, off, s[0:3], s33 offset:128 ; 4-byte Folded Reload
	buffer_load_dword v1, off, s[0:3], s33 offset:132 ; 4-byte Folded Reload
	v_or_b32_e32 v5, s53, v3
	s_waitcnt vmcnt(0)
	v_mov_b32_e32 v4, v0
	v_cmp_ne_u64_e32 vcc, 0, v[4:5]
	buffer_store_dword v0, off, s[0:3], s33 offset:128 ; 4-byte Folded Spill
	s_waitcnt vmcnt(1)
	buffer_store_dword v1, off, s[0:3], s33 offset:132 ; 4-byte Folded Spill
                                        ; implicit-def: $vgpr0_vgpr1
	s_and_saveexec_b64 s[26:27], vcc
	s_xor_b64 s[40:41], exec, s[26:27]
	s_cbranch_execz .LBB12_50
; %bb.49:                               ;   in Loop: Header=BB12_47 Depth=1
	s_add_u32 s26, s52, s74
	s_mov_b32 s75, s74
	s_addc_u32 s27, s53, s74
	s_xor_b64 s[42:43], s[26:27], s[74:75]
	v_cvt_f32_u32_e32 v0, s42
	v_cvt_f32_u32_e32 v1, s43
	s_sub_u32 s9, 0, s42
	s_subb_u32 s45, 0, s43
	v_ashrrev_i32_e32 v4, 31, v3
	v_mac_f32_e32 v0, 0x4f800000, v1
	v_rcp_f32_e32 v0, v0
	v_mul_f32_e32 v0, 0x5f7ffffc, v0
	v_mul_f32_e32 v1, 0x2f800000, v0
	v_trunc_f32_e32 v1, v1
	v_mac_f32_e32 v0, 0xcf800000, v1
	v_cvt_u32_f32_e32 v1, v1
	v_cvt_u32_f32_e32 v0, v0
	v_readfirstlane_b32 s75, v1
	v_readfirstlane_b32 s26, v0
	s_mul_i32 s27, s9, s75
	s_mul_hi_u32 s77, s9, s26
	s_mul_i32 s76, s45, s26
	s_add_i32 s27, s77, s27
	s_add_i32 s27, s27, s76
	s_mul_i32 s78, s9, s26
	s_mul_i32 s77, s26, s27
	s_mul_hi_u32 s79, s26, s78
	s_mul_hi_u32 s76, s26, s27
	s_add_u32 s77, s79, s77
	s_addc_u32 s76, 0, s76
	s_mul_hi_u32 s88, s75, s78
	s_mul_i32 s78, s75, s78
	s_add_u32 s77, s77, s78
	s_mul_hi_u32 s79, s75, s27
	s_addc_u32 s76, s76, s88
	s_addc_u32 s77, s79, 0
	s_mul_i32 s27, s75, s27
	s_add_u32 s27, s76, s27
	s_addc_u32 s76, 0, s77
	s_add_u32 s77, s26, s27
	s_cselect_b64 s[26:27], -1, 0
	s_cmp_lg_u64 s[26:27], 0
	s_addc_u32 s75, s75, s76
	s_mul_i32 s26, s9, s75
	s_mul_hi_u32 s27, s9, s77
	s_add_i32 s26, s27, s26
	s_mul_i32 s45, s45, s77
	s_add_i32 s26, s26, s45
	s_mul_i32 s9, s9, s77
	s_mul_hi_u32 s45, s75, s9
	s_mul_i32 s76, s75, s9
	s_mul_i32 s79, s77, s26
	s_mul_hi_u32 s9, s77, s9
	s_mul_hi_u32 s78, s77, s26
	s_add_u32 s9, s9, s79
	s_addc_u32 s78, 0, s78
	s_add_u32 s9, s9, s76
	s_mul_hi_u32 s27, s75, s26
	s_addc_u32 s9, s78, s45
	s_addc_u32 s27, s27, 0
	s_mul_i32 s26, s75, s26
	s_add_u32 s9, s9, s26
	s_addc_u32 s45, 0, s27
	s_add_u32 s9, s77, s9
	s_cselect_b64 s[26:27], -1, 0
	s_cmp_lg_u64 s[26:27], 0
	v_add_co_u32_e32 v0, vcc, v2, v4
	s_addc_u32 s45, s75, s45
	v_xor_b32_e32 v5, v0, v4
	v_addc_co_u32_e32 v2, vcc, v3, v4, vcc
	v_mad_u64_u32 v[0:1], s[26:27], v5, s45, 0
	v_mul_hi_u32 v3, v5, s9
	v_xor_b32_e32 v6, v2, v4
	v_add_co_u32_e32 v7, vcc, v3, v0
	v_addc_co_u32_e32 v8, vcc, 0, v1, vcc
	v_mad_u64_u32 v[0:1], s[26:27], v6, s9, 0
	v_mad_u64_u32 v[2:3], s[26:27], v6, s45, 0
	v_add_co_u32_e32 v0, vcc, v7, v0
	v_addc_co_u32_e32 v0, vcc, v8, v1, vcc
	v_addc_co_u32_e32 v1, vcc, 0, v3, vcc
	v_add_co_u32_e32 v2, vcc, v0, v2
	v_addc_co_u32_e32 v3, vcc, 0, v1, vcc
	v_mul_lo_u32 v7, s43, v2
	v_mul_lo_u32 v8, s42, v3
	v_mad_u64_u32 v[0:1], s[26:27], s42, v2, 0
	v_add3_u32 v1, v1, v8, v7
	v_sub_u32_e32 v7, v6, v1
	v_mov_b32_e32 v8, s43
	v_sub_co_u32_e32 v0, vcc, v5, v0
	v_subb_co_u32_e64 v5, s[26:27], v7, v8, vcc
	v_subrev_co_u32_e64 v7, s[26:27], s42, v0
	v_subbrev_co_u32_e64 v5, s[26:27], 0, v5, s[26:27]
	v_cmp_le_u32_e64 s[26:27], s43, v5
	v_cndmask_b32_e64 v8, 0, -1, s[26:27]
	v_cmp_le_u32_e64 s[26:27], s42, v7
	v_cndmask_b32_e64 v7, 0, -1, s[26:27]
	v_cmp_eq_u32_e64 s[26:27], s43, v5
	v_cndmask_b32_e64 v5, v8, v7, s[26:27]
	v_add_co_u32_e64 v7, s[26:27], 2, v2
	v_subb_co_u32_e32 v1, vcc, v6, v1, vcc
	v_addc_co_u32_e64 v8, s[26:27], 0, v3, s[26:27]
	v_cmp_le_u32_e32 vcc, s43, v1
	v_add_co_u32_e64 v9, s[26:27], 1, v2
	v_cndmask_b32_e64 v6, 0, -1, vcc
	v_cmp_le_u32_e32 vcc, s42, v0
	v_addc_co_u32_e64 v10, s[26:27], 0, v3, s[26:27]
	v_cndmask_b32_e64 v0, 0, -1, vcc
	v_cmp_eq_u32_e32 vcc, s43, v1
	v_cmp_ne_u32_e64 s[26:27], 0, v5
	v_cndmask_b32_e32 v0, v6, v0, vcc
	v_cndmask_b32_e64 v5, v10, v8, s[26:27]
	v_cmp_ne_u32_e32 vcc, 0, v0
	v_cndmask_b32_e64 v1, v9, v7, s[26:27]
	v_cndmask_b32_e32 v0, v3, v5, vcc
	v_cndmask_b32_e32 v1, v2, v1, vcc
	v_xor_b32_e32 v2, s74, v4
	v_xor_b32_e32 v3, v0, v2
	;; [unrolled: 1-line block ×3, first 2 shown]
	v_sub_co_u32_e32 v0, vcc, v0, v2
	v_subb_co_u32_e32 v1, vcc, v3, v2, vcc
                                        ; implicit-def: $vgpr2
.LBB12_50:                              ;   in Loop: Header=BB12_47 Depth=1
	s_andn2_saveexec_b64 s[40:41], s[40:41]
	s_cbranch_execz .LBB12_52
; %bb.51:                               ;   in Loop: Header=BB12_47 Depth=1
	v_cvt_f32_u32_e32 v0, s52
	s_sub_i32 s9, 0, s52
	v_rcp_iflag_f32_e32 v0, v0
	v_mul_f32_e32 v0, 0x4f7ffffe, v0
	v_cvt_u32_f32_e32 v0, v0
	v_mul_lo_u32 v1, s9, v0
	v_mul_hi_u32 v1, v0, v1
	v_add_u32_e32 v0, v0, v1
	v_mul_hi_u32 v0, v2, v0
	v_mul_lo_u32 v1, v0, s52
	v_sub_u32_e32 v1, v2, v1
	v_cmp_le_u32_e32 vcc, s52, v1
	v_subrev_u32_e32 v2, s52, v1
	v_cndmask_b32_e32 v1, v1, v2, vcc
	v_cmp_le_u32_e64 s[26:27], s52, v1
	v_add_u32_e32 v1, 1, v0
	v_cndmask_b32_e32 v0, v0, v1, vcc
	v_add_u32_e32 v1, 1, v0
	v_cndmask_b32_e64 v0, v0, v1, s[26:27]
	buffer_load_dword v1, off, s[0:3], s33 offset:128 ; 4-byte Folded Reload
	buffer_load_dword v2, off, s[0:3], s33 offset:132 ; 4-byte Folded Reload
.LBB12_52:                              ;   in Loop: Header=BB12_47 Depth=1
	s_or_b64 exec, exec, s[40:41]
	v_add_co_u32_e32 v0, vcc, 7, v0
	s_waitcnt vmcnt(0)
	v_addc_co_u32_e32 v1, vcc, 0, v1, vcc
	v_and_b32_e32 v0, -8, v0
	buffer_store_dword v0, off, s[0:3], s33 offset:680 ; 4-byte Folded Spill
	s_nop 0
	buffer_store_dword v1, off, s[0:3], s33 offset:684 ; 4-byte Folded Spill
.LBB12_53:                              ;   in Loop: Header=BB12_47 Depth=1
	s_or_b64 exec, exec, s[28:29]
	buffer_load_dword v4, off, s[0:3], s33 offset:680 ; 4-byte Folded Reload
	buffer_load_dword v5, off, s[0:3], s33 offset:684 ; 4-byte Folded Reload
	s_waitcnt vmcnt(0)
	v_mul_lo_u32 v3, v4, s69
	s_waitcnt vmcnt(0)
	v_mul_lo_u32 v2, v5, s68
	v_mad_u64_u32 v[0:1], s[26:27], v4, s68, 0
	v_add3_u32 v1, v1, v3, v2
	buffer_load_dword v2, off, s[0:3], s33 offset:748 ; 4-byte Folded Reload
	buffer_load_dword v3, off, s[0:3], s33 offset:752 ; 4-byte Folded Reload
	;; [unrolled: 1-line block ×4, first 2 shown]
	s_waitcnt vmcnt(0)
	v_add_co_u32_e32 v2, vcc, v6, v2
	s_waitcnt vmcnt(0)
	v_addc_co_u32_e32 v3, vcc, v7, v3, vcc
	buffer_store_dword v2, off, s[0:3], s33 offset:584 ; 4-byte Folded Spill
	s_nop 0
	buffer_store_dword v3, off, s[0:3], s33 offset:588 ; 4-byte Folded Spill
	buffer_load_dword v2, off, s[0:3], s33 offset:672 ; 4-byte Folded Reload
	s_nop 0
	buffer_load_dword v3, off, s[0:3], s33 offset:676 ; 4-byte Folded Reload
	s_waitcnt vmcnt(0)
	v_sub_co_u32_e32 v2, vcc, v2, v0
	s_waitcnt vmcnt(0)
	v_subb_co_u32_e32 v3, vcc, v3, v1, vcc
	v_cmp_lt_i64_e32 vcc, v[4:5], v[2:3]
	v_cndmask_b32_e32 v3, v2, v4, vcc
	v_max_i32_e32 v4, 0, v3
	buffer_store_dword v4, off, s[0:3], s33 offset:664 ; 4-byte Folded Spill
	v_add_u32_e32 v4, 31, v4
	v_lshrrev_b32_e32 v4, 1, v4
	v_and_b32_e32 v4, 0x3ffffff0, v4
	v_max_i32_e32 v4, s70, v4
	buffer_store_dword v4, off, s[0:3], s33 offset:516 ; 4-byte Folded Spill
	s_nop 0
	buffer_store_dword v5, off, s[0:3], s33 offset:520 ; 4-byte Folded Spill
	v_cmp_lt_i32_e32 vcc, 0, v3
	v_mov_b32_e32 v2, 0
	s_and_b64 s[26:27], s[72:73], vcc
	v_mov_b32_e32 v3, 0
	buffer_store_dword v3, off, s[0:3], s33 offset:508 ; 4-byte Folded Spill
	s_nop 0
	buffer_store_dword v4, off, s[0:3], s33 offset:512 ; 4-byte Folded Spill
	s_and_saveexec_b64 s[28:29], s[26:27]
	s_cbranch_execz .LBB12_1292
; %bb.54:                               ;   in Loop: Header=BB12_47 Depth=1
	v_lshlrev_b64 v[0:1], 1, v[0:1]
	s_mov_b32 s45, 1
	s_mov_b64 s[42:43], -1
	v_mov_b32_e32 v2, 0
	s_mov_b64 s[40:41], 0
	buffer_store_dword v2, off, s[0:3], s33 offset:508 ; 4-byte Folded Spill
	s_nop 0
	buffer_store_dword v3, off, s[0:3], s33 offset:512 ; 4-byte Folded Spill
	buffer_store_dword v0, off, s[0:3], s33 offset:712 ; 4-byte Folded Spill
	s_nop 0
	buffer_store_dword v1, off, s[0:3], s33 offset:716 ; 4-byte Folded Spill
	s_branch .LBB12_57
.LBB12_55:                              ;   in Loop: Header=BB12_57 Depth=2
	s_or_b64 exec, exec, s[76:77]
	buffer_load_dword v2, off, s[0:3], s33 offset:256 ; 4-byte Folded Reload
	buffer_load_dword v3, off, s[0:3], s33 offset:260 ; 4-byte Folded Reload
	;; [unrolled: 1-line block ×4, first 2 shown]
	s_waitcnt vmcnt(0)
	v_add_co_u32_e32 v2, vcc, 2, v2
	v_addc_co_u32_e32 v3, vcc, 0, v3, vcc
	buffer_store_dword v2, off, s[0:3], s33 offset:256 ; 4-byte Folded Spill
	s_nop 0
	buffer_store_dword v3, off, s[0:3], s33 offset:260 ; 4-byte Folded Spill
	flat_store_dwordx2 v[0:1], v[2:3]
.LBB12_56:                              ;   in Loop: Header=BB12_57 Depth=2
	s_or_b64 exec, exec, s[26:27]
	buffer_load_dword v0, off, s[0:3], s33 offset:516 ; 4-byte Folded Reload
	buffer_load_dword v1, off, s[0:3], s33 offset:520 ; 4-byte Folded Reload
	;; [unrolled: 1-line block ×4, first 2 shown]
	s_xor_b64 s[26:27], s[42:43], -1
	s_mov_b64 s[42:43], 0
	s_waitcnt vmcnt(0)
	v_mov_b32_e32 v2, v1
	v_add_u32_e32 v2, v0, v2
	buffer_load_dword v0, off, s[0:3], s33 offset:664 ; 4-byte Folded Reload
	v_mov_b32_e32 v1, v2
	buffer_store_dword v1, off, s[0:3], s33 offset:508 ; 4-byte Folded Spill
	s_nop 0
	buffer_store_dword v2, off, s[0:3], s33 offset:512 ; 4-byte Folded Spill
	s_waitcnt vmcnt(0)
	v_cmp_ge_i32_e32 vcc, v2, v0
	s_or_b64 s[26:27], s[26:27], vcc
	s_and_b64 s[26:27], exec, s[26:27]
	s_or_b64 s[40:41], s[26:27], s[40:41]
	v_mov_b32_e32 v2, s45
	s_mov_b32 s45, 2
	s_andn2_b64 exec, exec, s[40:41]
	s_cbranch_execz .LBB12_1291
.LBB12_57:                              ;   Parent Loop BB12_47 Depth=1
                                        ; =>  This Loop Header: Depth=2
                                        ;       Child Loop BB12_65 Depth 3
                                        ;       Child Loop BB12_89 Depth 3
	;; [unrolled: 1-line block ×9, first 2 shown]
	s_and_saveexec_b64 s[26:27], s[4:5]
	s_cbranch_execz .LBB12_59
; %bb.58:                               ;   in Loop: Header=BB12_57 Depth=2
	s_trap 2
	ds_read_b64 v[0:1], v0
	buffer_load_dword v2, off, s[0:3], s33 offset:584 ; 4-byte Folded Reload
	buffer_load_dword v3, off, s[0:3], s33 offset:588 ; 4-byte Folded Reload
	s_waitcnt vmcnt(0)
	v_lshlrev_b64 v[2:3], 1, v[2:3]
	s_waitcnt lgkmcnt(0)
	v_add_co_u32_e32 v0, vcc, v0, v2
	v_addc_co_u32_e32 v1, vcc, v1, v3, vcc
	buffer_load_dword v2, off, s[0:3], s33 offset:712 ; 4-byte Folded Reload
	buffer_load_dword v3, off, s[0:3], s33 offset:716 ; 4-byte Folded Reload
	s_waitcnt vmcnt(1)
	v_add_co_u32_e32 v2, vcc, v0, v2
	s_waitcnt vmcnt(0)
	v_addc_co_u32_e32 v3, vcc, v1, v3, vcc
	buffer_load_dword v0, off, s[0:3], s33 offset:508 ; 4-byte Folded Reload
	buffer_load_dword v1, off, s[0:3], s33 offset:512 ; 4-byte Folded Reload
	s_waitcnt vmcnt(1)
	v_mov_b32_e32 v4, v0
	v_ashrrev_i32_e32 v5, 31, v4
	buffer_store_dword v0, off, s[0:3], s33 offset:508 ; 4-byte Folded Spill
	s_waitcnt vmcnt(1)
	buffer_store_dword v1, off, s[0:3], s33 offset:512 ; 4-byte Folded Spill
	v_lshlrev_b64 v[0:1], 1, v[4:5]
	v_add_co_u32_e32 v0, vcc, v2, v0
	v_addc_co_u32_e32 v1, vcc, v3, v1, vcc
	ds_write_b64 v0, v[0:1]
	buffer_load_dword v0, off, s[0:3], s33 offset:128 ; 4-byte Folded Reload
	buffer_load_dword v1, off, s[0:3], s33 offset:132 ; 4-byte Folded Reload
	s_waitcnt vmcnt(0)
	v_mov_b32_e32 v1, v0
	v_mov_b32_e32 v2, v0
	buffer_store_dword v0, off, s[0:3], s33 offset:128 ; 4-byte Folded Spill
	s_nop 0
	buffer_store_dword v1, off, s[0:3], s33 offset:132 ; 4-byte Folded Spill
	ds_write_b64 v0, v[1:2]
.LBB12_59:                              ;   in Loop: Header=BB12_57 Depth=2
	s_or_b64 exec, exec, s[26:27]
	buffer_load_dword v0, off, s[0:3], s33 offset:664 ; 4-byte Folded Reload
	buffer_load_dword v1, off, s[0:3], s33 offset:508 ; 4-byte Folded Reload
	;; [unrolled: 1-line block ×3, first 2 shown]
	s_waitcnt vmcnt(0)
	v_sub_u32_e32 v0, v0, v1
	buffer_load_dword v1, off, s[0:3], s33 offset:516 ; 4-byte Folded Reload
	buffer_load_dword v2, off, s[0:3], s33 offset:520 ; 4-byte Folded Reload
	s_waitcnt vmcnt(0)
	v_min_i32_e32 v1, v1, v0
	buffer_store_dword v1, off, s[0:3], s33 offset:516 ; 4-byte Folded Spill
	s_waitcnt vmcnt(1)
	buffer_store_dword v2, off, s[0:3], s33 offset:520 ; 4-byte Folded Spill
	buffer_load_dword v0, off, s[0:3], s33 offset:156 ; 4-byte Folded Reload
	s_waitcnt vmcnt(0)
	v_and_b32_e32 v0, 8, v0
	v_cmp_ne_u32_e32 vcc, 0, v0
	s_and_saveexec_b64 s[76:77], vcc
	s_cbranch_execz .LBB12_81
; %bb.60:                               ;   in Loop: Header=BB12_57 Depth=2
	buffer_load_dword v0, off, s[0:3], s33 offset:136 ; 4-byte Folded Reload
	buffer_load_dword v1, off, s[0:3], s33 offset:140 ; 4-byte Folded Reload
	s_waitcnt vmcnt(0)
	v_add_co_u32_e32 v2, vcc, 8, v0
	s_waitcnt vmcnt(0)
	v_addc_co_u32_e32 v3, vcc, 0, v1, vcc
	buffer_load_dword v0, off, s[0:3], s33 offset:256 ; 4-byte Folded Reload
	buffer_load_dword v1, off, s[0:3], s33 offset:260 ; 4-byte Folded Reload
	s_waitcnt vmcnt(0)
	v_add_co_u32_e32 v0, vcc, 2, v0
	s_waitcnt vmcnt(0)
	v_addc_co_u32_e32 v1, vcc, 0, v1, vcc
	v_cmp_lt_u64_e32 vcc, v[2:3], v[0:1]
	s_and_saveexec_b64 s[78:79], vcc
	s_cbranch_execz .LBB12_72
; %bb.61:                               ;   in Loop: Header=BB12_57 Depth=2
	buffer_load_dword v2, off, s[0:3], s33 offset:156 ; 4-byte Folded Reload
	s_mov_b32 s75, 0
	s_mov_b64 s[88:89], 0
                                        ; implicit-def: $sgpr90_sgpr91
                                        ; implicit-def: $sgpr92_sgpr93
                                        ; implicit-def: $sgpr94_sgpr95
	s_waitcnt vmcnt(0)
	v_and_b32_e32 v2, 64, v2
	v_cmp_eq_u32_e32 vcc, 0, v2
	s_branch .LBB12_65
.LBB12_62:                              ;   in Loop: Header=BB12_65 Depth=3
	buffer_load_dword v3, off, s[0:3], s33 offset:136 ; 4-byte Folded Reload
	buffer_load_dword v4, off, s[0:3], s33 offset:140 ; 4-byte Folded Reload
	s_or_b64 s[36:37], s[36:37], exec
	s_waitcnt vmcnt(1)
	v_add_co_u32_e64 v3, s[26:27], 8, v3
	s_waitcnt vmcnt(0)
	v_addc_co_u32_e64 v4, s[26:27], 0, v4, s[26:27]
	v_cmp_ge_u64_e64 s[26:27], v[3:4], v[0:1]
	s_orn2_b64 s[34:35], s[26:27], exec
.LBB12_63:                              ;   in Loop: Header=BB12_65 Depth=3
	s_or_b64 exec, exec, s[48:49]
	s_andn2_b64 s[26:27], s[94:95], exec
	s_and_b64 s[94:95], s[36:37], exec
	s_or_b64 s[94:95], s[26:27], s[94:95]
	s_andn2_b64 s[26:27], s[92:93], exec
	s_and_b64 s[92:93], s[34:35], exec
	s_or_b64 s[92:93], s[26:27], s[92:93]
.LBB12_64:                              ;   in Loop: Header=BB12_65 Depth=3
	s_or_b64 exec, exec, s[30:31]
	s_and_b64 s[26:27], exec, s[92:93]
	s_or_b64 s[88:89], s[26:27], s[88:89]
	s_andn2_b64 s[26:27], s[90:91], exec
	s_and_b64 s[90:91], s[94:95], exec
	s_or_b64 s[90:91], s[26:27], s[90:91]
	s_andn2_b64 exec, exec, s[88:89]
	s_cbranch_execz .LBB12_69
.LBB12_65:                              ;   Parent Loop BB12_47 Depth=1
                                        ;     Parent Loop BB12_57 Depth=2
                                        ; =>    This Inner Loop Header: Depth=3
	s_sleep 1
	buffer_load_dword v2, off, s[0:3], s33 offset:144 ; 4-byte Folded Reload
	buffer_load_dword v3, off, s[0:3], s33 offset:148 ; 4-byte Folded Reload
	s_or_b64 s[94:95], s[94:95], exec
	s_or_b64 s[92:93], s[92:93], exec
	s_waitcnt vmcnt(0)
	flat_load_dwordx2 v[2:3], v[2:3] glc
	s_waitcnt vmcnt(0) lgkmcnt(0)
	buffer_store_dword v2, off, s[0:3], s33 offset:136 ; 4-byte Folded Spill
	s_nop 0
	buffer_store_dword v3, off, s[0:3], s33 offset:140 ; 4-byte Folded Spill
                                        ; implicit-def: $vgpr2
	s_and_saveexec_b64 s[30:31], vcc
	s_cbranch_execz .LBB12_64
; %bb.66:                               ;   in Loop: Header=BB12_65 Depth=3
	s_cmpk_lt_i32 s75, 0x270f
	s_cselect_b64 s[38:39], -1, 0
	s_cmpk_gt_i32 s75, 0x270e
	s_mov_b64 s[34:35], -1
	s_cbranch_scc0 .LBB12_68
; %bb.67:                               ;   in Loop: Header=BB12_65 Depth=3
	s_trap 2
	ds_read_b64 v[2:3], v0
	s_andn2_b64 s[38:39], s[38:39], exec
	s_mov_b32 s75, 0
	s_mov_b64 s[36:37], 0
	s_waitcnt vmcnt(0) lgkmcnt(0)
	flat_load_dword v2, v[2:3] glc
	s_waitcnt vmcnt(0) lgkmcnt(0)
	buffer_wbinvl1_vol
	v_cmp_eq_u32_e64 s[26:27], 0, v2
	s_and_b64 s[26:27], s[26:27], exec
	s_or_b64 s[38:39], s[38:39], s[26:27]
	s_and_saveexec_b64 s[48:49], s[38:39]
	s_cbranch_execz .LBB12_63
	s_branch .LBB12_62
.LBB12_68:                              ;   in Loop: Header=BB12_65 Depth=3
	s_add_i32 s75, s75, 1
	s_mov_b64 s[36:37], -1
                                        ; implicit-def: $vgpr2
	s_and_saveexec_b64 s[48:49], s[38:39]
	s_cbranch_execz .LBB12_63
	s_branch .LBB12_62
.LBB12_69:                              ;   in Loop: Header=BB12_57 Depth=2
	s_or_b64 exec, exec, s[88:89]
	s_xor_b64 s[26:27], s[90:91], -1
	s_and_saveexec_b64 s[88:89], s[26:27]
	s_xor_b64 s[26:27], exec, s[88:89]
	s_cbranch_execz .LBB12_71
; %bb.70:                               ;   in Loop: Header=BB12_57 Depth=2
	ds_write_b32 v0, v2
	s_trap 2
	buffer_load_dword v2, off, s[0:3], s33 offset:156 ; 4-byte Folded Reload
	s_waitcnt vmcnt(0)
	v_or_b32_e32 v2, 64, v2
	buffer_store_dword v2, off, s[0:3], s33 offset:156 ; 4-byte Folded Spill
.LBB12_71:                              ;   in Loop: Header=BB12_57 Depth=2
	s_or_b64 exec, exec, s[26:27]
.LBB12_72:                              ;   in Loop: Header=BB12_57 Depth=2
	s_or_b64 exec, exec, s[78:79]
	;;#ASMSTART
	s_wakeup
	;;#ASMEND
	buffer_load_dword v2, off, s[0:3], s33 offset:156 ; 4-byte Folded Reload
	s_mov_b64 s[26:27], -1
                                        ; implicit-def: $vgpr4_vgpr5
	s_waitcnt vmcnt(0)
	v_and_b32_e32 v2, 0x100, v2
	v_cmp_ne_u32_e32 vcc, 0, v2
	buffer_load_dword v2, off, s[0:3], s33 offset:256 ; 4-byte Folded Reload
	buffer_load_dword v3, off, s[0:3], s33 offset:260 ; 4-byte Folded Reload
	s_waitcnt vmcnt(0)
	v_and_b32_e32 v6, 7, v2
	s_and_saveexec_b64 s[78:79], vcc
	s_cbranch_execz .LBB12_76
; %bb.73:                               ;   in Loop: Header=BB12_57 Depth=2
	buffer_load_dword v2, off, s[0:3], s33 offset:532 ; 4-byte Folded Reload
	buffer_load_dword v3, off, s[0:3], s33 offset:536 ; 4-byte Folded Reload
	;; [unrolled: 1-line block ×6, first 2 shown]
	s_waitcnt vmcnt(0)
	v_mad_u64_u32 v[2:3], s[26:27], v6, 24, v[2:3]
	s_waitcnt vmcnt(1)
	v_mov_b32_e32 v7, v4
	v_ashrrev_i32_e32 v8, 31, v7
	buffer_store_dword v4, off, s[0:3], s33 offset:516 ; 4-byte Folded Spill
	s_waitcnt vmcnt(1)
	buffer_store_dword v5, off, s[0:3], s33 offset:520 ; 4-byte Folded Spill
	v_lshlrev_b64 v[4:5], 1, v[7:8]
	flat_store_dwordx2 v[2:3], v[4:5] offset:8
	flat_load_dword v4, v[2:3]
	s_waitcnt vmcnt(0) lgkmcnt(0)
	v_cmp_ne_u32_e32 vcc, 1, v4
	v_cmp_eq_u32_e64 s[26:27], 1, v4
                                        ; implicit-def: $vgpr4_vgpr5
	s_and_saveexec_b64 s[88:89], s[26:27]
	s_cbranch_execz .LBB12_75
; %bb.74:                               ;   in Loop: Header=BB12_57 Depth=2
	flat_load_dword v2, v[2:3] offset:4 glc
	s_waitcnt vmcnt(0) lgkmcnt(0)
	v_ashrrev_i32_e32 v3, 31, v2
	v_lshrrev_b64 v[4:5], 1, v[2:3]
.LBB12_75:                              ;   in Loop: Header=BB12_57 Depth=2
	s_or_b64 exec, exec, s[88:89]
	s_orn2_b64 s[26:27], vcc, exec
.LBB12_76:                              ;   in Loop: Header=BB12_57 Depth=2
	s_or_b64 exec, exec, s[78:79]
	s_and_saveexec_b64 s[78:79], s[26:27]
	s_cbranch_execz .LBB12_78
; %bb.77:                               ;   in Loop: Header=BB12_57 Depth=2
	buffer_load_dword v2, off, s[0:3], s33 offset:564 ; 4-byte Folded Reload
	s_waitcnt vmcnt(0)
	v_mad_i64_i32 v[4:5], s[26:27], v6, v2, 0
.LBB12_78:                              ;   in Loop: Header=BB12_57 Depth=2
	s_or_b64 exec, exec, s[78:79]
	s_waitcnt vmcnt(0)
	v_lshlrev_b64 v[2:3], 1, v[4:5]
	buffer_load_dword v4, off, s[0:3], s33 offset:524 ; 4-byte Folded Reload
	buffer_load_dword v5, off, s[0:3], s33 offset:528 ; 4-byte Folded Reload
	s_waitcnt vmcnt(0)
	v_add_co_u32_e32 v2, vcc, v4, v2
	s_waitcnt vmcnt(0)
	v_addc_co_u32_e32 v3, vcc, v5, v3, vcc
	ds_write_b64 v0, v[2:3] offset:784
	buffer_load_dword v2, off, s[0:3], s33 offset:156 ; 4-byte Folded Reload
	s_waitcnt vmcnt(0)
	v_and_b32_e32 v2, 0x2000, v2
	v_cmp_ne_u32_e32 vcc, 0, v2
	s_and_saveexec_b64 s[26:27], vcc
	s_cbranch_execz .LBB12_80
; %bb.79:                               ;   in Loop: Header=BB12_57 Depth=2
	ds_read_b64 v[2:3], v0 offset:872
	s_waitcnt lgkmcnt(0)
	v_add_co_u32_e32 v2, vcc, 1, v2
	v_addc_co_u32_e32 v3, vcc, 0, v3, vcc
	ds_write_b64 v0, v[2:3] offset:872
.LBB12_80:                              ;   in Loop: Header=BB12_57 Depth=2
	s_or_b64 exec, exec, s[26:27]
	buffer_store_dword v0, off, s[0:3], s33 offset:256 ; 4-byte Folded Spill
	s_nop 0
	buffer_store_dword v1, off, s[0:3], s33 offset:260 ; 4-byte Folded Spill
.LBB12_81:                              ;   in Loop: Header=BB12_57 Depth=2
	s_or_b64 exec, exec, s[76:77]
	s_and_saveexec_b64 s[26:27], s[10:11]
	s_cbranch_execz .LBB12_100
; %bb.82:                               ;   in Loop: Header=BB12_57 Depth=2
	s_and_saveexec_b64 s[76:77], s[56:57]
	s_xor_b64 s[76:77], exec, s[76:77]
	s_cbranch_execz .LBB12_97
; %bb.83:                               ;   in Loop: Header=BB12_57 Depth=2
	s_and_saveexec_b64 s[78:79], s[16:17]
	s_cbranch_execz .LBB12_96
; %bb.84:                               ;   in Loop: Header=BB12_57 Depth=2
	s_mov_b64 s[90:91], exec
	v_mbcnt_lo_u32_b32 v0, s90, 0
	v_mbcnt_hi_u32_b32 v0, s91, v0
	v_cmp_eq_u32_e32 vcc, 0, v0
	s_waitcnt vmcnt(0) lgkmcnt(0)
	buffer_wbinvl1_vol
	s_and_saveexec_b64 s[88:89], vcc
	s_cbranch_execz .LBB12_86
; %bb.85:                               ;   in Loop: Header=BB12_57 Depth=2
	buffer_load_dword v1, off, s[0:3], s33 offset:128 ; 4-byte Folded Reload
	buffer_load_dword v2, off, s[0:3], s33 offset:132 ; 4-byte Folded Reload
	s_bcnt1_i32_b64 s9, s[90:91]
	v_mov_b32_e32 v0, s9
	s_waitcnt vmcnt(1)
	ds_add_u64 v0, v[0:1]
	s_trap 2
.LBB12_86:                              ;   in Loop: Header=BB12_57 Depth=2
	s_or_b64 exec, exec, s[88:89]
	s_trap 2
	ds_read_b64 v[0:1], v0
	s_waitcnt lgkmcnt(0)
	buffer_load_dword v2, off, s[0:3], s33 offset:152 ; 4-byte Folded Reload
	buffer_load_dword v3, off, s[0:3], s33 offset:160 ; 4-byte Folded Reload
	;; [unrolled: 1-line block ×3, first 2 shown]
	s_waitcnt vmcnt(1)
	v_add_co_u32_e32 v3, vcc, v3, v2
	s_waitcnt vmcnt(0)
	v_addc_co_u32_e32 v4, vcc, 0, v4, vcc
	buffer_store_dword v3, off, s[0:3], s33 offset:160 ; 4-byte Folded Spill
	s_nop 0
	buffer_store_dword v4, off, s[0:3], s33 offset:164 ; 4-byte Folded Spill
	v_cmp_lt_u64_e32 vcc, v[0:1], v[3:4]
	s_and_saveexec_b64 s[88:89], vcc
	s_cbranch_execz .LBB12_95
; %bb.87:                               ;   in Loop: Header=BB12_57 Depth=2
	s_mov_b32 s9, 0
	s_mov_b64 s[90:91], 0
                                        ; implicit-def: $sgpr92_sgpr93
                                        ; implicit-def: $sgpr94_sgpr95
	s_branch .LBB12_89
.LBB12_88:                              ;   in Loop: Header=BB12_89 Depth=3
	s_or_b64 exec, exec, s[34:35]
	s_and_b64 vcc, exec, vcc
	s_or_b64 s[90:91], vcc, s[90:91]
	s_andn2_b64 s[92:93], s[92:93], exec
	s_and_b64 vcc, s[94:95], exec
	s_or_b64 s[92:93], s[92:93], vcc
	s_andn2_b64 exec, exec, s[90:91]
	s_cbranch_execz .LBB12_93
.LBB12_89:                              ;   Parent Loop BB12_47 Depth=1
                                        ;     Parent Loop BB12_57 Depth=2
                                        ; =>    This Inner Loop Header: Depth=3
	s_add_i32 s9, s9, 1
	s_cmpk_lg_i32 s9, 0x2710
	s_cselect_b64 s[30:31], -1, 0
	s_and_b64 vcc, exec, s[30:31]
	s_cbranch_vccz .LBB12_91
; %bb.90:                               ;   in Loop: Header=BB12_89 Depth=3
	s_mov_b64 vcc, -1
	s_or_b64 s[94:95], s[94:95], exec
	s_and_saveexec_b64 s[34:35], s[30:31]
	s_cbranch_execz .LBB12_88
	s_branch .LBB12_92
.LBB12_91:                              ;   in Loop: Header=BB12_89 Depth=3
	s_trap 2
	ds_read_b64 v[0:1], v0
	s_andn2_b64 s[30:31], s[30:31], exec
	s_mov_b32 s9, 0
	s_waitcnt vmcnt(0) lgkmcnt(0)
	flat_load_dword v0, v[0:1] glc
	s_waitcnt vmcnt(0) lgkmcnt(0)
	buffer_wbinvl1_vol
	v_cmp_eq_u32_e32 vcc, 0, v0
	s_and_b64 vcc, vcc, exec
	s_or_b64 s[30:31], s[30:31], vcc
	s_mov_b64 vcc, -1
	s_or_b64 s[94:95], s[94:95], exec
	s_and_saveexec_b64 s[34:35], s[30:31]
	s_cbranch_execz .LBB12_88
.LBB12_92:                              ;   in Loop: Header=BB12_89 Depth=3
	s_sleep 1
	s_trap 2
	ds_read_b64 v[0:1], v0
	s_waitcnt lgkmcnt(0)
	buffer_load_dword v2, off, s[0:3], s33 offset:160 ; 4-byte Folded Reload
	buffer_load_dword v3, off, s[0:3], s33 offset:164 ; 4-byte Folded Reload
	s_andn2_b64 s[94:95], s[94:95], exec
	s_waitcnt vmcnt(0)
	v_cmp_ge_u64_e32 vcc, v[0:1], v[2:3]
	s_orn2_b64 vcc, vcc, exec
	s_branch .LBB12_88
.LBB12_93:                              ;   in Loop: Header=BB12_57 Depth=2
	s_or_b64 exec, exec, s[90:91]
	s_and_saveexec_b64 s[90:91], s[92:93]
	s_xor_b64 s[90:91], exec, s[90:91]
	s_cbranch_execz .LBB12_95
; %bb.94:                               ;   in Loop: Header=BB12_57 Depth=2
	v_mov_b32_e32 v0, 1
	ds_write_b32 v0, v0
	s_trap 2
.LBB12_95:                              ;   in Loop: Header=BB12_57 Depth=2
	s_or_b64 exec, exec, s[88:89]
	;;#ASMSTART
	s_wakeup
	;;#ASMEND
.LBB12_96:                              ;   in Loop: Header=BB12_57 Depth=2
	s_or_b64 exec, exec, s[78:79]
.LBB12_97:                              ;   in Loop: Header=BB12_57 Depth=2
	s_andn2_saveexec_b64 s[76:77], s[76:77]
	s_cbranch_execz .LBB12_99
; %bb.98:                               ;   in Loop: Header=BB12_57 Depth=2
	s_waitcnt vmcnt(0) lgkmcnt(0)
	buffer_wbinvl1_vol
	s_barrier
.LBB12_99:                              ;   in Loop: Header=BB12_57 Depth=2
	s_or_b64 exec, exec, s[76:77]
.LBB12_100:                             ;   in Loop: Header=BB12_57 Depth=2
	s_or_b64 exec, exec, s[26:27]
	s_trap 2
	buffer_load_dword v1, off, s[0:3], s33 offset:156 ; 4-byte Folded Reload
	ds_read_b32 v0, v0
	s_xor_b64 s[26:27], s[6:7], -1
	s_waitcnt vmcnt(0)
	v_and_b32_e32 v1, 0x4000, v1
	v_cmp_ne_u32_e32 vcc, 0, v1
	s_and_b64 s[76:77], s[26:27], vcc
	s_and_saveexec_b64 s[26:27], s[76:77]
	s_cbranch_execz .LBB12_119
; %bb.101:                              ;   in Loop: Header=BB12_57 Depth=2
	s_and_saveexec_b64 s[76:77], s[56:57]
	s_xor_b64 s[76:77], exec, s[76:77]
	s_cbranch_execz .LBB12_116
; %bb.102:                              ;   in Loop: Header=BB12_57 Depth=2
	s_and_saveexec_b64 s[78:79], s[16:17]
	s_cbranch_execz .LBB12_115
; %bb.103:                              ;   in Loop: Header=BB12_57 Depth=2
	s_mov_b64 s[90:91], exec
	v_mbcnt_lo_u32_b32 v1, s90, 0
	v_mbcnt_hi_u32_b32 v1, s91, v1
	v_cmp_eq_u32_e32 vcc, 0, v1
	s_waitcnt lgkmcnt(0)
	buffer_wbinvl1_vol
	s_and_saveexec_b64 s[88:89], vcc
	s_cbranch_execz .LBB12_105
; %bb.104:                              ;   in Loop: Header=BB12_57 Depth=2
	buffer_load_dword v2, off, s[0:3], s33 offset:128 ; 4-byte Folded Reload
	buffer_load_dword v3, off, s[0:3], s33 offset:132 ; 4-byte Folded Reload
	s_bcnt1_i32_b64 s9, s[90:91]
	v_mov_b32_e32 v1, s9
	s_waitcnt vmcnt(1)
	ds_add_u64 v0, v[1:2]
	s_trap 2
.LBB12_105:                             ;   in Loop: Header=BB12_57 Depth=2
	s_or_b64 exec, exec, s[88:89]
	s_trap 2
	ds_read_b64 v[1:2], v0
	s_waitcnt lgkmcnt(0)
	buffer_load_dword v3, off, s[0:3], s33 offset:152 ; 4-byte Folded Reload
	buffer_load_dword v4, off, s[0:3], s33 offset:160 ; 4-byte Folded Reload
	;; [unrolled: 1-line block ×3, first 2 shown]
	s_waitcnt vmcnt(1)
	v_add_co_u32_e32 v4, vcc, v4, v3
	s_waitcnt vmcnt(0)
	v_addc_co_u32_e32 v5, vcc, 0, v5, vcc
	buffer_store_dword v4, off, s[0:3], s33 offset:160 ; 4-byte Folded Spill
	s_nop 0
	buffer_store_dword v5, off, s[0:3], s33 offset:164 ; 4-byte Folded Spill
	v_cmp_lt_u64_e32 vcc, v[1:2], v[4:5]
	s_and_saveexec_b64 s[88:89], vcc
	s_cbranch_execz .LBB12_114
; %bb.106:                              ;   in Loop: Header=BB12_57 Depth=2
	s_mov_b32 s9, 0
	s_mov_b64 s[90:91], 0
                                        ; implicit-def: $sgpr92_sgpr93
                                        ; implicit-def: $sgpr94_sgpr95
	s_branch .LBB12_108
.LBB12_107:                             ;   in Loop: Header=BB12_108 Depth=3
	s_or_b64 exec, exec, s[34:35]
	s_and_b64 vcc, exec, vcc
	s_or_b64 s[90:91], vcc, s[90:91]
	s_andn2_b64 s[92:93], s[92:93], exec
	s_and_b64 vcc, s[94:95], exec
	s_or_b64 s[92:93], s[92:93], vcc
	s_andn2_b64 exec, exec, s[90:91]
	s_cbranch_execz .LBB12_112
.LBB12_108:                             ;   Parent Loop BB12_47 Depth=1
                                        ;     Parent Loop BB12_57 Depth=2
                                        ; =>    This Inner Loop Header: Depth=3
	s_add_i32 s9, s9, 1
	s_cmpk_lg_i32 s9, 0x2710
	s_cselect_b64 s[30:31], -1, 0
	s_and_b64 vcc, exec, s[30:31]
	s_cbranch_vccz .LBB12_110
; %bb.109:                              ;   in Loop: Header=BB12_108 Depth=3
	s_mov_b64 vcc, -1
	s_or_b64 s[94:95], s[94:95], exec
	s_and_saveexec_b64 s[34:35], s[30:31]
	s_cbranch_execz .LBB12_107
	s_branch .LBB12_111
.LBB12_110:                             ;   in Loop: Header=BB12_108 Depth=3
	s_trap 2
	ds_read_b64 v[1:2], v0
	s_andn2_b64 s[30:31], s[30:31], exec
	s_mov_b32 s9, 0
	s_waitcnt vmcnt(0) lgkmcnt(0)
	flat_load_dword v1, v[1:2] glc
	s_waitcnt vmcnt(0) lgkmcnt(0)
	buffer_wbinvl1_vol
	v_cmp_eq_u32_e32 vcc, 0, v1
	s_and_b64 vcc, vcc, exec
	s_or_b64 s[30:31], s[30:31], vcc
	s_mov_b64 vcc, -1
	s_or_b64 s[94:95], s[94:95], exec
	s_and_saveexec_b64 s[34:35], s[30:31]
	s_cbranch_execz .LBB12_107
.LBB12_111:                             ;   in Loop: Header=BB12_108 Depth=3
	s_sleep 1
	s_trap 2
	ds_read_b64 v[1:2], v0
	s_waitcnt lgkmcnt(0)
	buffer_load_dword v3, off, s[0:3], s33 offset:160 ; 4-byte Folded Reload
	buffer_load_dword v4, off, s[0:3], s33 offset:164 ; 4-byte Folded Reload
	s_andn2_b64 s[94:95], s[94:95], exec
	s_waitcnt vmcnt(0)
	v_cmp_ge_u64_e32 vcc, v[1:2], v[3:4]
	s_orn2_b64 vcc, vcc, exec
	s_branch .LBB12_107
.LBB12_112:                             ;   in Loop: Header=BB12_57 Depth=2
	s_or_b64 exec, exec, s[90:91]
	s_and_saveexec_b64 s[90:91], s[92:93]
	s_xor_b64 s[90:91], exec, s[90:91]
	s_cbranch_execz .LBB12_114
; %bb.113:                              ;   in Loop: Header=BB12_57 Depth=2
	v_mov_b32_e32 v1, 1
	ds_write_b32 v0, v1
	s_trap 2
.LBB12_114:                             ;   in Loop: Header=BB12_57 Depth=2
	s_or_b64 exec, exec, s[88:89]
	;;#ASMSTART
	s_wakeup
	;;#ASMEND
.LBB12_115:                             ;   in Loop: Header=BB12_57 Depth=2
	s_or_b64 exec, exec, s[78:79]
.LBB12_116:                             ;   in Loop: Header=BB12_57 Depth=2
	s_andn2_saveexec_b64 s[76:77], s[76:77]
	s_cbranch_execz .LBB12_118
; %bb.117:                              ;   in Loop: Header=BB12_57 Depth=2
	s_waitcnt vmcnt(0) lgkmcnt(0)
	buffer_wbinvl1_vol
	s_barrier
.LBB12_118:                             ;   in Loop: Header=BB12_57 Depth=2
	s_or_b64 exec, exec, s[76:77]
.LBB12_119:                             ;   in Loop: Header=BB12_57 Depth=2
	s_or_b64 exec, exec, s[26:27]
	s_trap 2
	s_waitcnt lgkmcnt(0)
	ds_read_b64 v[1:2], v0
	s_waitcnt lgkmcnt(0)
	v_cmp_eq_u64_e32 vcc, 0, v[1:2]
	s_cbranch_vccnz .LBB12_127
; %bb.120:                              ;   in Loop: Header=BB12_57 Depth=2
	buffer_store_dword v1, off, s[0:3], s33 offset:700 ; 4-byte Folded Spill
	s_nop 0
	buffer_store_dword v2, off, s[0:3], s33 offset:704 ; 4-byte Folded Spill
	s_trap 2
	ds_read_b64 v[1:2], v0
	s_waitcnt lgkmcnt(0)
	buffer_store_dword v1, off, s[0:3], s33 offset:692 ; 4-byte Folded Spill
	s_nop 0
	buffer_store_dword v2, off, s[0:3], s33 offset:696 ; 4-byte Folded Spill
	v_cmp_eq_u64_e32 vcc, 0, v[1:2]
	s_cbranch_vccnz .LBB12_127
; %bb.121:                              ;   in Loop: Header=BB12_57 Depth=2
	s_mov_b64 s[76:77], -1
	s_and_saveexec_b64 s[26:27], s[18:19]
	s_cbranch_execz .LBB12_123
; %bb.122:                              ;   in Loop: Header=BB12_57 Depth=2
	ds_read_b32 v1, v0 offset:720
	s_waitcnt lgkmcnt(0)
	v_and_b32_e32 v1, 15, v1
	v_cmp_eq_u32_e32 vcc, 0, v1
	s_orn2_b64 s[76:77], vcc, exec
.LBB12_123:                             ;   in Loop: Header=BB12_57 Depth=2
	s_or_b64 exec, exec, s[26:27]
	s_and_saveexec_b64 s[26:27], s[20:21]
	s_cbranch_execz .LBB12_125
; %bb.124:                              ;   in Loop: Header=BB12_57 Depth=2
	ds_read_b32 v1, v0 offset:784
	s_waitcnt lgkmcnt(0)
	v_and_b32_e32 v1, 15, v1
	v_cmp_eq_u32_e32 vcc, 0, v1
	s_and_b64 s[78:79], s[76:77], vcc
	s_andn2_b64 s[76:77], s[76:77], exec
	s_and_b64 s[78:79], s[78:79], exec
	s_or_b64 s[76:77], s[76:77], s[78:79]
.LBB12_125:                             ;   in Loop: Header=BB12_57 Depth=2
	s_or_b64 exec, exec, s[26:27]
	s_xor_b64 s[76:77], s[76:77], -1
	v_cmp_eq_u32_e64 s[26:27], 0, v0
	v_cndmask_b32_e64 v0, 0, 1, s[76:77]
	s_mov_b64 s[78:79], -1
	v_cmp_ne_u32_e32 vcc, 0, v0
	s_cbranch_vccz .LBB12_128
; %bb.126:                              ;   in Loop: Header=BB12_57 Depth=2
	s_mov_b64 s[78:79], 0
	s_mov_b64 s[76:77], -1
	s_branch .LBB12_129
.LBB12_127:                             ;   in Loop: Header=BB12_57 Depth=2
	s_mov_b64 s[26:27], 0
	s_and_saveexec_b64 s[76:77], s[10:11]
	s_cbranch_execnz .LBB12_1247
	s_branch .LBB12_1265
.LBB12_128:                             ;   in Loop: Header=BB12_57 Depth=2
	s_mov_b64 s[76:77], 0
.LBB12_129:                             ;   in Loop: Header=BB12_57 Depth=2
	buffer_load_dword v0, off, s[0:3], s33 offset:516 ; 4-byte Folded Reload
	buffer_load_dword v1, off, s[0:3], s33 offset:520 ; 4-byte Folded Reload
	s_andn2_b64 vcc, exec, s[78:79]
	v_mov_b32_e32 v4, 0
	s_waitcnt vmcnt(1)
	v_cndmask_b32_e64 v0, 0, v0, s[26:27]
	s_waitcnt vmcnt(0)
	v_lshlrev_b32_e32 v1, 1, v0
	buffer_store_dword v0, off, s[0:3], s33 offset:708 ; 4-byte Folded Spill
	buffer_store_dword v1, off, s[0:3], s33 offset:688 ; 4-byte Folded Spill
	s_cbranch_vccnz .LBB12_649
; %bb.130:                              ;   in Loop: Header=BB12_57 Depth=2
	v_ashrrev_i32_e32 v0, 31, v1
	v_lshrrev_b32_e32 v0, 19, v0
	v_add_u32_e32 v0, v1, v0
	v_ashrrev_i32_e32 v1, 13, v0
	buffer_load_dword v0, off, s[0:3], s33 offset:600 ; 4-byte Folded Reload
	s_mov_b64 s[78:79], 0
	buffer_store_dword v1, off, s[0:3], s33 offset:720 ; 4-byte Folded Spill
                                        ; implicit-def: $vgpr28_vgpr29
                                        ; implicit-def: $vgpr44_vgpr45
	s_waitcnt vmcnt(1)
	v_sub_u32_e32 v3, v1, v0
	buffer_load_dword v0, off, s[0:3], s33 offset:668 ; 4-byte Folded Reload
	buffer_load_dword v1, off, s[0:3], s33 offset:692 ; 4-byte Folded Reload
	;; [unrolled: 1-line block ×3, first 2 shown]
	s_waitcnt vmcnt(1)
	v_add_co_u32_e32 v14, vcc, v1, v0
	s_waitcnt vmcnt(0)
	v_addc_co_u32_e32 v15, vcc, 0, v2, vcc
	v_cmp_lt_i32_e32 vcc, 0, v3
                                        ; implicit-def: $vgpr0_vgpr1
	buffer_store_dword v3, off, s[0:3], s33 offset:316 ; 4-byte Folded Spill
	buffer_store_dword v0, off, s[0:3], s33 offset:284 ; 4-byte Folded Spill
	s_nop 0
	buffer_store_dword v1, off, s[0:3], s33 offset:288 ; 4-byte Folded Spill
	buffer_store_dword v2, off, s[0:3], s33 offset:292 ; 4-byte Folded Spill
	;; [unrolled: 1-line block ×3, first 2 shown]
                                        ; implicit-def: $vgpr48_vgpr49
                                        ; implicit-def: $vgpr0_vgpr1
	buffer_store_dword v0, off, s[0:3], s33 offset:240 ; 4-byte Folded Spill
	s_nop 0
	buffer_store_dword v1, off, s[0:3], s33 offset:244 ; 4-byte Folded Spill
	buffer_store_dword v2, off, s[0:3], s33 offset:248 ; 4-byte Folded Spill
	buffer_store_dword v3, off, s[0:3], s33 offset:252 ; 4-byte Folded Spill
                                        ; implicit-def: $vgpr0_vgpr1
	buffer_store_dword v0, off, s[0:3], s33 offset:492 ; 4-byte Folded Spill
	s_nop 0
	buffer_store_dword v1, off, s[0:3], s33 offset:496 ; 4-byte Folded Spill
	buffer_store_dword v2, off, s[0:3], s33 offset:500 ; 4-byte Folded Spill
	buffer_store_dword v3, off, s[0:3], s33 offset:504 ; 4-byte Folded Spill
	;; [unrolled: 6-line block ×4, first 2 shown]
	s_and_saveexec_b64 s[26:27], vcc
	s_cbranch_execz .LBB12_651
; %bb.131:                              ;   in Loop: Header=BB12_57 Depth=2
	s_trap 2
	ds_read_b32 v2, v0
	buffer_load_dword v0, off, s[0:3], s33 offset:668 ; 4-byte Folded Reload
	buffer_load_dword v3, off, s[0:3], s33 offset:700 ; 4-byte Folded Reload
	;; [unrolled: 1-line block ×3, first 2 shown]
	s_mov_b64 s[90:91], 0
                                        ; implicit-def: $sgpr88_sgpr89
                                        ; implicit-def: $vgpr28_vgpr29
                                        ; implicit-def: $vgpr44_vgpr45
	s_waitcnt lgkmcnt(0)
	v_lshlrev_b32_e32 v61, 16, v2
	s_waitcnt vmcnt(1)
	v_add_co_u32_e32 v0, vcc, v3, v0
	s_waitcnt vmcnt(0)
	v_addc_co_u32_e32 v1, vcc, 0, v4, vcc
                                        ; implicit-def: $vgpr2_vgpr3
	buffer_store_dword v2, off, s[0:3], s33 offset:284 ; 4-byte Folded Spill
	s_nop 0
	buffer_store_dword v3, off, s[0:3], s33 offset:288 ; 4-byte Folded Spill
	buffer_store_dword v4, off, s[0:3], s33 offset:292 ; 4-byte Folded Spill
	;; [unrolled: 1-line block ×3, first 2 shown]
                                        ; implicit-def: $vgpr48_vgpr49
                                        ; implicit-def: $vgpr2_vgpr3
	buffer_store_dword v2, off, s[0:3], s33 offset:240 ; 4-byte Folded Spill
	s_nop 0
	buffer_store_dword v3, off, s[0:3], s33 offset:244 ; 4-byte Folded Spill
	buffer_store_dword v4, off, s[0:3], s33 offset:248 ; 4-byte Folded Spill
	buffer_store_dword v5, off, s[0:3], s33 offset:252 ; 4-byte Folded Spill
                                        ; implicit-def: $vgpr2_vgpr3
	buffer_store_dword v2, off, s[0:3], s33 offset:492 ; 4-byte Folded Spill
	s_nop 0
	buffer_store_dword v3, off, s[0:3], s33 offset:496 ; 4-byte Folded Spill
	buffer_store_dword v4, off, s[0:3], s33 offset:500 ; 4-byte Folded Spill
	buffer_store_dword v5, off, s[0:3], s33 offset:504 ; 4-byte Folded Spill
	;; [unrolled: 6-line block ×4, first 2 shown]
	s_branch .LBB12_133
.LBB12_132:                             ;   in Loop: Header=BB12_133 Depth=3
	s_or_b64 exec, exec, s[92:93]
	v_lshrrev_b32_e32 v5, 16, v5
	v_and_or_b32 v34, v36, s47, v5
	v_lshrrev_b32_e32 v5, 16, v56
	v_lshrrev_b32_e32 v3, 16, v3
	;; [unrolled: 1-line block ×3, first 2 shown]
	v_and_or_b32 v36, v38, s47, v5
	v_lshrrev_b32_e32 v5, 16, v16
	v_and_or_b32 v52, v52, s47, v3
	v_lshrrev_b32_e32 v3, 16, v4
	v_and_or_b32 v35, v37, s47, v11
	v_and_or_b32 v37, v18, s47, v5
	v_lshrrev_b32_e32 v5, 16, v12
	v_and_or_b32 v54, v54, s47, v3
	v_lshrrev_b32_e32 v3, 16, v7
	v_and_or_b32 v53, v53, s47, v5
	v_and_or_b32 v55, v55, s47, v3
	v_lshrrev_b32_e32 v3, 16, v60
	v_lshrrev_b32_e32 v5, 16, v10
	;; [unrolled: 1-line block ×3, first 2 shown]
	v_and_or_b32 v4, v41, s47, v3
	v_and_or_b32 v3, v40, s47, v5
	;; [unrolled: 1-line block ×3, first 2 shown]
	v_lshrrev_b32_e32 v2, 16, v6
	v_and_or_b32 v6, v43, s47, v2
	v_lshrrev_b32_e32 v2, 16, v8
	buffer_load_dword v7, off, s[0:3], s33 offset:480 ; 4-byte Folded Reload
	v_and_or_b32 v11, v57, s47, v2
	buffer_load_dword v2, off, s[0:3], s33 offset:488 ; 4-byte Folded Reload
	buffer_load_dword v8, off, s[0:3], s33 offset:460 ; 4-byte Folded Reload
	s_waitcnt vmcnt(2)
	v_lshrrev_b32_e32 v7, 16, v7
	s_waitcnt vmcnt(1)
	v_and_or_b32 v10, v2, s47, v7
	v_lshrrev_b32_e32 v2, 16, v13
	v_and_or_b32 v12, v58, s47, v2
	v_lshrrev_b32_e32 v2, 16, v9
	v_and_or_b32 v13, v59, s47, v2
	buffer_load_dword v2, off, s[0:3], s33 offset:456 ; 4-byte Folded Reload
	v_lshrrev_b32_e32 v7, 16, v39
	s_waitcnt vmcnt(0)
	v_lshrrev_b32_e32 v2, 16, v2
	v_and_or_b32 v39, v8, s47, v2
	buffer_load_dword v2, off, s[0:3], s33 offset:452 ; 4-byte Folded Reload
	s_waitcnt vmcnt(0)
	v_and_or_b32 v38, v2, s47, v7
	buffer_load_dword v2, off, s[0:3], s33 offset:464 ; 4-byte Folded Reload
	buffer_load_dword v7, off, s[0:3], s33 offset:468 ; 4-byte Folded Reload
	s_waitcnt vmcnt(1)
	v_lshrrev_b32_e32 v2, 16, v2
	s_waitcnt vmcnt(0)
	v_and_or_b32 v40, v7, s47, v2
	buffer_load_dword v2, off, s[0:3], s33 offset:472 ; 4-byte Folded Reload
	buffer_load_dword v7, off, s[0:3], s33 offset:476 ; 4-byte Folded Reload
	s_waitcnt vmcnt(1)
	v_lshrrev_b32_e32 v2, 16, v2
	;; [unrolled: 6-line block ×10, first 2 shown]
	s_waitcnt vmcnt(0)
	v_and_or_b32 v27, v7, s47, v2
	v_lshrrev_b32_e32 v2, 16, v32
	v_and_or_b32 v18, v20, s47, v2
	v_lshrrev_b32_e32 v2, 16, v17
	;; [unrolled: 2-line block ×3, first 2 shown]
	v_add_co_u32_e32 v7, vcc, s81, v14
	v_and_or_b32 v19, v22, s47, v2
	v_lshrrev_b32_e32 v2, 16, v23
	v_addc_co_u32_e32 v8, vcc, 0, v15, vcc
	v_and_or_b32 v20, v33, s47, v2
	global_store_dwordx4 v[14:15], v[24:27], off glc slc
	global_store_dwordx4 v[14:15], v[56:59], off offset:1024 glc slc
	global_store_dwordx4 v[14:15], v[38:41], off offset:2048 glc slc
	;; [unrolled: 1-line block ×3, first 2 shown]
	global_store_dwordx4 v[7:8], v[3:6], off glc slc
	global_store_dwordx4 v[7:8], v[52:55], off offset:1024 glc slc
	global_store_dwordx4 v[7:8], v[34:37], off offset:2048 glc slc
	;; [unrolled: 1-line block ×3, first 2 shown]
	buffer_load_dword v3, off, s[0:3], s33 offset:568 ; 4-byte Folded Reload
	s_nop 0
	buffer_load_dword v4, off, s[0:3], s33 offset:572 ; 4-byte Folded Reload
	s_waitcnt vmcnt(1)
	v_cndmask_b32_e64 v3, 0, v3, s[90:91]
	s_waitcnt vmcnt(0)
	v_cndmask_b32_e64 v2, 0, v4, s[90:91]
	v_add_co_u32_e32 v0, vcc, v0, v3
	v_addc_co_u32_e32 v1, vcc, v1, v2, vcc
	buffer_load_dword v2, off, s[0:3], s33 offset:432 ; 4-byte Folded Reload
	buffer_load_dword v4, off, s[0:3], s33 offset:428 ; 4-byte Folded Reload
	v_mov_b32_e32 v3, 0x2000
	s_waitcnt vmcnt(1)
	v_cndmask_b32_e64 v2, 0, v2, s[90:91]
	s_waitcnt vmcnt(0)
	v_cndmask_b32_e64 v3, v3, v4, s[90:91]
	v_add_co_u32_e32 v14, vcc, v14, v3
	v_addc_co_u32_e32 v15, vcc, v15, v2, vcc
	buffer_load_dword v2, off, s[0:3], s33 offset:152 ; 4-byte Folded Reload
	buffer_load_dword v3, off, s[0:3], s33 offset:316 ; 4-byte Folded Reload
	s_waitcnt vmcnt(1)
	v_cndmask_b32_e64 v2, 0, v2, s[90:91]
	s_waitcnt vmcnt(0)
	v_sub_u32_e32 v2, v3, v2
	v_cmp_gt_i32_e32 vcc, 1, v2
	s_or_b64 s[78:79], vcc, s[78:79]
	s_andn2_b64 s[88:89], s[88:89], exec
	s_and_b64 s[92:93], s[90:91], exec
	s_or_b64 s[88:89], s[88:89], s[92:93]
	buffer_store_dword v2, off, s[0:3], s33 offset:316 ; 4-byte Folded Spill
	s_andn2_b64 exec, exec, s[78:79]
	s_cbranch_execz .LBB12_650
.LBB12_133:                             ;   Parent Loop BB12_47 Depth=1
                                        ;     Parent Loop BB12_57 Depth=2
                                        ; =>    This Inner Loop Header: Depth=3
	v_add_co_u32_e32 v16, vcc, 0x1000, v0
	v_addc_co_u32_e32 v17, vcc, 0, v1, vcc
	global_load_dwordx4 v[10:13], v[0:1], off glc slc
	global_load_dwordx4 v[6:9], v[0:1], off offset:1024 glc slc
	global_load_dwordx4 v[2:5], v[0:1], off offset:2048 glc slc
	;; [unrolled: 1-line block ×3, first 2 shown]
	global_load_dwordx4 v[40:43], v[16:17], off glc slc
	global_load_dwordx4 v[18:21], v[16:17], off offset:1024 glc slc
	s_waitcnt vmcnt(0)
	buffer_store_dword v18, off, s[0:3], s33 offset:184 ; 4-byte Folded Spill
	s_nop 0
	buffer_store_dword v19, off, s[0:3], s33 offset:188 ; 4-byte Folded Spill
	buffer_store_dword v20, off, s[0:3], s33 offset:192 ; 4-byte Folded Spill
	buffer_store_dword v21, off, s[0:3], s33 offset:196 ; 4-byte Folded Spill
	global_load_dwordx4 v[18:21], v[16:17], off offset:2048 glc slc
	s_waitcnt vmcnt(0)
	buffer_store_dword v18, off, s[0:3], s33 offset:300 ; 4-byte Folded Spill
	s_nop 0
	buffer_store_dword v19, off, s[0:3], s33 offset:304 ; 4-byte Folded Spill
	buffer_store_dword v20, off, s[0:3], s33 offset:308 ; 4-byte Folded Spill
	buffer_store_dword v21, off, s[0:3], s33 offset:312 ; 4-byte Folded Spill
	global_load_dwordx4 v[16:19], v[16:17], off offset:3072 glc slc
	s_waitcnt vmcnt(0)
	buffer_store_dword v16, off, s[0:3], s33 offset:168 ; 4-byte Folded Spill
	s_nop 0
	buffer_store_dword v17, off, s[0:3], s33 offset:172 ; 4-byte Folded Spill
	buffer_store_dword v18, off, s[0:3], s33 offset:176 ; 4-byte Folded Spill
	buffer_store_dword v19, off, s[0:3], s33 offset:180 ; 4-byte Folded Spill
	s_and_saveexec_b64 s[92:93], s[90:91]
	s_cbranch_execz .LBB12_391
; %bb.134:                              ;   in Loop: Header=BB12_133 Depth=3
	v_lshlrev_b32_e32 v16, 16, v28
	v_mul_f32_e32 v16, v61, v16
	v_and_b32_e32 v17, 0x7f800000, v16
	v_cmp_ne_u32_e32 vcc, s97, v17
                                        ; implicit-def: $vgpr17
                                        ; kill: killed $vgpr17
	s_and_saveexec_b64 s[90:91], vcc
	s_xor_b64 s[90:91], exec, s[90:91]
	s_cbranch_execz .LBB12_136
; %bb.135:                              ;   in Loop: Header=BB12_133 Depth=3
	v_bfe_u32 v17, v16, 16, 1
	v_add3_u32 v16, v16, v17, s46
	buffer_store_dword v16, off, s[0:3], s33 offset:324 ; 4-byte Folded Spill
                                        ; implicit-def: $vgpr16
.LBB12_136:                             ;   in Loop: Header=BB12_133 Depth=3
	s_or_saveexec_b64 s[90:91], s[90:91]
	buffer_load_dword v20, off, s[0:3], s33 offset:492 ; 4-byte Folded Reload
	buffer_load_dword v21, off, s[0:3], s33 offset:496 ; 4-byte Folded Reload
	;; [unrolled: 1-line block ×4, first 2 shown]
	s_xor_b64 exec, exec, s[90:91]
	s_cbranch_execz .LBB12_138
; %bb.137:                              ;   in Loop: Header=BB12_133 Depth=3
	buffer_load_dword v18, off, s[0:3], s33 offset:128 ; 4-byte Folded Reload
	buffer_load_dword v19, off, s[0:3], s33 offset:132 ; 4-byte Folded Reload
	v_or_b32_e32 v17, 0x10000, v16
	s_waitcnt vmcnt(1)
	v_cmp_eq_u32_sdwa vcc, v16, v18 src0_sel:WORD_0 src1_sel:DWORD
	v_cndmask_b32_e32 v16, v17, v16, vcc
	buffer_store_dword v16, off, s[0:3], s33 offset:324 ; 4-byte Folded Spill
.LBB12_138:                             ;   in Loop: Header=BB12_133 Depth=3
	s_or_b64 exec, exec, s[90:91]
	v_and_b32_e32 v16, 0xffff0000, v28
	v_mul_f32_e32 v16, v61, v16
	v_and_b32_e32 v17, 0x7f800000, v16
	v_cmp_ne_u32_e32 vcc, s97, v17
                                        ; implicit-def: $vgpr17
                                        ; kill: killed $vgpr17
	s_and_saveexec_b64 s[90:91], vcc
	s_xor_b64 s[90:91], exec, s[90:91]
	s_cbranch_execz .LBB12_140
; %bb.139:                              ;   in Loop: Header=BB12_133 Depth=3
	v_bfe_u32 v17, v16, 16, 1
	v_add3_u32 v16, v16, v17, s46
	buffer_store_dword v16, off, s[0:3], s33 offset:332 ; 4-byte Folded Spill
                                        ; implicit-def: $vgpr16
.LBB12_140:                             ;   in Loop: Header=BB12_133 Depth=3
	s_andn2_saveexec_b64 s[90:91], s[90:91]
	s_cbranch_execz .LBB12_142
; %bb.141:                              ;   in Loop: Header=BB12_133 Depth=3
	buffer_load_dword v18, off, s[0:3], s33 offset:128 ; 4-byte Folded Reload
	buffer_load_dword v19, off, s[0:3], s33 offset:132 ; 4-byte Folded Reload
	v_or_b32_e32 v17, 0x10000, v16
	s_waitcnt vmcnt(1)
	v_cmp_eq_u32_sdwa vcc, v16, v18 src0_sel:WORD_0 src1_sel:DWORD
	v_cndmask_b32_e32 v16, v17, v16, vcc
	buffer_store_dword v16, off, s[0:3], s33 offset:332 ; 4-byte Folded Spill
.LBB12_142:                             ;   in Loop: Header=BB12_133 Depth=3
	s_or_b64 exec, exec, s[90:91]
	v_lshlrev_b32_e32 v16, 16, v29
	v_mul_f32_e32 v16, v61, v16
	v_and_b32_e32 v17, 0x7f800000, v16
	v_cmp_ne_u32_e32 vcc, s97, v17
                                        ; implicit-def: $vgpr17
                                        ; kill: killed $vgpr17
	s_and_saveexec_b64 s[90:91], vcc
	s_xor_b64 s[90:91], exec, s[90:91]
	s_cbranch_execz .LBB12_144
; %bb.143:                              ;   in Loop: Header=BB12_133 Depth=3
	v_bfe_u32 v17, v16, 16, 1
	v_add3_u32 v16, v16, v17, s46
	buffer_store_dword v16, off, s[0:3], s33 offset:340 ; 4-byte Folded Spill
                                        ; implicit-def: $vgpr16
.LBB12_144:                             ;   in Loop: Header=BB12_133 Depth=3
	s_andn2_saveexec_b64 s[90:91], s[90:91]
	s_cbranch_execz .LBB12_146
; %bb.145:                              ;   in Loop: Header=BB12_133 Depth=3
	buffer_load_dword v18, off, s[0:3], s33 offset:128 ; 4-byte Folded Reload
	buffer_load_dword v19, off, s[0:3], s33 offset:132 ; 4-byte Folded Reload
	v_or_b32_e32 v17, 0x10000, v16
	s_waitcnt vmcnt(1)
	v_cmp_eq_u32_sdwa vcc, v16, v18 src0_sel:WORD_0 src1_sel:DWORD
	v_cndmask_b32_e32 v16, v17, v16, vcc
	buffer_store_dword v16, off, s[0:3], s33 offset:340 ; 4-byte Folded Spill
.LBB12_146:                             ;   in Loop: Header=BB12_133 Depth=3
	s_or_b64 exec, exec, s[90:91]
	v_and_b32_e32 v16, 0xffff0000, v29
	v_mul_f32_e32 v16, v61, v16
	v_and_b32_e32 v17, 0x7f800000, v16
	v_cmp_ne_u32_e32 vcc, s97, v17
                                        ; implicit-def: $vgpr17
                                        ; kill: killed $vgpr17
	s_and_saveexec_b64 s[90:91], vcc
	s_xor_b64 s[90:91], exec, s[90:91]
	s_cbranch_execz .LBB12_148
; %bb.147:                              ;   in Loop: Header=BB12_133 Depth=3
	v_bfe_u32 v17, v16, 16, 1
	v_add3_u32 v16, v16, v17, s46
	buffer_store_dword v16, off, s[0:3], s33 offset:344 ; 4-byte Folded Spill
                                        ; implicit-def: $vgpr16
.LBB12_148:                             ;   in Loop: Header=BB12_133 Depth=3
	s_andn2_saveexec_b64 s[90:91], s[90:91]
	s_cbranch_execz .LBB12_150
; %bb.149:                              ;   in Loop: Header=BB12_133 Depth=3
	buffer_load_dword v18, off, s[0:3], s33 offset:128 ; 4-byte Folded Reload
	buffer_load_dword v19, off, s[0:3], s33 offset:132 ; 4-byte Folded Reload
	v_or_b32_e32 v17, 0x10000, v16
	s_waitcnt vmcnt(1)
	v_cmp_eq_u32_sdwa vcc, v16, v18 src0_sel:WORD_0 src1_sel:DWORD
	v_cndmask_b32_e32 v16, v17, v16, vcc
	buffer_store_dword v16, off, s[0:3], s33 offset:344 ; 4-byte Folded Spill
.LBB12_150:                             ;   in Loop: Header=BB12_133 Depth=3
	s_or_b64 exec, exec, s[90:91]
	v_lshlrev_b32_e32 v16, 16, v30
	v_mul_f32_e32 v16, v61, v16
	v_and_b32_e32 v17, 0x7f800000, v16
	v_cmp_ne_u32_e32 vcc, s97, v17
                                        ; implicit-def: $vgpr17
                                        ; kill: killed $vgpr17
	s_and_saveexec_b64 s[90:91], vcc
	s_xor_b64 s[90:91], exec, s[90:91]
	s_cbranch_execz .LBB12_152
; %bb.151:                              ;   in Loop: Header=BB12_133 Depth=3
	v_bfe_u32 v17, v16, 16, 1
	v_add3_u32 v16, v16, v17, s46
	buffer_store_dword v16, off, s[0:3], s33 offset:352 ; 4-byte Folded Spill
                                        ; implicit-def: $vgpr16
.LBB12_152:                             ;   in Loop: Header=BB12_133 Depth=3
	s_andn2_saveexec_b64 s[90:91], s[90:91]
	;; [unrolled: 54-line block ×7, first 2 shown]
	s_cbranch_execz .LBB12_194
; %bb.193:                              ;   in Loop: Header=BB12_133 Depth=3
	buffer_load_dword v18, off, s[0:3], s33 offset:128 ; 4-byte Folded Reload
	buffer_load_dword v19, off, s[0:3], s33 offset:132 ; 4-byte Folded Reload
	v_or_b32_e32 v17, 0x10000, v16
	s_waitcnt vmcnt(1)
	v_cmp_eq_u32_sdwa vcc, v16, v18 src0_sel:WORD_0 src1_sel:DWORD
	v_cndmask_b32_e32 v16, v17, v16, vcc
	buffer_store_dword v16, off, s[0:3], s33 offset:444 ; 4-byte Folded Spill
.LBB12_194:                             ;   in Loop: Header=BB12_133 Depth=3
	s_or_b64 exec, exec, s[90:91]
	v_and_b32_e32 v16, 0xffff0000, v47
	v_mul_f32_e32 v16, v61, v16
	v_and_b32_e32 v17, 0x7f800000, v16
	v_cmp_ne_u32_e32 vcc, s97, v17
                                        ; implicit-def: $vgpr17
                                        ; kill: killed $vgpr17
	s_and_saveexec_b64 s[90:91], vcc
	s_xor_b64 s[90:91], exec, s[90:91]
	s_cbranch_execz .LBB12_196
; %bb.195:                              ;   in Loop: Header=BB12_133 Depth=3
	v_bfe_u32 v17, v16, 16, 1
	v_add3_u32 v16, v16, v17, s46
	buffer_store_dword v16, off, s[0:3], s33 offset:448 ; 4-byte Folded Spill
                                        ; implicit-def: $vgpr16
.LBB12_196:                             ;   in Loop: Header=BB12_133 Depth=3
	s_andn2_saveexec_b64 s[90:91], s[90:91]
	s_cbranch_execz .LBB12_198
; %bb.197:                              ;   in Loop: Header=BB12_133 Depth=3
	buffer_load_dword v18, off, s[0:3], s33 offset:128 ; 4-byte Folded Reload
	buffer_load_dword v19, off, s[0:3], s33 offset:132 ; 4-byte Folded Reload
	v_or_b32_e32 v17, 0x10000, v16
	s_waitcnt vmcnt(1)
	v_cmp_eq_u32_sdwa vcc, v16, v18 src0_sel:WORD_0 src1_sel:DWORD
	v_cndmask_b32_e32 v16, v17, v16, vcc
	buffer_store_dword v16, off, s[0:3], s33 offset:448 ; 4-byte Folded Spill
.LBB12_198:                             ;   in Loop: Header=BB12_133 Depth=3
	s_or_b64 exec, exec, s[90:91]
	buffer_load_dword v16, off, s[0:3], s33 offset:284 ; 4-byte Folded Reload
	buffer_load_dword v17, off, s[0:3], s33 offset:288 ; 4-byte Folded Reload
	;; [unrolled: 1-line block ×4, first 2 shown]
                                        ; implicit-def: $vgpr52
	s_waitcnt vmcnt(3)
	v_lshlrev_b32_e32 v16, 16, v16
	v_mul_f32_e32 v16, v61, v16
	s_waitcnt vmcnt(2)
	v_and_b32_e32 v17, 0x7f800000, v16
	v_cmp_ne_u32_e32 vcc, s97, v17
	s_and_saveexec_b64 s[90:91], vcc
	s_xor_b64 s[90:91], exec, s[90:91]
; %bb.199:                              ;   in Loop: Header=BB12_133 Depth=3
	v_bfe_u32 v17, v16, 16, 1
	v_add3_u32 v52, v16, v17, s46
                                        ; implicit-def: $vgpr16
; %bb.200:                              ;   in Loop: Header=BB12_133 Depth=3
	s_andn2_saveexec_b64 s[90:91], s[90:91]
	s_cbranch_execz .LBB12_202
; %bb.201:                              ;   in Loop: Header=BB12_133 Depth=3
	buffer_load_dword v18, off, s[0:3], s33 offset:128 ; 4-byte Folded Reload
	buffer_load_dword v19, off, s[0:3], s33 offset:132 ; 4-byte Folded Reload
	v_or_b32_e32 v17, 0x10000, v16
	s_waitcnt vmcnt(1)
	v_cmp_eq_u32_sdwa vcc, v16, v18 src0_sel:WORD_0 src1_sel:DWORD
	v_cndmask_b32_e32 v52, v17, v16, vcc
.LBB12_202:                             ;   in Loop: Header=BB12_133 Depth=3
	s_or_b64 exec, exec, s[90:91]
	buffer_load_dword v16, off, s[0:3], s33 offset:284 ; 4-byte Folded Reload
	buffer_load_dword v17, off, s[0:3], s33 offset:288 ; 4-byte Folded Reload
	;; [unrolled: 1-line block ×4, first 2 shown]
                                        ; implicit-def: $vgpr54
	s_waitcnt vmcnt(3)
	v_and_b32_e32 v16, 0xffff0000, v16
	v_mul_f32_e32 v16, v61, v16
	s_waitcnt vmcnt(2)
	v_and_b32_e32 v17, 0x7f800000, v16
	v_cmp_ne_u32_e32 vcc, s97, v17
	s_and_saveexec_b64 s[90:91], vcc
	s_xor_b64 s[90:91], exec, s[90:91]
; %bb.203:                              ;   in Loop: Header=BB12_133 Depth=3
	v_bfe_u32 v17, v16, 16, 1
	v_add3_u32 v54, v16, v17, s46
                                        ; implicit-def: $vgpr16
; %bb.204:                              ;   in Loop: Header=BB12_133 Depth=3
	s_andn2_saveexec_b64 s[90:91], s[90:91]
	s_cbranch_execz .LBB12_206
; %bb.205:                              ;   in Loop: Header=BB12_133 Depth=3
	buffer_load_dword v18, off, s[0:3], s33 offset:128 ; 4-byte Folded Reload
	buffer_load_dword v19, off, s[0:3], s33 offset:132 ; 4-byte Folded Reload
	v_or_b32_e32 v17, 0x10000, v16
	s_waitcnt vmcnt(1)
	v_cmp_eq_u32_sdwa vcc, v16, v18 src0_sel:WORD_0 src1_sel:DWORD
	v_cndmask_b32_e32 v54, v17, v16, vcc
.LBB12_206:                             ;   in Loop: Header=BB12_133 Depth=3
	s_or_b64 exec, exec, s[90:91]
	buffer_load_dword v16, off, s[0:3], s33 offset:284 ; 4-byte Folded Reload
	buffer_load_dword v17, off, s[0:3], s33 offset:288 ; 4-byte Folded Reload
	;; [unrolled: 1-line block ×4, first 2 shown]
                                        ; implicit-def: $vgpr53
	s_waitcnt vmcnt(2)
	v_lshlrev_b32_e32 v16, 16, v17
	v_mul_f32_e32 v16, v61, v16
	v_and_b32_e32 v17, 0x7f800000, v16
	v_cmp_ne_u32_e32 vcc, s97, v17
	s_and_saveexec_b64 s[90:91], vcc
	s_xor_b64 s[90:91], exec, s[90:91]
; %bb.207:                              ;   in Loop: Header=BB12_133 Depth=3
	v_bfe_u32 v17, v16, 16, 1
	v_add3_u32 v53, v16, v17, s46
                                        ; implicit-def: $vgpr16
; %bb.208:                              ;   in Loop: Header=BB12_133 Depth=3
	s_andn2_saveexec_b64 s[90:91], s[90:91]
	s_cbranch_execz .LBB12_210
; %bb.209:                              ;   in Loop: Header=BB12_133 Depth=3
	buffer_load_dword v18, off, s[0:3], s33 offset:128 ; 4-byte Folded Reload
	buffer_load_dword v19, off, s[0:3], s33 offset:132 ; 4-byte Folded Reload
	v_or_b32_e32 v17, 0x10000, v16
	s_waitcnt vmcnt(1)
	v_cmp_eq_u32_sdwa vcc, v16, v18 src0_sel:WORD_0 src1_sel:DWORD
	v_cndmask_b32_e32 v53, v17, v16, vcc
.LBB12_210:                             ;   in Loop: Header=BB12_133 Depth=3
	s_or_b64 exec, exec, s[90:91]
	buffer_load_dword v16, off, s[0:3], s33 offset:284 ; 4-byte Folded Reload
	buffer_load_dword v17, off, s[0:3], s33 offset:288 ; 4-byte Folded Reload
	;; [unrolled: 1-line block ×4, first 2 shown]
                                        ; implicit-def: $vgpr55
	s_waitcnt vmcnt(2)
	v_and_b32_e32 v16, 0xffff0000, v17
	v_mul_f32_e32 v16, v61, v16
	v_and_b32_e32 v17, 0x7f800000, v16
	v_cmp_ne_u32_e32 vcc, s97, v17
	s_and_saveexec_b64 s[90:91], vcc
	s_xor_b64 s[90:91], exec, s[90:91]
; %bb.211:                              ;   in Loop: Header=BB12_133 Depth=3
	v_bfe_u32 v17, v16, 16, 1
	v_add3_u32 v55, v16, v17, s46
                                        ; implicit-def: $vgpr16
; %bb.212:                              ;   in Loop: Header=BB12_133 Depth=3
	s_andn2_saveexec_b64 s[90:91], s[90:91]
	s_cbranch_execz .LBB12_214
; %bb.213:                              ;   in Loop: Header=BB12_133 Depth=3
	buffer_load_dword v18, off, s[0:3], s33 offset:128 ; 4-byte Folded Reload
	buffer_load_dword v19, off, s[0:3], s33 offset:132 ; 4-byte Folded Reload
	v_or_b32_e32 v17, 0x10000, v16
	s_waitcnt vmcnt(1)
	v_cmp_eq_u32_sdwa vcc, v16, v18 src0_sel:WORD_0 src1_sel:DWORD
	v_cndmask_b32_e32 v55, v17, v16, vcc
.LBB12_214:                             ;   in Loop: Header=BB12_133 Depth=3
	s_or_b64 exec, exec, s[90:91]
	buffer_load_dword v16, off, s[0:3], s33 offset:284 ; 4-byte Folded Reload
	buffer_load_dword v17, off, s[0:3], s33 offset:288 ; 4-byte Folded Reload
	;; [unrolled: 1-line block ×4, first 2 shown]
	s_waitcnt vmcnt(1)
	v_lshlrev_b32_e32 v16, 16, v18
	v_mul_f32_e32 v16, v61, v16
	v_and_b32_e32 v17, 0x7f800000, v16
	v_cmp_ne_u32_e32 vcc, s97, v17
                                        ; implicit-def: $vgpr17
                                        ; kill: killed $vgpr17
	s_and_saveexec_b64 s[90:91], vcc
	s_xor_b64 s[90:91], exec, s[90:91]
	s_cbranch_execz .LBB12_216
; %bb.215:                              ;   in Loop: Header=BB12_133 Depth=3
	v_bfe_u32 v17, v16, 16, 1
	v_add3_u32 v16, v16, v17, s46
	buffer_store_dword v16, off, s[0:3], s33 offset:452 ; 4-byte Folded Spill
                                        ; implicit-def: $vgpr16
.LBB12_216:                             ;   in Loop: Header=BB12_133 Depth=3
	s_andn2_saveexec_b64 s[90:91], s[90:91]
	s_cbranch_execz .LBB12_218
; %bb.217:                              ;   in Loop: Header=BB12_133 Depth=3
	buffer_load_dword v18, off, s[0:3], s33 offset:128 ; 4-byte Folded Reload
	buffer_load_dword v19, off, s[0:3], s33 offset:132 ; 4-byte Folded Reload
	v_or_b32_e32 v17, 0x10000, v16
	s_waitcnt vmcnt(1)
	v_cmp_eq_u32_sdwa vcc, v16, v18 src0_sel:WORD_0 src1_sel:DWORD
	v_cndmask_b32_e32 v16, v17, v16, vcc
	buffer_store_dword v16, off, s[0:3], s33 offset:452 ; 4-byte Folded Spill
.LBB12_218:                             ;   in Loop: Header=BB12_133 Depth=3
	s_or_b64 exec, exec, s[90:91]
	buffer_load_dword v16, off, s[0:3], s33 offset:284 ; 4-byte Folded Reload
	buffer_load_dword v17, off, s[0:3], s33 offset:288 ; 4-byte Folded Reload
	;; [unrolled: 1-line block ×4, first 2 shown]
	s_waitcnt vmcnt(1)
	v_and_b32_e32 v16, 0xffff0000, v18
	v_mul_f32_e32 v16, v61, v16
	v_and_b32_e32 v17, 0x7f800000, v16
	v_cmp_ne_u32_e32 vcc, s97, v17
                                        ; implicit-def: $vgpr17
                                        ; kill: killed $vgpr17
	s_and_saveexec_b64 s[90:91], vcc
	s_xor_b64 s[90:91], exec, s[90:91]
	s_cbranch_execz .LBB12_220
; %bb.219:                              ;   in Loop: Header=BB12_133 Depth=3
	v_bfe_u32 v17, v16, 16, 1
	v_add3_u32 v16, v16, v17, s46
	buffer_store_dword v16, off, s[0:3], s33 offset:456 ; 4-byte Folded Spill
                                        ; implicit-def: $vgpr16
.LBB12_220:                             ;   in Loop: Header=BB12_133 Depth=3
	s_andn2_saveexec_b64 s[90:91], s[90:91]
	s_cbranch_execz .LBB12_222
; %bb.221:                              ;   in Loop: Header=BB12_133 Depth=3
	buffer_load_dword v18, off, s[0:3], s33 offset:128 ; 4-byte Folded Reload
	buffer_load_dword v19, off, s[0:3], s33 offset:132 ; 4-byte Folded Reload
	v_or_b32_e32 v17, 0x10000, v16
	s_waitcnt vmcnt(1)
	v_cmp_eq_u32_sdwa vcc, v16, v18 src0_sel:WORD_0 src1_sel:DWORD
	v_cndmask_b32_e32 v16, v17, v16, vcc
	buffer_store_dword v16, off, s[0:3], s33 offset:456 ; 4-byte Folded Spill
.LBB12_222:                             ;   in Loop: Header=BB12_133 Depth=3
	s_or_b64 exec, exec, s[90:91]
	buffer_load_dword v16, off, s[0:3], s33 offset:284 ; 4-byte Folded Reload
	buffer_load_dword v17, off, s[0:3], s33 offset:288 ; 4-byte Folded Reload
	;; [unrolled: 1-line block ×4, first 2 shown]
	s_waitcnt vmcnt(0)
	v_lshlrev_b32_e32 v16, 16, v19
	v_mul_f32_e32 v16, v61, v16
	v_and_b32_e32 v17, 0x7f800000, v16
	v_cmp_ne_u32_e32 vcc, s97, v17
                                        ; implicit-def: $vgpr17
                                        ; kill: killed $vgpr17
	s_and_saveexec_b64 s[90:91], vcc
	s_xor_b64 s[90:91], exec, s[90:91]
	s_cbranch_execz .LBB12_224
; %bb.223:                              ;   in Loop: Header=BB12_133 Depth=3
	v_bfe_u32 v17, v16, 16, 1
	v_add3_u32 v16, v16, v17, s46
	buffer_store_dword v16, off, s[0:3], s33 offset:460 ; 4-byte Folded Spill
                                        ; implicit-def: $vgpr16
.LBB12_224:                             ;   in Loop: Header=BB12_133 Depth=3
	s_andn2_saveexec_b64 s[90:91], s[90:91]
	s_cbranch_execz .LBB12_226
; %bb.225:                              ;   in Loop: Header=BB12_133 Depth=3
	buffer_load_dword v18, off, s[0:3], s33 offset:128 ; 4-byte Folded Reload
	buffer_load_dword v19, off, s[0:3], s33 offset:132 ; 4-byte Folded Reload
	v_or_b32_e32 v17, 0x10000, v16
	s_waitcnt vmcnt(1)
	v_cmp_eq_u32_sdwa vcc, v16, v18 src0_sel:WORD_0 src1_sel:DWORD
	v_cndmask_b32_e32 v16, v17, v16, vcc
	buffer_store_dword v16, off, s[0:3], s33 offset:460 ; 4-byte Folded Spill
.LBB12_226:                             ;   in Loop: Header=BB12_133 Depth=3
	s_or_b64 exec, exec, s[90:91]
	buffer_load_dword v16, off, s[0:3], s33 offset:284 ; 4-byte Folded Reload
	buffer_load_dword v17, off, s[0:3], s33 offset:288 ; 4-byte Folded Reload
	;; [unrolled: 1-line block ×4, first 2 shown]
	s_waitcnt vmcnt(0)
	v_and_b32_e32 v16, 0xffff0000, v19
	v_mul_f32_e32 v16, v61, v16
	v_and_b32_e32 v17, 0x7f800000, v16
	v_cmp_ne_u32_e32 vcc, s97, v17
                                        ; implicit-def: $vgpr17
                                        ; kill: killed $vgpr17
	s_and_saveexec_b64 s[90:91], vcc
	s_xor_b64 s[90:91], exec, s[90:91]
	s_cbranch_execz .LBB12_228
; %bb.227:                              ;   in Loop: Header=BB12_133 Depth=3
	v_bfe_u32 v17, v16, 16, 1
	v_add3_u32 v16, v16, v17, s46
	buffer_store_dword v16, off, s[0:3], s33 offset:284 ; 4-byte Folded Spill
                                        ; implicit-def: $vgpr16
.LBB12_228:                             ;   in Loop: Header=BB12_133 Depth=3
	s_andn2_saveexec_b64 s[90:91], s[90:91]
	s_cbranch_execz .LBB12_230
; %bb.229:                              ;   in Loop: Header=BB12_133 Depth=3
	buffer_load_dword v18, off, s[0:3], s33 offset:128 ; 4-byte Folded Reload
	buffer_load_dword v19, off, s[0:3], s33 offset:132 ; 4-byte Folded Reload
	v_or_b32_e32 v17, 0x10000, v16
	s_waitcnt vmcnt(1)
	v_cmp_eq_u32_sdwa vcc, v16, v18 src0_sel:WORD_0 src1_sel:DWORD
	v_cndmask_b32_e32 v16, v17, v16, vcc
	buffer_store_dword v16, off, s[0:3], s33 offset:284 ; 4-byte Folded Spill
.LBB12_230:                             ;   in Loop: Header=BB12_133 Depth=3
	s_or_b64 exec, exec, s[90:91]
	v_lshlrev_b32_e32 v16, 16, v48
	v_mul_f32_e32 v16, v61, v16
	v_and_b32_e32 v17, 0x7f800000, v16
	v_cmp_ne_u32_e32 vcc, s97, v17
                                        ; implicit-def: $vgpr17
                                        ; kill: killed $vgpr17
	s_and_saveexec_b64 s[90:91], vcc
	s_xor_b64 s[90:91], exec, s[90:91]
	s_cbranch_execz .LBB12_232
; %bb.231:                              ;   in Loop: Header=BB12_133 Depth=3
	v_bfe_u32 v17, v16, 16, 1
	v_add3_u32 v16, v16, v17, s46
	buffer_store_dword v16, off, s[0:3], s33 offset:464 ; 4-byte Folded Spill
                                        ; implicit-def: $vgpr16
.LBB12_232:                             ;   in Loop: Header=BB12_133 Depth=3
	s_andn2_saveexec_b64 s[90:91], s[90:91]
	s_cbranch_execz .LBB12_234
; %bb.233:                              ;   in Loop: Header=BB12_133 Depth=3
	buffer_load_dword v18, off, s[0:3], s33 offset:128 ; 4-byte Folded Reload
	buffer_load_dword v19, off, s[0:3], s33 offset:132 ; 4-byte Folded Reload
	v_or_b32_e32 v17, 0x10000, v16
	s_waitcnt vmcnt(1)
	v_cmp_eq_u32_sdwa vcc, v16, v18 src0_sel:WORD_0 src1_sel:DWORD
	v_cndmask_b32_e32 v16, v17, v16, vcc
	buffer_store_dword v16, off, s[0:3], s33 offset:464 ; 4-byte Folded Spill
.LBB12_234:                             ;   in Loop: Header=BB12_133 Depth=3
	s_or_b64 exec, exec, s[90:91]
	v_and_b32_e32 v16, 0xffff0000, v48
	v_mul_f32_e32 v16, v61, v16
	v_and_b32_e32 v17, 0x7f800000, v16
	v_cmp_ne_u32_e32 vcc, s97, v17
                                        ; implicit-def: $vgpr17
                                        ; kill: killed $vgpr17
	s_and_saveexec_b64 s[90:91], vcc
	s_xor_b64 s[90:91], exec, s[90:91]
	s_cbranch_execz .LBB12_236
; %bb.235:                              ;   in Loop: Header=BB12_133 Depth=3
	v_bfe_u32 v17, v16, 16, 1
	v_add3_u32 v16, v16, v17, s46
	buffer_store_dword v16, off, s[0:3], s33 offset:468 ; 4-byte Folded Spill
                                        ; implicit-def: $vgpr16
.LBB12_236:                             ;   in Loop: Header=BB12_133 Depth=3
	s_andn2_saveexec_b64 s[90:91], s[90:91]
	s_cbranch_execz .LBB12_238
; %bb.237:                              ;   in Loop: Header=BB12_133 Depth=3
	buffer_load_dword v18, off, s[0:3], s33 offset:128 ; 4-byte Folded Reload
	buffer_load_dword v19, off, s[0:3], s33 offset:132 ; 4-byte Folded Reload
	v_or_b32_e32 v17, 0x10000, v16
	s_waitcnt vmcnt(1)
	v_cmp_eq_u32_sdwa vcc, v16, v18 src0_sel:WORD_0 src1_sel:DWORD
	v_cndmask_b32_e32 v16, v17, v16, vcc
	buffer_store_dword v16, off, s[0:3], s33 offset:468 ; 4-byte Folded Spill
.LBB12_238:                             ;   in Loop: Header=BB12_133 Depth=3
	s_or_b64 exec, exec, s[90:91]
	v_lshlrev_b32_e32 v16, 16, v49
	v_mul_f32_e32 v16, v61, v16
	v_and_b32_e32 v17, 0x7f800000, v16
	v_cmp_ne_u32_e32 vcc, s97, v17
                                        ; implicit-def: $vgpr17
                                        ; kill: killed $vgpr17
	s_and_saveexec_b64 s[90:91], vcc
	s_xor_b64 s[90:91], exec, s[90:91]
	s_cbranch_execz .LBB12_240
; %bb.239:                              ;   in Loop: Header=BB12_133 Depth=3
	v_bfe_u32 v17, v16, 16, 1
	v_add3_u32 v16, v16, v17, s46
	buffer_store_dword v16, off, s[0:3], s33 offset:472 ; 4-byte Folded Spill
                                        ; implicit-def: $vgpr16
.LBB12_240:                             ;   in Loop: Header=BB12_133 Depth=3
	s_andn2_saveexec_b64 s[90:91], s[90:91]
	s_cbranch_execz .LBB12_242
; %bb.241:                              ;   in Loop: Header=BB12_133 Depth=3
	buffer_load_dword v18, off, s[0:3], s33 offset:128 ; 4-byte Folded Reload
	buffer_load_dword v19, off, s[0:3], s33 offset:132 ; 4-byte Folded Reload
	v_or_b32_e32 v17, 0x10000, v16
	s_waitcnt vmcnt(1)
	v_cmp_eq_u32_sdwa vcc, v16, v18 src0_sel:WORD_0 src1_sel:DWORD
	v_cndmask_b32_e32 v16, v17, v16, vcc
	buffer_store_dword v16, off, s[0:3], s33 offset:472 ; 4-byte Folded Spill
.LBB12_242:                             ;   in Loop: Header=BB12_133 Depth=3
	s_or_b64 exec, exec, s[90:91]
	;; [unrolled: 54-line block ×4, first 2 shown]
	v_and_b32_e32 v16, 0xffff0000, v51
	v_mul_f32_e32 v16, v61, v16
	v_and_b32_e32 v17, 0x7f800000, v16
	v_cmp_ne_u32_e32 vcc, s97, v17
                                        ; implicit-def: $vgpr17
                                        ; kill: killed $vgpr17
	s_and_saveexec_b64 s[90:91], vcc
	s_xor_b64 s[90:91], exec, s[90:91]
	s_cbranch_execz .LBB12_260
; %bb.259:                              ;   in Loop: Header=BB12_133 Depth=3
	v_bfe_u32 v17, v16, 16, 1
	v_add3_u32 v16, v16, v17, s46
	buffer_store_dword v16, off, s[0:3], s33 offset:604 ; 4-byte Folded Spill
                                        ; implicit-def: $vgpr16
.LBB12_260:                             ;   in Loop: Header=BB12_133 Depth=3
	s_andn2_saveexec_b64 s[90:91], s[90:91]
	s_cbranch_execz .LBB12_262
; %bb.261:                              ;   in Loop: Header=BB12_133 Depth=3
	buffer_load_dword v18, off, s[0:3], s33 offset:128 ; 4-byte Folded Reload
	buffer_load_dword v19, off, s[0:3], s33 offset:132 ; 4-byte Folded Reload
	v_or_b32_e32 v17, 0x10000, v16
	s_waitcnt vmcnt(1)
	v_cmp_eq_u32_sdwa vcc, v16, v18 src0_sel:WORD_0 src1_sel:DWORD
	v_cndmask_b32_e32 v16, v17, v16, vcc
	buffer_store_dword v16, off, s[0:3], s33 offset:604 ; 4-byte Folded Spill
.LBB12_262:                             ;   in Loop: Header=BB12_133 Depth=3
	s_or_b64 exec, exec, s[90:91]
	buffer_load_dword v16, off, s[0:3], s33 offset:240 ; 4-byte Folded Reload
	buffer_load_dword v17, off, s[0:3], s33 offset:244 ; 4-byte Folded Reload
	;; [unrolled: 1-line block ×4, first 2 shown]
	s_waitcnt vmcnt(3)
	v_lshlrev_b32_e32 v16, 16, v16
	v_mul_f32_e32 v16, v61, v16
	s_waitcnt vmcnt(2)
	v_and_b32_e32 v17, 0x7f800000, v16
	v_cmp_ne_u32_e32 vcc, s97, v17
                                        ; implicit-def: $vgpr17
                                        ; kill: killed $vgpr17
	s_and_saveexec_b64 s[90:91], vcc
	s_xor_b64 s[90:91], exec, s[90:91]
	s_cbranch_execz .LBB12_264
; %bb.263:                              ;   in Loop: Header=BB12_133 Depth=3
	v_bfe_u32 v17, v16, 16, 1
	v_add3_u32 v16, v16, v17, s46
	buffer_store_dword v16, off, s[0:3], s33 offset:612 ; 4-byte Folded Spill
                                        ; implicit-def: $vgpr16
.LBB12_264:                             ;   in Loop: Header=BB12_133 Depth=3
	s_andn2_saveexec_b64 s[90:91], s[90:91]
	s_cbranch_execz .LBB12_266
; %bb.265:                              ;   in Loop: Header=BB12_133 Depth=3
	buffer_load_dword v18, off, s[0:3], s33 offset:128 ; 4-byte Folded Reload
	buffer_load_dword v19, off, s[0:3], s33 offset:132 ; 4-byte Folded Reload
	v_or_b32_e32 v17, 0x10000, v16
	s_waitcnt vmcnt(1)
	v_cmp_eq_u32_sdwa vcc, v16, v18 src0_sel:WORD_0 src1_sel:DWORD
	v_cndmask_b32_e32 v16, v17, v16, vcc
	buffer_store_dword v16, off, s[0:3], s33 offset:612 ; 4-byte Folded Spill
.LBB12_266:                             ;   in Loop: Header=BB12_133 Depth=3
	s_or_b64 exec, exec, s[90:91]
	buffer_load_dword v16, off, s[0:3], s33 offset:240 ; 4-byte Folded Reload
	buffer_load_dword v17, off, s[0:3], s33 offset:244 ; 4-byte Folded Reload
	;; [unrolled: 1-line block ×4, first 2 shown]
	s_waitcnt vmcnt(3)
	v_and_b32_e32 v16, 0xffff0000, v16
	v_mul_f32_e32 v16, v61, v16
	s_waitcnt vmcnt(2)
	v_and_b32_e32 v17, 0x7f800000, v16
	v_cmp_ne_u32_e32 vcc, s97, v17
                                        ; implicit-def: $vgpr17
                                        ; kill: killed $vgpr17
	s_and_saveexec_b64 s[90:91], vcc
	s_xor_b64 s[90:91], exec, s[90:91]
	s_cbranch_execz .LBB12_268
; %bb.267:                              ;   in Loop: Header=BB12_133 Depth=3
	v_bfe_u32 v17, v16, 16, 1
	v_add3_u32 v16, v16, v17, s46
	buffer_store_dword v16, off, s[0:3], s33 offset:620 ; 4-byte Folded Spill
                                        ; implicit-def: $vgpr16
.LBB12_268:                             ;   in Loop: Header=BB12_133 Depth=3
	s_andn2_saveexec_b64 s[90:91], s[90:91]
	s_cbranch_execz .LBB12_270
; %bb.269:                              ;   in Loop: Header=BB12_133 Depth=3
	buffer_load_dword v18, off, s[0:3], s33 offset:128 ; 4-byte Folded Reload
	buffer_load_dword v19, off, s[0:3], s33 offset:132 ; 4-byte Folded Reload
	v_or_b32_e32 v17, 0x10000, v16
	s_waitcnt vmcnt(1)
	v_cmp_eq_u32_sdwa vcc, v16, v18 src0_sel:WORD_0 src1_sel:DWORD
	v_cndmask_b32_e32 v16, v17, v16, vcc
	buffer_store_dword v16, off, s[0:3], s33 offset:620 ; 4-byte Folded Spill
.LBB12_270:                             ;   in Loop: Header=BB12_133 Depth=3
	s_or_b64 exec, exec, s[90:91]
	buffer_load_dword v16, off, s[0:3], s33 offset:240 ; 4-byte Folded Reload
	buffer_load_dword v17, off, s[0:3], s33 offset:244 ; 4-byte Folded Reload
	buffer_load_dword v18, off, s[0:3], s33 offset:248 ; 4-byte Folded Reload
	buffer_load_dword v19, off, s[0:3], s33 offset:252 ; 4-byte Folded Reload
	s_waitcnt vmcnt(2)
	v_lshlrev_b32_e32 v16, 16, v17
	v_mul_f32_e32 v16, v61, v16
	v_and_b32_e32 v17, 0x7f800000, v16
	v_cmp_ne_u32_e32 vcc, s97, v17
                                        ; implicit-def: $vgpr17
                                        ; kill: killed $vgpr17
	s_and_saveexec_b64 s[90:91], vcc
	s_xor_b64 s[90:91], exec, s[90:91]
	s_cbranch_execz .LBB12_272
; %bb.271:                              ;   in Loop: Header=BB12_133 Depth=3
	v_bfe_u32 v17, v16, 16, 1
	v_add3_u32 v16, v16, v17, s46
	buffer_store_dword v16, off, s[0:3], s33 offset:628 ; 4-byte Folded Spill
                                        ; implicit-def: $vgpr16
.LBB12_272:                             ;   in Loop: Header=BB12_133 Depth=3
	s_andn2_saveexec_b64 s[90:91], s[90:91]
	s_cbranch_execz .LBB12_274
; %bb.273:                              ;   in Loop: Header=BB12_133 Depth=3
	buffer_load_dword v18, off, s[0:3], s33 offset:128 ; 4-byte Folded Reload
	buffer_load_dword v19, off, s[0:3], s33 offset:132 ; 4-byte Folded Reload
	v_or_b32_e32 v17, 0x10000, v16
	s_waitcnt vmcnt(1)
	v_cmp_eq_u32_sdwa vcc, v16, v18 src0_sel:WORD_0 src1_sel:DWORD
	v_cndmask_b32_e32 v16, v17, v16, vcc
	buffer_store_dword v16, off, s[0:3], s33 offset:628 ; 4-byte Folded Spill
.LBB12_274:                             ;   in Loop: Header=BB12_133 Depth=3
	s_or_b64 exec, exec, s[90:91]
	buffer_load_dword v16, off, s[0:3], s33 offset:240 ; 4-byte Folded Reload
	buffer_load_dword v17, off, s[0:3], s33 offset:244 ; 4-byte Folded Reload
	buffer_load_dword v18, off, s[0:3], s33 offset:248 ; 4-byte Folded Reload
	buffer_load_dword v19, off, s[0:3], s33 offset:252 ; 4-byte Folded Reload
	s_waitcnt vmcnt(2)
	v_and_b32_e32 v16, 0xffff0000, v17
	v_mul_f32_e32 v16, v61, v16
	v_and_b32_e32 v17, 0x7f800000, v16
	v_cmp_ne_u32_e32 vcc, s97, v17
                                        ; implicit-def: $vgpr17
                                        ; kill: killed $vgpr17
	s_and_saveexec_b64 s[90:91], vcc
	s_xor_b64 s[90:91], exec, s[90:91]
	s_cbranch_execz .LBB12_276
; %bb.275:                              ;   in Loop: Header=BB12_133 Depth=3
	v_bfe_u32 v17, v16, 16, 1
	v_add3_u32 v16, v16, v17, s46
	buffer_store_dword v16, off, s[0:3], s33 offset:636 ; 4-byte Folded Spill
                                        ; implicit-def: $vgpr16
.LBB12_276:                             ;   in Loop: Header=BB12_133 Depth=3
	s_andn2_saveexec_b64 s[90:91], s[90:91]
	s_cbranch_execz .LBB12_278
; %bb.277:                              ;   in Loop: Header=BB12_133 Depth=3
	buffer_load_dword v18, off, s[0:3], s33 offset:128 ; 4-byte Folded Reload
	buffer_load_dword v19, off, s[0:3], s33 offset:132 ; 4-byte Folded Reload
	v_or_b32_e32 v17, 0x10000, v16
	s_waitcnt vmcnt(1)
	v_cmp_eq_u32_sdwa vcc, v16, v18 src0_sel:WORD_0 src1_sel:DWORD
	v_cndmask_b32_e32 v16, v17, v16, vcc
	buffer_store_dword v16, off, s[0:3], s33 offset:636 ; 4-byte Folded Spill
.LBB12_278:                             ;   in Loop: Header=BB12_133 Depth=3
	s_or_b64 exec, exec, s[90:91]
	buffer_load_dword v16, off, s[0:3], s33 offset:240 ; 4-byte Folded Reload
	buffer_load_dword v17, off, s[0:3], s33 offset:244 ; 4-byte Folded Reload
	buffer_load_dword v18, off, s[0:3], s33 offset:248 ; 4-byte Folded Reload
	buffer_load_dword v19, off, s[0:3], s33 offset:252 ; 4-byte Folded Reload
	s_waitcnt vmcnt(1)
	v_lshlrev_b32_e32 v16, 16, v18
	v_mul_f32_e32 v16, v61, v16
	v_and_b32_e32 v17, 0x7f800000, v16
	v_cmp_ne_u32_e32 vcc, s97, v17
                                        ; implicit-def: $vgpr17
                                        ; kill: killed $vgpr17
	s_and_saveexec_b64 s[90:91], vcc
	s_xor_b64 s[90:91], exec, s[90:91]
	s_cbranch_execz .LBB12_280
; %bb.279:                              ;   in Loop: Header=BB12_133 Depth=3
	v_bfe_u32 v17, v16, 16, 1
	v_add3_u32 v16, v16, v17, s46
	buffer_store_dword v16, off, s[0:3], s33 offset:644 ; 4-byte Folded Spill
                                        ; implicit-def: $vgpr16
.LBB12_280:                             ;   in Loop: Header=BB12_133 Depth=3
	s_andn2_saveexec_b64 s[90:91], s[90:91]
	s_cbranch_execz .LBB12_282
; %bb.281:                              ;   in Loop: Header=BB12_133 Depth=3
	buffer_load_dword v18, off, s[0:3], s33 offset:128 ; 4-byte Folded Reload
	buffer_load_dword v19, off, s[0:3], s33 offset:132 ; 4-byte Folded Reload
	v_or_b32_e32 v17, 0x10000, v16
	s_waitcnt vmcnt(1)
	v_cmp_eq_u32_sdwa vcc, v16, v18 src0_sel:WORD_0 src1_sel:DWORD
	v_cndmask_b32_e32 v16, v17, v16, vcc
	buffer_store_dword v16, off, s[0:3], s33 offset:644 ; 4-byte Folded Spill
.LBB12_282:                             ;   in Loop: Header=BB12_133 Depth=3
	s_or_b64 exec, exec, s[90:91]
	buffer_load_dword v16, off, s[0:3], s33 offset:240 ; 4-byte Folded Reload
	buffer_load_dword v17, off, s[0:3], s33 offset:244 ; 4-byte Folded Reload
	buffer_load_dword v18, off, s[0:3], s33 offset:248 ; 4-byte Folded Reload
	buffer_load_dword v19, off, s[0:3], s33 offset:252 ; 4-byte Folded Reload
	s_waitcnt vmcnt(1)
	v_and_b32_e32 v16, 0xffff0000, v18
	v_mul_f32_e32 v16, v61, v16
	v_and_b32_e32 v17, 0x7f800000, v16
	v_cmp_ne_u32_e32 vcc, s97, v17
                                        ; implicit-def: $vgpr17
                                        ; kill: killed $vgpr17
	s_and_saveexec_b64 s[90:91], vcc
	s_xor_b64 s[90:91], exec, s[90:91]
	s_cbranch_execz .LBB12_284
; %bb.283:                              ;   in Loop: Header=BB12_133 Depth=3
	v_bfe_u32 v17, v16, 16, 1
	v_add3_u32 v16, v16, v17, s46
	buffer_store_dword v16, off, s[0:3], s33 offset:652 ; 4-byte Folded Spill
                                        ; implicit-def: $vgpr16
.LBB12_284:                             ;   in Loop: Header=BB12_133 Depth=3
	s_andn2_saveexec_b64 s[90:91], s[90:91]
	s_cbranch_execz .LBB12_286
; %bb.285:                              ;   in Loop: Header=BB12_133 Depth=3
	buffer_load_dword v18, off, s[0:3], s33 offset:128 ; 4-byte Folded Reload
	buffer_load_dword v19, off, s[0:3], s33 offset:132 ; 4-byte Folded Reload
	v_or_b32_e32 v17, 0x10000, v16
	s_waitcnt vmcnt(1)
	v_cmp_eq_u32_sdwa vcc, v16, v18 src0_sel:WORD_0 src1_sel:DWORD
	v_cndmask_b32_e32 v16, v17, v16, vcc
	buffer_store_dword v16, off, s[0:3], s33 offset:652 ; 4-byte Folded Spill
.LBB12_286:                             ;   in Loop: Header=BB12_133 Depth=3
	s_or_b64 exec, exec, s[90:91]
	buffer_load_dword v16, off, s[0:3], s33 offset:240 ; 4-byte Folded Reload
	buffer_load_dword v17, off, s[0:3], s33 offset:244 ; 4-byte Folded Reload
	buffer_load_dword v18, off, s[0:3], s33 offset:248 ; 4-byte Folded Reload
	buffer_load_dword v19, off, s[0:3], s33 offset:252 ; 4-byte Folded Reload
	s_waitcnt vmcnt(0)
	v_lshlrev_b32_e32 v16, 16, v19
	v_mul_f32_e32 v16, v61, v16
	v_and_b32_e32 v17, 0x7f800000, v16
	v_cmp_ne_u32_e32 vcc, s97, v17
                                        ; implicit-def: $vgpr17
                                        ; kill: killed $vgpr17
	s_and_saveexec_b64 s[90:91], vcc
	s_xor_b64 s[90:91], exec, s[90:91]
	s_cbranch_execz .LBB12_288
; %bb.287:                              ;   in Loop: Header=BB12_133 Depth=3
	v_bfe_u32 v17, v16, 16, 1
	v_add3_u32 v16, v16, v17, s46
	buffer_store_dword v16, off, s[0:3], s33 offset:660 ; 4-byte Folded Spill
                                        ; implicit-def: $vgpr16
.LBB12_288:                             ;   in Loop: Header=BB12_133 Depth=3
	s_andn2_saveexec_b64 s[90:91], s[90:91]
	s_cbranch_execz .LBB12_290
; %bb.289:                              ;   in Loop: Header=BB12_133 Depth=3
	buffer_load_dword v18, off, s[0:3], s33 offset:128 ; 4-byte Folded Reload
	buffer_load_dword v19, off, s[0:3], s33 offset:132 ; 4-byte Folded Reload
	v_or_b32_e32 v17, 0x10000, v16
	s_waitcnt vmcnt(1)
	v_cmp_eq_u32_sdwa vcc, v16, v18 src0_sel:WORD_0 src1_sel:DWORD
	v_cndmask_b32_e32 v16, v17, v16, vcc
	buffer_store_dword v16, off, s[0:3], s33 offset:660 ; 4-byte Folded Spill
.LBB12_290:                             ;   in Loop: Header=BB12_133 Depth=3
	s_or_b64 exec, exec, s[90:91]
	buffer_load_dword v16, off, s[0:3], s33 offset:240 ; 4-byte Folded Reload
	buffer_load_dword v17, off, s[0:3], s33 offset:244 ; 4-byte Folded Reload
	buffer_load_dword v18, off, s[0:3], s33 offset:248 ; 4-byte Folded Reload
	buffer_load_dword v19, off, s[0:3], s33 offset:252 ; 4-byte Folded Reload
	s_waitcnt vmcnt(0)
	v_and_b32_e32 v16, 0xffff0000, v19
	v_mul_f32_e32 v16, v61, v16
	v_and_b32_e32 v17, 0x7f800000, v16
	v_cmp_ne_u32_e32 vcc, s97, v17
                                        ; implicit-def: $vgpr17
                                        ; kill: killed $vgpr17
	s_and_saveexec_b64 s[90:91], vcc
	s_xor_b64 s[90:91], exec, s[90:91]
	s_cbranch_execz .LBB12_292
; %bb.291:                              ;   in Loop: Header=BB12_133 Depth=3
	v_bfe_u32 v17, v16, 16, 1
	v_add3_u32 v16, v16, v17, s46
	buffer_store_dword v16, off, s[0:3], s33 offset:240 ; 4-byte Folded Spill
                                        ; implicit-def: $vgpr16
.LBB12_292:                             ;   in Loop: Header=BB12_133 Depth=3
	s_andn2_saveexec_b64 s[90:91], s[90:91]
	s_cbranch_execz .LBB12_294
; %bb.293:                              ;   in Loop: Header=BB12_133 Depth=3
	buffer_load_dword v18, off, s[0:3], s33 offset:128 ; 4-byte Folded Reload
	buffer_load_dword v19, off, s[0:3], s33 offset:132 ; 4-byte Folded Reload
	v_or_b32_e32 v17, 0x10000, v16
	s_waitcnt vmcnt(1)
	v_cmp_eq_u32_sdwa vcc, v16, v18 src0_sel:WORD_0 src1_sel:DWORD
	v_cndmask_b32_e32 v16, v17, v16, vcc
	buffer_store_dword v16, off, s[0:3], s33 offset:240 ; 4-byte Folded Spill
.LBB12_294:                             ;   in Loop: Header=BB12_133 Depth=3
	s_or_b64 exec, exec, s[90:91]
	v_lshlrev_b32_e32 v16, 16, v20
	v_mul_f32_e32 v16, v61, v16
	v_and_b32_e32 v17, 0x7f800000, v16
	v_cmp_ne_u32_e32 vcc, s97, v17
                                        ; implicit-def: $vgpr36
	s_and_saveexec_b64 s[90:91], vcc
	s_xor_b64 s[90:91], exec, s[90:91]
; %bb.295:                              ;   in Loop: Header=BB12_133 Depth=3
	v_bfe_u32 v17, v16, 16, 1
	v_add3_u32 v36, v16, v17, s46
                                        ; implicit-def: $vgpr16
; %bb.296:                              ;   in Loop: Header=BB12_133 Depth=3
	s_andn2_saveexec_b64 s[90:91], s[90:91]
	s_cbranch_execz .LBB12_298
; %bb.297:                              ;   in Loop: Header=BB12_133 Depth=3
	buffer_load_dword v18, off, s[0:3], s33 offset:128 ; 4-byte Folded Reload
	buffer_load_dword v19, off, s[0:3], s33 offset:132 ; 4-byte Folded Reload
	v_or_b32_e32 v17, 0x10000, v16
	s_waitcnt vmcnt(1)
	v_cmp_eq_u32_sdwa vcc, v16, v18 src0_sel:WORD_0 src1_sel:DWORD
	v_cndmask_b32_e32 v36, v17, v16, vcc
.LBB12_298:                             ;   in Loop: Header=BB12_133 Depth=3
	s_or_b64 exec, exec, s[90:91]
	v_and_b32_e32 v16, 0xffff0000, v20
	v_mul_f32_e32 v16, v61, v16
	v_and_b32_e32 v17, 0x7f800000, v16
	v_cmp_ne_u32_e32 vcc, s97, v17
                                        ; implicit-def: $vgpr38
	s_and_saveexec_b64 s[90:91], vcc
	s_xor_b64 s[90:91], exec, s[90:91]
; %bb.299:                              ;   in Loop: Header=BB12_133 Depth=3
	v_bfe_u32 v17, v16, 16, 1
	v_add3_u32 v38, v16, v17, s46
                                        ; implicit-def: $vgpr16
; %bb.300:                              ;   in Loop: Header=BB12_133 Depth=3
	s_andn2_saveexec_b64 s[90:91], s[90:91]
	s_cbranch_execz .LBB12_302
; %bb.301:                              ;   in Loop: Header=BB12_133 Depth=3
	buffer_load_dword v18, off, s[0:3], s33 offset:128 ; 4-byte Folded Reload
	buffer_load_dword v19, off, s[0:3], s33 offset:132 ; 4-byte Folded Reload
	v_or_b32_e32 v17, 0x10000, v16
	s_waitcnt vmcnt(1)
	v_cmp_eq_u32_sdwa vcc, v16, v18 src0_sel:WORD_0 src1_sel:DWORD
	v_cndmask_b32_e32 v38, v17, v16, vcc
.LBB12_302:                             ;   in Loop: Header=BB12_133 Depth=3
	s_or_b64 exec, exec, s[90:91]
	v_lshlrev_b32_e32 v16, 16, v21
	v_mul_f32_e32 v16, v61, v16
	v_and_b32_e32 v17, 0x7f800000, v16
	v_cmp_ne_u32_e32 vcc, s97, v17
                                        ; implicit-def: $vgpr37
	s_and_saveexec_b64 s[90:91], vcc
	s_xor_b64 s[90:91], exec, s[90:91]
; %bb.303:                              ;   in Loop: Header=BB12_133 Depth=3
	v_bfe_u32 v17, v16, 16, 1
	v_add3_u32 v37, v16, v17, s46
                                        ; implicit-def: $vgpr16
; %bb.304:                              ;   in Loop: Header=BB12_133 Depth=3
	s_andn2_saveexec_b64 s[90:91], s[90:91]
	s_cbranch_execz .LBB12_306
; %bb.305:                              ;   in Loop: Header=BB12_133 Depth=3
	buffer_load_dword v18, off, s[0:3], s33 offset:128 ; 4-byte Folded Reload
	buffer_load_dword v19, off, s[0:3], s33 offset:132 ; 4-byte Folded Reload
	v_or_b32_e32 v17, 0x10000, v16
	s_waitcnt vmcnt(1)
	v_cmp_eq_u32_sdwa vcc, v16, v18 src0_sel:WORD_0 src1_sel:DWORD
	v_cndmask_b32_e32 v37, v17, v16, vcc
.LBB12_306:                             ;   in Loop: Header=BB12_133 Depth=3
	s_or_b64 exec, exec, s[90:91]
	v_and_b32_e32 v16, 0xffff0000, v21
	v_mul_f32_e32 v16, v61, v16
	v_and_b32_e32 v17, 0x7f800000, v16
	v_cmp_ne_u32_e32 vcc, s97, v17
                                        ; implicit-def: $vgpr44
	s_and_saveexec_b64 s[90:91], vcc
	s_xor_b64 s[90:91], exec, s[90:91]
; %bb.307:                              ;   in Loop: Header=BB12_133 Depth=3
	v_bfe_u32 v17, v16, 16, 1
	v_add3_u32 v44, v16, v17, s46
                                        ; implicit-def: $vgpr16
; %bb.308:                              ;   in Loop: Header=BB12_133 Depth=3
	s_andn2_saveexec_b64 s[90:91], s[90:91]
	s_cbranch_execz .LBB12_310
; %bb.309:                              ;   in Loop: Header=BB12_133 Depth=3
	buffer_load_dword v18, off, s[0:3], s33 offset:128 ; 4-byte Folded Reload
	buffer_load_dword v19, off, s[0:3], s33 offset:132 ; 4-byte Folded Reload
	v_or_b32_e32 v17, 0x10000, v16
	s_waitcnt vmcnt(1)
	v_cmp_eq_u32_sdwa vcc, v16, v18 src0_sel:WORD_0 src1_sel:DWORD
	v_cndmask_b32_e32 v44, v17, v16, vcc
.LBB12_310:                             ;   in Loop: Header=BB12_133 Depth=3
	s_or_b64 exec, exec, s[90:91]
	v_lshlrev_b32_e32 v16, 16, v22
	v_mul_f32_e32 v16, v61, v16
	v_and_b32_e32 v17, 0x7f800000, v16
	v_cmp_ne_u32_e32 vcc, s97, v17
                                        ; implicit-def: $vgpr27
	s_and_saveexec_b64 s[90:91], vcc
	s_xor_b64 s[90:91], exec, s[90:91]
; %bb.311:                              ;   in Loop: Header=BB12_133 Depth=3
	v_bfe_u32 v17, v16, 16, 1
	v_add3_u32 v27, v16, v17, s46
                                        ; implicit-def: $vgpr16
; %bb.312:                              ;   in Loop: Header=BB12_133 Depth=3
	s_andn2_saveexec_b64 s[90:91], s[90:91]
	s_cbranch_execz .LBB12_314
; %bb.313:                              ;   in Loop: Header=BB12_133 Depth=3
	buffer_load_dword v18, off, s[0:3], s33 offset:128 ; 4-byte Folded Reload
	buffer_load_dword v19, off, s[0:3], s33 offset:132 ; 4-byte Folded Reload
	v_or_b32_e32 v17, 0x10000, v16
	s_waitcnt vmcnt(1)
	v_cmp_eq_u32_sdwa vcc, v16, v18 src0_sel:WORD_0 src1_sel:DWORD
	v_cndmask_b32_e32 v27, v17, v16, vcc
.LBB12_314:                             ;   in Loop: Header=BB12_133 Depth=3
	s_or_b64 exec, exec, s[90:91]
	v_and_b32_e32 v16, 0xffff0000, v22
	v_mul_f32_e32 v16, v61, v16
	v_and_b32_e32 v17, 0x7f800000, v16
	v_cmp_ne_u32_e32 vcc, s97, v17
                                        ; implicit-def: $vgpr26
	s_and_saveexec_b64 s[90:91], vcc
	s_xor_b64 s[90:91], exec, s[90:91]
; %bb.315:                              ;   in Loop: Header=BB12_133 Depth=3
	v_bfe_u32 v17, v16, 16, 1
	v_add3_u32 v26, v16, v17, s46
                                        ; implicit-def: $vgpr16
; %bb.316:                              ;   in Loop: Header=BB12_133 Depth=3
	s_andn2_saveexec_b64 s[90:91], s[90:91]
	s_cbranch_execz .LBB12_318
; %bb.317:                              ;   in Loop: Header=BB12_133 Depth=3
	buffer_load_dword v18, off, s[0:3], s33 offset:128 ; 4-byte Folded Reload
	buffer_load_dword v19, off, s[0:3], s33 offset:132 ; 4-byte Folded Reload
	v_or_b32_e32 v17, 0x10000, v16
	s_waitcnt vmcnt(1)
	v_cmp_eq_u32_sdwa vcc, v16, v18 src0_sel:WORD_0 src1_sel:DWORD
	v_cndmask_b32_e32 v26, v17, v16, vcc
.LBB12_318:                             ;   in Loop: Header=BB12_133 Depth=3
	s_or_b64 exec, exec, s[90:91]
	v_lshlrev_b32_e32 v16, 16, v23
	v_mul_f32_e32 v16, v61, v16
	v_and_b32_e32 v17, 0x7f800000, v16
	v_cmp_ne_u32_e32 vcc, s97, v17
                                        ; implicit-def: $vgpr45
	s_and_saveexec_b64 s[90:91], vcc
	s_xor_b64 s[90:91], exec, s[90:91]
; %bb.319:                              ;   in Loop: Header=BB12_133 Depth=3
	v_bfe_u32 v17, v16, 16, 1
	v_add3_u32 v45, v16, v17, s46
                                        ; implicit-def: $vgpr16
; %bb.320:                              ;   in Loop: Header=BB12_133 Depth=3
	s_andn2_saveexec_b64 s[90:91], s[90:91]
	s_cbranch_execz .LBB12_322
; %bb.321:                              ;   in Loop: Header=BB12_133 Depth=3
	buffer_load_dword v18, off, s[0:3], s33 offset:128 ; 4-byte Folded Reload
	buffer_load_dword v19, off, s[0:3], s33 offset:132 ; 4-byte Folded Reload
	v_or_b32_e32 v17, 0x10000, v16
	s_waitcnt vmcnt(1)
	v_cmp_eq_u32_sdwa vcc, v16, v18 src0_sel:WORD_0 src1_sel:DWORD
	v_cndmask_b32_e32 v45, v17, v16, vcc
.LBB12_322:                             ;   in Loop: Header=BB12_133 Depth=3
	s_or_b64 exec, exec, s[90:91]
	v_and_b32_e32 v16, 0xffff0000, v23
	v_mul_f32_e32 v16, v61, v16
	v_and_b32_e32 v17, 0x7f800000, v16
	v_cmp_ne_u32_e32 vcc, s97, v17
                                        ; implicit-def: $vgpr19
	s_and_saveexec_b64 s[90:91], vcc
	s_xor_b64 s[90:91], exec, s[90:91]
	s_cbranch_execz .LBB12_324
; %bb.323:                              ;   in Loop: Header=BB12_133 Depth=3
	v_bfe_u32 v17, v16, 16, 1
	s_waitcnt vmcnt(0)
	v_add3_u32 v19, v16, v17, s46
                                        ; implicit-def: $vgpr16
.LBB12_324:                             ;   in Loop: Header=BB12_133 Depth=3
	s_andn2_saveexec_b64 s[90:91], s[90:91]
	s_cbranch_execz .LBB12_326
; %bb.325:                              ;   in Loop: Header=BB12_133 Depth=3
	buffer_load_dword v18, off, s[0:3], s33 offset:128 ; 4-byte Folded Reload
	buffer_load_dword v19, off, s[0:3], s33 offset:132 ; 4-byte Folded Reload
	v_or_b32_e32 v17, 0x10000, v16
	s_waitcnt vmcnt(1)
	v_cmp_eq_u32_sdwa vcc, v16, v18 src0_sel:WORD_0 src1_sel:DWORD
	s_waitcnt vmcnt(0)
	v_cndmask_b32_e32 v19, v17, v16, vcc
.LBB12_326:                             ;   in Loop: Header=BB12_133 Depth=3
	s_or_b64 exec, exec, s[90:91]
	buffer_load_dword v20, off, s[0:3], s33 offset:216 ; 4-byte Folded Reload
	buffer_load_dword v21, off, s[0:3], s33 offset:220 ; 4-byte Folded Reload
	buffer_load_dword v22, off, s[0:3], s33 offset:224 ; 4-byte Folded Reload
	buffer_load_dword v23, off, s[0:3], s33 offset:228 ; 4-byte Folded Reload
                                        ; implicit-def: $vgpr29
	s_waitcnt vmcnt(3)
	v_lshlrev_b32_e32 v16, 16, v20
	v_mul_f32_e32 v16, v61, v16
	v_and_b32_e32 v17, 0x7f800000, v16
	v_cmp_ne_u32_e32 vcc, s97, v17
	s_and_saveexec_b64 s[90:91], vcc
	s_xor_b64 s[90:91], exec, s[90:91]
; %bb.327:                              ;   in Loop: Header=BB12_133 Depth=3
	v_bfe_u32 v17, v16, 16, 1
	v_add3_u32 v29, v16, v17, s46
                                        ; implicit-def: $vgpr16
; %bb.328:                              ;   in Loop: Header=BB12_133 Depth=3
	s_andn2_saveexec_b64 s[90:91], s[90:91]
	s_cbranch_execz .LBB12_330
; %bb.329:                              ;   in Loop: Header=BB12_133 Depth=3
	buffer_load_dword v20, off, s[0:3], s33 offset:128 ; 4-byte Folded Reload
	buffer_load_dword v21, off, s[0:3], s33 offset:132 ; 4-byte Folded Reload
	v_or_b32_e32 v17, 0x10000, v16
	s_waitcnt vmcnt(1)
	v_cmp_eq_u32_sdwa vcc, v16, v20 src0_sel:WORD_0 src1_sel:DWORD
	v_cndmask_b32_e32 v29, v17, v16, vcc
.LBB12_330:                             ;   in Loop: Header=BB12_133 Depth=3
	s_or_b64 exec, exec, s[90:91]
	buffer_load_dword v20, off, s[0:3], s33 offset:216 ; 4-byte Folded Reload
	buffer_load_dword v21, off, s[0:3], s33 offset:220 ; 4-byte Folded Reload
	;; [unrolled: 1-line block ×4, first 2 shown]
                                        ; implicit-def: $vgpr30
	s_waitcnt vmcnt(3)
	v_and_b32_e32 v16, 0xffff0000, v20
	v_mul_f32_e32 v16, v61, v16
	v_and_b32_e32 v17, 0x7f800000, v16
	v_cmp_ne_u32_e32 vcc, s97, v17
	s_and_saveexec_b64 s[90:91], vcc
	s_xor_b64 s[90:91], exec, s[90:91]
; %bb.331:                              ;   in Loop: Header=BB12_133 Depth=3
	v_bfe_u32 v17, v16, 16, 1
	v_add3_u32 v30, v16, v17, s46
                                        ; implicit-def: $vgpr16
; %bb.332:                              ;   in Loop: Header=BB12_133 Depth=3
	s_andn2_saveexec_b64 s[90:91], s[90:91]
	s_cbranch_execz .LBB12_334
; %bb.333:                              ;   in Loop: Header=BB12_133 Depth=3
	buffer_load_dword v20, off, s[0:3], s33 offset:128 ; 4-byte Folded Reload
	buffer_load_dword v21, off, s[0:3], s33 offset:132 ; 4-byte Folded Reload
	v_or_b32_e32 v17, 0x10000, v16
	s_waitcnt vmcnt(1)
	v_cmp_eq_u32_sdwa vcc, v16, v20 src0_sel:WORD_0 src1_sel:DWORD
	v_cndmask_b32_e32 v30, v17, v16, vcc
.LBB12_334:                             ;   in Loop: Header=BB12_133 Depth=3
	s_or_b64 exec, exec, s[90:91]
	buffer_load_dword v20, off, s[0:3], s33 offset:216 ; 4-byte Folded Reload
	buffer_load_dword v21, off, s[0:3], s33 offset:220 ; 4-byte Folded Reload
	;; [unrolled: 1-line block ×4, first 2 shown]
                                        ; implicit-def: $vgpr24
	s_waitcnt vmcnt(2)
	v_lshlrev_b32_e32 v16, 16, v21
	v_mul_f32_e32 v16, v61, v16
	v_and_b32_e32 v17, 0x7f800000, v16
	v_cmp_ne_u32_e32 vcc, s97, v17
	s_and_saveexec_b64 s[90:91], vcc
	s_xor_b64 s[90:91], exec, s[90:91]
; %bb.335:                              ;   in Loop: Header=BB12_133 Depth=3
	v_bfe_u32 v17, v16, 16, 1
	v_add3_u32 v24, v16, v17, s46
                                        ; implicit-def: $vgpr16
; %bb.336:                              ;   in Loop: Header=BB12_133 Depth=3
	s_andn2_saveexec_b64 s[90:91], s[90:91]
	s_cbranch_execz .LBB12_338
; %bb.337:                              ;   in Loop: Header=BB12_133 Depth=3
	buffer_load_dword v20, off, s[0:3], s33 offset:128 ; 4-byte Folded Reload
	buffer_load_dword v21, off, s[0:3], s33 offset:132 ; 4-byte Folded Reload
	v_or_b32_e32 v17, 0x10000, v16
	s_waitcnt vmcnt(1)
	v_cmp_eq_u32_sdwa vcc, v16, v20 src0_sel:WORD_0 src1_sel:DWORD
	v_cndmask_b32_e32 v24, v17, v16, vcc
.LBB12_338:                             ;   in Loop: Header=BB12_133 Depth=3
	s_or_b64 exec, exec, s[90:91]
	buffer_load_dword v20, off, s[0:3], s33 offset:216 ; 4-byte Folded Reload
	buffer_load_dword v21, off, s[0:3], s33 offset:220 ; 4-byte Folded Reload
	;; [unrolled: 1-line block ×4, first 2 shown]
                                        ; implicit-def: $vgpr46
	s_waitcnt vmcnt(2)
	v_and_b32_e32 v16, 0xffff0000, v21
	v_mul_f32_e32 v16, v61, v16
	v_and_b32_e32 v17, 0x7f800000, v16
	v_cmp_ne_u32_e32 vcc, s97, v17
	s_and_saveexec_b64 s[90:91], vcc
	s_xor_b64 s[90:91], exec, s[90:91]
; %bb.339:                              ;   in Loop: Header=BB12_133 Depth=3
	v_bfe_u32 v17, v16, 16, 1
	v_add3_u32 v46, v16, v17, s46
                                        ; implicit-def: $vgpr16
; %bb.340:                              ;   in Loop: Header=BB12_133 Depth=3
	s_andn2_saveexec_b64 s[90:91], s[90:91]
	s_cbranch_execz .LBB12_342
; %bb.341:                              ;   in Loop: Header=BB12_133 Depth=3
	buffer_load_dword v20, off, s[0:3], s33 offset:128 ; 4-byte Folded Reload
	buffer_load_dword v21, off, s[0:3], s33 offset:132 ; 4-byte Folded Reload
	v_or_b32_e32 v17, 0x10000, v16
	s_waitcnt vmcnt(1)
	v_cmp_eq_u32_sdwa vcc, v16, v20 src0_sel:WORD_0 src1_sel:DWORD
	v_cndmask_b32_e32 v46, v17, v16, vcc
.LBB12_342:                             ;   in Loop: Header=BB12_133 Depth=3
	s_or_b64 exec, exec, s[90:91]
	buffer_load_dword v20, off, s[0:3], s33 offset:216 ; 4-byte Folded Reload
	buffer_load_dword v21, off, s[0:3], s33 offset:220 ; 4-byte Folded Reload
	;; [unrolled: 1-line block ×4, first 2 shown]
                                        ; implicit-def: $vgpr25
	s_waitcnt vmcnt(1)
	v_lshlrev_b32_e32 v16, 16, v22
	v_mul_f32_e32 v16, v61, v16
	v_and_b32_e32 v17, 0x7f800000, v16
	v_cmp_ne_u32_e32 vcc, s97, v17
	s_and_saveexec_b64 s[90:91], vcc
	s_xor_b64 s[90:91], exec, s[90:91]
; %bb.343:                              ;   in Loop: Header=BB12_133 Depth=3
	v_bfe_u32 v17, v16, 16, 1
	v_add3_u32 v25, v16, v17, s46
                                        ; implicit-def: $vgpr16
; %bb.344:                              ;   in Loop: Header=BB12_133 Depth=3
	s_andn2_saveexec_b64 s[90:91], s[90:91]
	s_cbranch_execz .LBB12_346
; %bb.345:                              ;   in Loop: Header=BB12_133 Depth=3
	buffer_load_dword v20, off, s[0:3], s33 offset:128 ; 4-byte Folded Reload
	buffer_load_dword v21, off, s[0:3], s33 offset:132 ; 4-byte Folded Reload
	v_or_b32_e32 v17, 0x10000, v16
	s_waitcnt vmcnt(1)
	v_cmp_eq_u32_sdwa vcc, v16, v20 src0_sel:WORD_0 src1_sel:DWORD
	v_cndmask_b32_e32 v25, v17, v16, vcc
.LBB12_346:                             ;   in Loop: Header=BB12_133 Depth=3
	s_or_b64 exec, exec, s[90:91]
	buffer_load_dword v20, off, s[0:3], s33 offset:216 ; 4-byte Folded Reload
	buffer_load_dword v21, off, s[0:3], s33 offset:220 ; 4-byte Folded Reload
	;; [unrolled: 1-line block ×4, first 2 shown]
                                        ; implicit-def: $vgpr31
	s_waitcnt vmcnt(1)
	v_and_b32_e32 v16, 0xffff0000, v22
	v_mul_f32_e32 v16, v61, v16
	v_and_b32_e32 v17, 0x7f800000, v16
	v_cmp_ne_u32_e32 vcc, s97, v17
	s_and_saveexec_b64 s[90:91], vcc
	s_xor_b64 s[90:91], exec, s[90:91]
; %bb.347:                              ;   in Loop: Header=BB12_133 Depth=3
	v_bfe_u32 v17, v16, 16, 1
	v_add3_u32 v31, v16, v17, s46
                                        ; implicit-def: $vgpr16
; %bb.348:                              ;   in Loop: Header=BB12_133 Depth=3
	s_andn2_saveexec_b64 s[90:91], s[90:91]
	s_cbranch_execz .LBB12_350
; %bb.349:                              ;   in Loop: Header=BB12_133 Depth=3
	buffer_load_dword v20, off, s[0:3], s33 offset:128 ; 4-byte Folded Reload
	buffer_load_dword v21, off, s[0:3], s33 offset:132 ; 4-byte Folded Reload
	v_or_b32_e32 v17, 0x10000, v16
	s_waitcnt vmcnt(1)
	v_cmp_eq_u32_sdwa vcc, v16, v20 src0_sel:WORD_0 src1_sel:DWORD
	v_cndmask_b32_e32 v31, v17, v16, vcc
.LBB12_350:                             ;   in Loop: Header=BB12_133 Depth=3
	s_or_b64 exec, exec, s[90:91]
	buffer_load_dword v20, off, s[0:3], s33 offset:216 ; 4-byte Folded Reload
	buffer_load_dword v21, off, s[0:3], s33 offset:220 ; 4-byte Folded Reload
	;; [unrolled: 1-line block ×4, first 2 shown]
                                        ; implicit-def: $vgpr47
	s_waitcnt vmcnt(0)
	v_lshlrev_b32_e32 v16, 16, v23
	v_mul_f32_e32 v16, v61, v16
	v_and_b32_e32 v17, 0x7f800000, v16
	v_cmp_ne_u32_e32 vcc, s97, v17
	s_and_saveexec_b64 s[90:91], vcc
	s_xor_b64 s[90:91], exec, s[90:91]
; %bb.351:                              ;   in Loop: Header=BB12_133 Depth=3
	v_bfe_u32 v17, v16, 16, 1
	v_add3_u32 v47, v16, v17, s46
                                        ; implicit-def: $vgpr16
; %bb.352:                              ;   in Loop: Header=BB12_133 Depth=3
	s_andn2_saveexec_b64 s[90:91], s[90:91]
	s_cbranch_execz .LBB12_354
; %bb.353:                              ;   in Loop: Header=BB12_133 Depth=3
	buffer_load_dword v20, off, s[0:3], s33 offset:128 ; 4-byte Folded Reload
	buffer_load_dword v21, off, s[0:3], s33 offset:132 ; 4-byte Folded Reload
	v_or_b32_e32 v17, 0x10000, v16
	s_waitcnt vmcnt(1)
	v_cmp_eq_u32_sdwa vcc, v16, v20 src0_sel:WORD_0 src1_sel:DWORD
	v_cndmask_b32_e32 v47, v17, v16, vcc
.LBB12_354:                             ;   in Loop: Header=BB12_133 Depth=3
	s_or_b64 exec, exec, s[90:91]
	buffer_load_dword v20, off, s[0:3], s33 offset:216 ; 4-byte Folded Reload
	buffer_load_dword v21, off, s[0:3], s33 offset:220 ; 4-byte Folded Reload
	;; [unrolled: 1-line block ×4, first 2 shown]
                                        ; implicit-def: $vgpr28
	s_waitcnt vmcnt(0)
	v_and_b32_e32 v16, 0xffff0000, v23
	v_mul_f32_e32 v16, v61, v16
	v_and_b32_e32 v17, 0x7f800000, v16
	v_cmp_ne_u32_e32 vcc, s97, v17
	s_and_saveexec_b64 s[90:91], vcc
	s_xor_b64 s[90:91], exec, s[90:91]
; %bb.355:                              ;   in Loop: Header=BB12_133 Depth=3
	v_bfe_u32 v17, v16, 16, 1
	v_add3_u32 v28, v16, v17, s46
                                        ; implicit-def: $vgpr16
; %bb.356:                              ;   in Loop: Header=BB12_133 Depth=3
	s_andn2_saveexec_b64 s[90:91], s[90:91]
	s_cbranch_execz .LBB12_358
; %bb.357:                              ;   in Loop: Header=BB12_133 Depth=3
	buffer_load_dword v20, off, s[0:3], s33 offset:128 ; 4-byte Folded Reload
	buffer_load_dword v21, off, s[0:3], s33 offset:132 ; 4-byte Folded Reload
	v_or_b32_e32 v17, 0x10000, v16
	s_waitcnt vmcnt(1)
	v_cmp_eq_u32_sdwa vcc, v16, v20 src0_sel:WORD_0 src1_sel:DWORD
	v_cndmask_b32_e32 v28, v17, v16, vcc
.LBB12_358:                             ;   in Loop: Header=BB12_133 Depth=3
	s_or_b64 exec, exec, s[90:91]
	buffer_load_dword v20, off, s[0:3], s33 offset:200 ; 4-byte Folded Reload
	buffer_load_dword v21, off, s[0:3], s33 offset:204 ; 4-byte Folded Reload
	;; [unrolled: 1-line block ×4, first 2 shown]
                                        ; implicit-def: $vgpr60
	s_waitcnt vmcnt(3)
	v_lshlrev_b32_e32 v16, 16, v20
	v_mul_f32_e32 v16, v61, v16
	v_and_b32_e32 v17, 0x7f800000, v16
	v_cmp_ne_u32_e32 vcc, s97, v17
	s_and_saveexec_b64 s[90:91], vcc
	s_xor_b64 s[90:91], exec, s[90:91]
; %bb.359:                              ;   in Loop: Header=BB12_133 Depth=3
	v_bfe_u32 v17, v16, 16, 1
	v_add3_u32 v60, v16, v17, s46
                                        ; implicit-def: $vgpr16
; %bb.360:                              ;   in Loop: Header=BB12_133 Depth=3
	s_andn2_saveexec_b64 s[90:91], s[90:91]
	s_cbranch_execz .LBB12_362
; %bb.361:                              ;   in Loop: Header=BB12_133 Depth=3
	buffer_load_dword v20, off, s[0:3], s33 offset:128 ; 4-byte Folded Reload
	buffer_load_dword v21, off, s[0:3], s33 offset:132 ; 4-byte Folded Reload
	v_or_b32_e32 v17, 0x10000, v16
	s_waitcnt vmcnt(1)
	v_cmp_eq_u32_sdwa vcc, v16, v20 src0_sel:WORD_0 src1_sel:DWORD
	v_cndmask_b32_e32 v60, v17, v16, vcc
.LBB12_362:                             ;   in Loop: Header=BB12_133 Depth=3
	s_or_b64 exec, exec, s[90:91]
	buffer_load_dword v20, off, s[0:3], s33 offset:200 ; 4-byte Folded Reload
	buffer_load_dword v21, off, s[0:3], s33 offset:204 ; 4-byte Folded Reload
	;; [unrolled: 1-line block ×4, first 2 shown]
	s_waitcnt vmcnt(3)
	v_and_b32_e32 v16, 0xffff0000, v20
	v_mul_f32_e32 v17, v61, v16
	v_and_b32_e32 v16, 0x7f800000, v17
	v_cmp_ne_u32_e32 vcc, s97, v16
                                        ; implicit-def: $vgpr16
	s_and_saveexec_b64 s[90:91], vcc
	s_xor_b64 s[90:91], exec, s[90:91]
; %bb.363:                              ;   in Loop: Header=BB12_133 Depth=3
	v_bfe_u32 v16, v17, 16, 1
	v_add3_u32 v16, v17, v16, s46
                                        ; implicit-def: $vgpr17
; %bb.364:                              ;   in Loop: Header=BB12_133 Depth=3
	s_andn2_saveexec_b64 s[90:91], s[90:91]
	s_cbranch_execz .LBB12_366
; %bb.365:                              ;   in Loop: Header=BB12_133 Depth=3
	buffer_load_dword v20, off, s[0:3], s33 offset:128 ; 4-byte Folded Reload
	buffer_load_dword v21, off, s[0:3], s33 offset:132 ; 4-byte Folded Reload
	v_or_b32_e32 v16, 0x10000, v17
	s_waitcnt vmcnt(1)
	v_cmp_eq_u32_sdwa vcc, v17, v20 src0_sel:WORD_0 src1_sel:DWORD
	v_cndmask_b32_e32 v16, v16, v17, vcc
.LBB12_366:                             ;   in Loop: Header=BB12_133 Depth=3
	s_or_b64 exec, exec, s[90:91]
	buffer_load_dword v20, off, s[0:3], s33 offset:200 ; 4-byte Folded Reload
	buffer_load_dword v21, off, s[0:3], s33 offset:204 ; 4-byte Folded Reload
	;; [unrolled: 1-line block ×4, first 2 shown]
	s_waitcnt vmcnt(2)
	v_lshlrev_b32_e32 v17, 16, v21
	v_mul_f32_e32 v18, v61, v17
	v_and_b32_e32 v17, 0x7f800000, v18
	v_cmp_ne_u32_e32 vcc, s97, v17
                                        ; implicit-def: $vgpr17
	s_and_saveexec_b64 s[90:91], vcc
	s_xor_b64 s[90:91], exec, s[90:91]
; %bb.367:                              ;   in Loop: Header=BB12_133 Depth=3
	v_bfe_u32 v17, v18, 16, 1
	v_add3_u32 v17, v18, v17, s46
                                        ; implicit-def: $vgpr18
; %bb.368:                              ;   in Loop: Header=BB12_133 Depth=3
	s_andn2_saveexec_b64 s[90:91], s[90:91]
	s_cbranch_execz .LBB12_370
; %bb.369:                              ;   in Loop: Header=BB12_133 Depth=3
	buffer_load_dword v20, off, s[0:3], s33 offset:128 ; 4-byte Folded Reload
	buffer_load_dword v21, off, s[0:3], s33 offset:132 ; 4-byte Folded Reload
	v_or_b32_e32 v17, 0x10000, v18
	s_waitcnt vmcnt(1)
	v_cmp_eq_u32_sdwa vcc, v18, v20 src0_sel:WORD_0 src1_sel:DWORD
	v_cndmask_b32_e32 v17, v17, v18, vcc
.LBB12_370:                             ;   in Loop: Header=BB12_133 Depth=3
	s_or_b64 exec, exec, s[90:91]
	buffer_load_dword v20, off, s[0:3], s33 offset:200 ; 4-byte Folded Reload
	buffer_load_dword v21, off, s[0:3], s33 offset:204 ; 4-byte Folded Reload
	;; [unrolled: 1-line block ×4, first 2 shown]
	s_waitcnt vmcnt(2)
	v_and_b32_e32 v18, 0xffff0000, v21
	v_mul_f32_e32 v20, v61, v18
	v_and_b32_e32 v18, 0x7f800000, v20
	v_cmp_ne_u32_e32 vcc, s97, v18
                                        ; implicit-def: $vgpr18
	s_and_saveexec_b64 s[90:91], vcc
	s_xor_b64 s[90:91], exec, s[90:91]
; %bb.371:                              ;   in Loop: Header=BB12_133 Depth=3
	v_bfe_u32 v18, v20, 16, 1
	v_add3_u32 v18, v20, v18, s46
                                        ; implicit-def: $vgpr20
; %bb.372:                              ;   in Loop: Header=BB12_133 Depth=3
	s_andn2_saveexec_b64 s[90:91], s[90:91]
	s_cbranch_execz .LBB12_374
; %bb.373:                              ;   in Loop: Header=BB12_133 Depth=3
	buffer_load_dword v21, off, s[0:3], s33 offset:128 ; 4-byte Folded Reload
	buffer_load_dword v22, off, s[0:3], s33 offset:132 ; 4-byte Folded Reload
	v_or_b32_e32 v18, 0x10000, v20
	s_waitcnt vmcnt(1)
	v_cmp_eq_u32_sdwa vcc, v20, v21 src0_sel:WORD_0 src1_sel:DWORD
	v_cndmask_b32_e32 v18, v18, v20, vcc
.LBB12_374:                             ;   in Loop: Header=BB12_133 Depth=3
	s_or_b64 exec, exec, s[90:91]
	buffer_load_dword v20, off, s[0:3], s33 offset:200 ; 4-byte Folded Reload
	buffer_load_dword v21, off, s[0:3], s33 offset:204 ; 4-byte Folded Reload
	;; [unrolled: 1-line block ×4, first 2 shown]
	s_waitcnt vmcnt(1)
	v_lshlrev_b32_e32 v20, 16, v22
	v_mul_f32_e32 v21, v61, v20
	v_and_b32_e32 v20, 0x7f800000, v21
	v_cmp_ne_u32_e32 vcc, s97, v20
                                        ; implicit-def: $vgpr20
	s_and_saveexec_b64 s[90:91], vcc
	s_xor_b64 s[90:91], exec, s[90:91]
; %bb.375:                              ;   in Loop: Header=BB12_133 Depth=3
	v_bfe_u32 v20, v21, 16, 1
	v_add3_u32 v20, v21, v20, s46
                                        ; implicit-def: $vgpr21
; %bb.376:                              ;   in Loop: Header=BB12_133 Depth=3
	s_andn2_saveexec_b64 s[90:91], s[90:91]
	s_cbranch_execz .LBB12_378
; %bb.377:                              ;   in Loop: Header=BB12_133 Depth=3
	buffer_load_dword v22, off, s[0:3], s33 offset:128 ; 4-byte Folded Reload
	buffer_load_dword v23, off, s[0:3], s33 offset:132 ; 4-byte Folded Reload
	v_or_b32_e32 v20, 0x10000, v21
	s_waitcnt vmcnt(1)
	v_cmp_eq_u32_sdwa vcc, v21, v22 src0_sel:WORD_0 src1_sel:DWORD
	v_cndmask_b32_e32 v20, v20, v21, vcc
.LBB12_378:                             ;   in Loop: Header=BB12_133 Depth=3
	s_or_b64 exec, exec, s[90:91]
	buffer_load_dword v48, off, s[0:3], s33 offset:200 ; 4-byte Folded Reload
	buffer_load_dword v49, off, s[0:3], s33 offset:204 ; 4-byte Folded Reload
	;; [unrolled: 1-line block ×4, first 2 shown]
	s_waitcnt vmcnt(1)
	v_and_b32_e32 v21, 0xffff0000, v50
	v_mul_f32_e32 v21, v61, v21
	v_and_b32_e32 v22, 0x7f800000, v21
	v_cmp_ne_u32_e32 vcc, s97, v22
                                        ; implicit-def: $vgpr22
	s_and_saveexec_b64 s[90:91], vcc
	s_xor_b64 s[90:91], exec, s[90:91]
; %bb.379:                              ;   in Loop: Header=BB12_133 Depth=3
	v_bfe_u32 v22, v21, 16, 1
	v_add3_u32 v22, v21, v22, s46
                                        ; implicit-def: $vgpr21
; %bb.380:                              ;   in Loop: Header=BB12_133 Depth=3
	s_andn2_saveexec_b64 s[90:91], s[90:91]
	s_cbranch_execz .LBB12_382
; %bb.381:                              ;   in Loop: Header=BB12_133 Depth=3
	buffer_load_dword v48, off, s[0:3], s33 offset:128 ; 4-byte Folded Reload
	buffer_load_dword v49, off, s[0:3], s33 offset:132 ; 4-byte Folded Reload
	v_or_b32_e32 v22, 0x10000, v21
	s_waitcnt vmcnt(1)
	v_cmp_eq_u32_sdwa vcc, v21, v48 src0_sel:WORD_0 src1_sel:DWORD
	v_cndmask_b32_e32 v22, v22, v21, vcc
.LBB12_382:                             ;   in Loop: Header=BB12_133 Depth=3
	s_or_b64 exec, exec, s[90:91]
	buffer_load_dword v48, off, s[0:3], s33 offset:200 ; 4-byte Folded Reload
	buffer_load_dword v49, off, s[0:3], s33 offset:204 ; 4-byte Folded Reload
	;; [unrolled: 1-line block ×4, first 2 shown]
	s_waitcnt vmcnt(0)
	v_lshlrev_b32_e32 v21, 16, v51
	v_mul_f32_e32 v21, v61, v21
	v_and_b32_e32 v23, 0x7f800000, v21
	v_cmp_ne_u32_e32 vcc, s97, v23
                                        ; implicit-def: $vgpr23
	s_and_saveexec_b64 s[90:91], vcc
	s_xor_b64 s[90:91], exec, s[90:91]
; %bb.383:                              ;   in Loop: Header=BB12_133 Depth=3
	v_bfe_u32 v23, v21, 16, 1
	v_add3_u32 v23, v21, v23, s46
                                        ; implicit-def: $vgpr21
; %bb.384:                              ;   in Loop: Header=BB12_133 Depth=3
	s_andn2_saveexec_b64 s[90:91], s[90:91]
	s_cbranch_execz .LBB12_386
; %bb.385:                              ;   in Loop: Header=BB12_133 Depth=3
	buffer_load_dword v48, off, s[0:3], s33 offset:128 ; 4-byte Folded Reload
	buffer_load_dword v49, off, s[0:3], s33 offset:132 ; 4-byte Folded Reload
	v_or_b32_e32 v23, 0x10000, v21
	s_waitcnt vmcnt(1)
	v_cmp_eq_u32_sdwa vcc, v21, v48 src0_sel:WORD_0 src1_sel:DWORD
	v_cndmask_b32_e32 v23, v23, v21, vcc
.LBB12_386:                             ;   in Loop: Header=BB12_133 Depth=3
	s_or_b64 exec, exec, s[90:91]
	buffer_load_dword v48, off, s[0:3], s33 offset:200 ; 4-byte Folded Reload
	buffer_load_dword v49, off, s[0:3], s33 offset:204 ; 4-byte Folded Reload
	;; [unrolled: 1-line block ×4, first 2 shown]
	s_waitcnt vmcnt(0)
	v_and_b32_e32 v21, 0xffff0000, v51
	v_mul_f32_e32 v48, v61, v21
	v_and_b32_e32 v21, 0x7f800000, v48
	v_cmp_ne_u32_e32 vcc, s97, v21
                                        ; implicit-def: $vgpr21
	s_and_saveexec_b64 s[90:91], vcc
	s_xor_b64 s[90:91], exec, s[90:91]
; %bb.387:                              ;   in Loop: Header=BB12_133 Depth=3
	v_bfe_u32 v21, v48, 16, 1
	v_add3_u32 v21, v48, v21, s46
                                        ; implicit-def: $vgpr48
; %bb.388:                              ;   in Loop: Header=BB12_133 Depth=3
	s_andn2_saveexec_b64 s[90:91], s[90:91]
	s_cbranch_execz .LBB12_390
; %bb.389:                              ;   in Loop: Header=BB12_133 Depth=3
	buffer_load_dword v49, off, s[0:3], s33 offset:128 ; 4-byte Folded Reload
	buffer_load_dword v50, off, s[0:3], s33 offset:132 ; 4-byte Folded Reload
	v_or_b32_e32 v21, 0x10000, v48
	s_waitcnt vmcnt(1)
	v_cmp_eq_u32_sdwa vcc, v48, v49 src0_sel:WORD_0 src1_sel:DWORD
	v_cndmask_b32_e32 v21, v21, v48, vcc
.LBB12_390:                             ;   in Loop: Header=BB12_133 Depth=3
	s_or_b64 exec, exec, s[90:91]
	v_lshrrev_b32_e32 v24, 16, v24
	v_and_or_b32 v33, v46, s47, v24
	v_lshrrev_b32_e32 v24, 16, v25
	v_and_or_b32 v34, v31, s47, v24
	;; [unrolled: 2-line block ×3, first 2 shown]
	v_lshrrev_b32_e32 v24, 16, v37
	v_lshrrev_b32_e32 v25, 16, v36
	v_and_or_b32 v37, v44, s47, v24
	v_lshrrev_b32_e32 v24, 16, v27
	v_and_or_b32 v36, v38, s47, v25
	v_and_or_b32 v38, v26, s47, v24
	v_lshrrev_b32_e32 v24, 16, v45
	v_and_or_b32 v39, v19, s47, v24
	buffer_load_dword v19, off, s[0:3], s33 offset:628 ; 4-byte Folded Reload
	buffer_load_dword v25, off, s[0:3], s33 offset:636 ; 4-byte Folded Reload
	;; [unrolled: 1-line block ×5, first 2 shown]
	v_lshrrev_b32_e32 v48, 16, v29
	v_and_or_b32 v32, v30, s47, v48
	buffer_load_dword v30, off, s[0:3], s33 offset:356 ; 4-byte Folded Reload
	v_lshrrev_b32_e32 v17, 16, v17
	buffer_load_dword v31, off, s[0:3], s33 offset:364 ; 4-byte Folded Reload
	s_waitcnt vmcnt(6)
	v_lshrrev_b32_e32 v19, 16, v19
	s_waitcnt vmcnt(5)
	v_and_or_b32 v25, v25, s47, v19
	buffer_load_dword v19, off, s[0:3], s33 offset:620 ; 4-byte Folded Reload
	buffer_load_dword v28, off, s[0:3], s33 offset:476 ; 4-byte Folded Reload
	s_waitcnt vmcnt(6)
	v_lshrrev_b32_e32 v24, 16, v24
	s_waitcnt vmcnt(1)
	v_and_or_b32 v24, v19, s47, v24
	buffer_load_dword v19, off, s[0:3], s33 offset:644 ; 4-byte Folded Reload
	s_waitcnt vmcnt(0)
	v_lshrrev_b32_e32 v19, 16, v19
	v_and_or_b32 v26, v26, s47, v19
	buffer_load_dword v19, off, s[0:3], s33 offset:660 ; 4-byte Folded Reload
	s_waitcnt vmcnt(0)
	v_lshrrev_b32_e32 v19, 16, v19
	;; [unrolled: 4-line block ×3, first 2 shown]
	v_and_or_b32 v49, v28, s47, v19
	buffer_load_dword v19, off, s[0:3], s33 offset:464 ; 4-byte Folded Reload
	buffer_load_dword v28, off, s[0:3], s33 offset:468 ; 4-byte Folded Reload
	s_waitcnt vmcnt(1)
	v_lshrrev_b32_e32 v19, 16, v19
	s_waitcnt vmcnt(0)
	v_and_or_b32 v48, v28, s47, v19
	buffer_load_dword v19, off, s[0:3], s33 offset:480 ; 4-byte Folded Reload
	buffer_load_dword v28, off, s[0:3], s33 offset:488 ; 4-byte Folded Reload
	s_waitcnt vmcnt(1)
	v_lshrrev_b32_e32 v19, 16, v19
	s_waitcnt vmcnt(0)
	;; [unrolled: 6-line block ×3, first 2 shown]
	v_and_or_b32 v51, v28, s47, v19
	v_lshrrev_b32_e32 v19, 16, v53
	v_and_or_b32 v53, v55, s47, v19
	v_lshrrev_b32_e32 v19, 16, v52
	v_and_or_b32 v52, v54, s47, v19
	buffer_load_dword v19, off, s[0:3], s33 offset:452 ; 4-byte Folded Reload
	buffer_load_dword v28, off, s[0:3], s33 offset:456 ; 4-byte Folded Reload
	s_waitcnt vmcnt(1)
	v_lshrrev_b32_e32 v19, 16, v19
	s_waitcnt vmcnt(0)
	v_and_or_b32 v54, v28, s47, v19
	buffer_load_dword v19, off, s[0:3], s33 offset:460 ; 4-byte Folded Reload
	buffer_load_dword v28, off, s[0:3], s33 offset:284 ; 4-byte Folded Reload
	s_waitcnt vmcnt(1)
	v_lshrrev_b32_e32 v19, 16, v19
	s_waitcnt vmcnt(0)
	;; [unrolled: 6-line block ×8, first 2 shown]
	v_and_or_b32 v28, v28, s47, v19
	buffer_load_dword v19, off, s[0:3], s33 offset:352 ; 4-byte Folded Reload
	s_waitcnt vmcnt(0)
	v_lshrrev_b32_e32 v19, 16, v19
	v_and_or_b32 v30, v30, s47, v19
	buffer_load_dword v19, off, s[0:3], s33 offset:360 ; 4-byte Folded Reload
	s_waitcnt vmcnt(0)
	v_lshrrev_b32_e32 v19, 16, v19
	v_and_or_b32 v31, v31, s47, v19
	global_store_dwordx4 v[14:15], v[28:31], off glc slc
	global_store_dwordx4 v[14:15], v[44:47], off offset:1024 glc slc
	buffer_store_dword v52, off, s[0:3], s33 offset:284 ; 4-byte Folded Spill
	s_nop 0
	buffer_store_dword v53, off, s[0:3], s33 offset:288 ; 4-byte Folded Spill
	buffer_store_dword v54, off, s[0:3], s33 offset:292 ; 4-byte Folded Spill
	;; [unrolled: 1-line block ×3, first 2 shown]
	v_and_or_b32 v19, v18, s47, v17
	v_lshrrev_b32_e32 v17, 16, v60
	v_and_or_b32 v18, v16, s47, v17
	v_lshrrev_b32_e32 v16, 16, v20
	;; [unrolled: 2-line block ×3, first 2 shown]
	v_and_or_b32 v21, v21, s47, v16
	v_add_co_u32_e32 v16, vcc, s81, v14
	v_addc_co_u32_e32 v17, vcc, 0, v15, vcc
	global_store_dwordx4 v[14:15], v[52:55], off offset:2048 glc slc
	global_store_dwordx4 v[14:15], v[48:51], off offset:3072 glc slc
	buffer_store_dword v24, off, s[0:3], s33 offset:240 ; 4-byte Folded Spill
	s_nop 0
	buffer_store_dword v25, off, s[0:3], s33 offset:244 ; 4-byte Folded Spill
	buffer_store_dword v26, off, s[0:3], s33 offset:248 ; 4-byte Folded Spill
	;; [unrolled: 1-line block ×3, first 2 shown]
	global_store_dwordx4 v[16:17], v[24:27], off glc slc
	buffer_store_dword v36, off, s[0:3], s33 offset:492 ; 4-byte Folded Spill
	s_nop 0
	buffer_store_dword v37, off, s[0:3], s33 offset:496 ; 4-byte Folded Spill
	buffer_store_dword v38, off, s[0:3], s33 offset:500 ; 4-byte Folded Spill
	buffer_store_dword v39, off, s[0:3], s33 offset:504 ; 4-byte Folded Spill
	global_store_dwordx4 v[16:17], v[36:39], off offset:1024 glc slc
	buffer_store_dword v32, off, s[0:3], s33 offset:216 ; 4-byte Folded Spill
	s_nop 0
	buffer_store_dword v33, off, s[0:3], s33 offset:220 ; 4-byte Folded Spill
	buffer_store_dword v34, off, s[0:3], s33 offset:224 ; 4-byte Folded Spill
	buffer_store_dword v35, off, s[0:3], s33 offset:228 ; 4-byte Folded Spill
	global_store_dwordx4 v[16:17], v[32:35], off offset:2048 glc slc
	;; [unrolled: 6-line block ×3, first 2 shown]
	buffer_load_dword v16, off, s[0:3], s33 offset:428 ; 4-byte Folded Reload
	s_waitcnt vmcnt(0)
	v_add_co_u32_e32 v14, vcc, v14, v16
	buffer_load_dword v16, off, s[0:3], s33 offset:432 ; 4-byte Folded Reload
	s_waitcnt vmcnt(0)
	v_addc_co_u32_e32 v15, vcc, v15, v16, vcc
.LBB12_391:                             ;   in Loop: Header=BB12_133 Depth=3
	s_or_b64 exec, exec, s[92:93]
	buffer_load_dword v16, off, s[0:3], s33 offset:428 ; 4-byte Folded Reload
	s_waitcnt vmcnt(0)
	v_add_co_u32_e32 v0, vcc, v0, v16
	buffer_load_dword v16, off, s[0:3], s33 offset:432 ; 4-byte Folded Reload
	s_waitcnt vmcnt(0)
	v_addc_co_u32_e32 v1, vcc, v1, v16, vcc
	buffer_load_dword v16, off, s[0:3], s33 offset:152 ; 4-byte Folded Reload
	buffer_load_dword v17, off, s[0:3], s33 offset:316 ; 4-byte Folded Reload
	s_waitcnt vmcnt(0)
	v_sub_u32_e32 v16, v17, v16
	v_cmp_lt_i32_e64 s[90:91], 0, v16
	buffer_store_dword v16, off, s[0:3], s33 offset:316 ; 4-byte Folded Spill
	s_and_saveexec_b64 s[92:93], s[90:91]
	s_cbranch_execz .LBB12_393
; %bb.392:                              ;   in Loop: Header=BB12_133 Depth=3
	global_load_dwordx4 v[28:31], v[0:1], off glc slc
	global_load_dwordx4 v[44:47], v[0:1], off offset:1024 glc slc
	global_load_dwordx4 v[16:19], v[0:1], off offset:2048 glc slc
	s_waitcnt vmcnt(0)
	buffer_store_dword v16, off, s[0:3], s33 offset:284 ; 4-byte Folded Spill
	s_nop 0
	buffer_store_dword v17, off, s[0:3], s33 offset:288 ; 4-byte Folded Spill
	buffer_store_dword v18, off, s[0:3], s33 offset:292 ; 4-byte Folded Spill
	;; [unrolled: 1-line block ×3, first 2 shown]
	v_add_co_u32_e32 v16, vcc, s81, v0
	v_addc_co_u32_e32 v17, vcc, 0, v1, vcc
	global_load_dwordx4 v[18:21], v[16:17], off glc slc
	global_load_dwordx4 v[48:51], v[0:1], off offset:3072 glc slc
	v_add_co_u32_e32 v0, vcc, 0x2000, v0
	v_addc_co_u32_e32 v1, vcc, 0, v1, vcc
	s_waitcnt vmcnt(1)
	buffer_store_dword v18, off, s[0:3], s33 offset:240 ; 4-byte Folded Spill
	s_nop 0
	buffer_store_dword v19, off, s[0:3], s33 offset:244 ; 4-byte Folded Spill
	buffer_store_dword v20, off, s[0:3], s33 offset:248 ; 4-byte Folded Spill
	buffer_store_dword v21, off, s[0:3], s33 offset:252 ; 4-byte Folded Spill
	global_load_dwordx4 v[18:21], v[16:17], off offset:1024 glc slc
	s_waitcnt vmcnt(0)
	buffer_store_dword v18, off, s[0:3], s33 offset:492 ; 4-byte Folded Spill
	s_nop 0
	buffer_store_dword v19, off, s[0:3], s33 offset:496 ; 4-byte Folded Spill
	buffer_store_dword v20, off, s[0:3], s33 offset:500 ; 4-byte Folded Spill
	buffer_store_dword v21, off, s[0:3], s33 offset:504 ; 4-byte Folded Spill
	global_load_dwordx4 v[18:21], v[16:17], off offset:2048 glc slc
	;; [unrolled: 7-line block ×3, first 2 shown]
	s_waitcnt vmcnt(0)
	buffer_store_dword v16, off, s[0:3], s33 offset:200 ; 4-byte Folded Spill
	s_nop 0
	buffer_store_dword v17, off, s[0:3], s33 offset:204 ; 4-byte Folded Spill
	buffer_store_dword v18, off, s[0:3], s33 offset:208 ; 4-byte Folded Spill
	;; [unrolled: 1-line block ×3, first 2 shown]
.LBB12_393:                             ;   in Loop: Header=BB12_133 Depth=3
	s_or_b64 exec, exec, s[92:93]
	v_lshlrev_b32_e32 v16, 16, v10
	v_mul_f32_e32 v16, v61, v16
	v_and_b32_e32 v17, 0x7f800000, v16
	v_cmp_ne_u32_e32 vcc, s97, v17
                                        ; implicit-def: $vgpr17
                                        ; kill: killed $vgpr17
	s_mov_b64 s[92:93], exec
	buffer_load_dword v19, off, s[0:3], s33 offset:300 ; 4-byte Folded Reload
	buffer_load_dword v20, off, s[0:3], s33 offset:304 ; 4-byte Folded Reload
	buffer_load_dword v21, off, s[0:3], s33 offset:308 ; 4-byte Folded Reload
	buffer_load_dword v22, off, s[0:3], s33 offset:312 ; 4-byte Folded Reload
	s_and_b64 s[94:95], s[92:93], vcc
	s_xor_b64 s[92:93], s[94:95], s[92:93]
	s_mov_b64 exec, s[94:95]
	s_cbranch_execz .LBB12_395
; %bb.394:                              ;   in Loop: Header=BB12_133 Depth=3
	v_bfe_u32 v17, v16, 16, 1
	v_add3_u32 v16, v16, v17, s46
	buffer_store_dword v16, off, s[0:3], s33 offset:324 ; 4-byte Folded Spill
                                        ; implicit-def: $vgpr16
.LBB12_395:                             ;   in Loop: Header=BB12_133 Depth=3
	s_andn2_saveexec_b64 s[92:93], s[92:93]
	s_cbranch_execz .LBB12_397
; %bb.396:                              ;   in Loop: Header=BB12_133 Depth=3
	buffer_load_dword v18, off, s[0:3], s33 offset:128 ; 4-byte Folded Reload
	buffer_load_dword v19, off, s[0:3], s33 offset:132 ; 4-byte Folded Reload
	;; [unrolled: 1-line block ×6, first 2 shown]
	v_or_b32_e32 v17, 0x10000, v16
	s_waitcnt vmcnt(5)
	v_cmp_eq_u32_sdwa vcc, v16, v18 src0_sel:WORD_0 src1_sel:DWORD
	v_cndmask_b32_e32 v16, v17, v16, vcc
	buffer_store_dword v16, off, s[0:3], s33 offset:324 ; 4-byte Folded Spill
.LBB12_397:                             ;   in Loop: Header=BB12_133 Depth=3
	s_or_b64 exec, exec, s[92:93]
	v_and_b32_e32 v10, 0xffff0000, v10
	v_mul_f32_e32 v10, v61, v10
	v_and_b32_e32 v16, 0x7f800000, v10
	v_cmp_ne_u32_e32 vcc, s97, v16
                                        ; implicit-def: $vgpr16
                                        ; kill: killed $vgpr16
	s_and_saveexec_b64 s[92:93], vcc
	s_xor_b64 s[92:93], exec, s[92:93]
	s_cbranch_execz .LBB12_399
; %bb.398:                              ;   in Loop: Header=BB12_133 Depth=3
	v_bfe_u32 v16, v10, 16, 1
	v_add3_u32 v10, v10, v16, s46
	buffer_store_dword v10, off, s[0:3], s33 offset:332 ; 4-byte Folded Spill
                                        ; implicit-def: $vgpr10
.LBB12_399:                             ;   in Loop: Header=BB12_133 Depth=3
	s_andn2_saveexec_b64 s[92:93], s[92:93]
	s_cbranch_execz .LBB12_401
; %bb.400:                              ;   in Loop: Header=BB12_133 Depth=3
	buffer_load_dword v17, off, s[0:3], s33 offset:128 ; 4-byte Folded Reload
	buffer_load_dword v18, off, s[0:3], s33 offset:132 ; 4-byte Folded Reload
	v_or_b32_e32 v16, 0x10000, v10
	s_waitcnt vmcnt(1)
	v_cmp_eq_u32_sdwa vcc, v10, v17 src0_sel:WORD_0 src1_sel:DWORD
	v_cndmask_b32_e32 v10, v16, v10, vcc
	buffer_store_dword v10, off, s[0:3], s33 offset:332 ; 4-byte Folded Spill
.LBB12_401:                             ;   in Loop: Header=BB12_133 Depth=3
	s_or_b64 exec, exec, s[92:93]
	v_lshlrev_b32_e32 v10, 16, v11
	v_mul_f32_e32 v10, v61, v10
	v_and_b32_e32 v16, 0x7f800000, v10
	v_cmp_ne_u32_e32 vcc, s97, v16
                                        ; implicit-def: $vgpr16
                                        ; kill: killed $vgpr16
	s_and_saveexec_b64 s[92:93], vcc
	s_xor_b64 s[92:93], exec, s[92:93]
	s_cbranch_execz .LBB12_403
; %bb.402:                              ;   in Loop: Header=BB12_133 Depth=3
	v_bfe_u32 v16, v10, 16, 1
	v_add3_u32 v10, v10, v16, s46
	buffer_store_dword v10, off, s[0:3], s33 offset:340 ; 4-byte Folded Spill
                                        ; implicit-def: $vgpr10
.LBB12_403:                             ;   in Loop: Header=BB12_133 Depth=3
	s_andn2_saveexec_b64 s[92:93], s[92:93]
	s_cbranch_execz .LBB12_405
; %bb.404:                              ;   in Loop: Header=BB12_133 Depth=3
	buffer_load_dword v17, off, s[0:3], s33 offset:128 ; 4-byte Folded Reload
	buffer_load_dword v18, off, s[0:3], s33 offset:132 ; 4-byte Folded Reload
	v_or_b32_e32 v16, 0x10000, v10
	s_waitcnt vmcnt(1)
	v_cmp_eq_u32_sdwa vcc, v10, v17 src0_sel:WORD_0 src1_sel:DWORD
	v_cndmask_b32_e32 v10, v16, v10, vcc
	buffer_store_dword v10, off, s[0:3], s33 offset:340 ; 4-byte Folded Spill
.LBB12_405:                             ;   in Loop: Header=BB12_133 Depth=3
	s_or_b64 exec, exec, s[92:93]
	v_and_b32_e32 v10, 0xffff0000, v11
	v_mul_f32_e32 v10, v61, v10
	v_and_b32_e32 v11, 0x7f800000, v10
	v_cmp_ne_u32_e32 vcc, s97, v11
                                        ; implicit-def: $vgpr11
                                        ; kill: killed $vgpr11
	s_and_saveexec_b64 s[92:93], vcc
	s_xor_b64 s[92:93], exec, s[92:93]
	s_cbranch_execz .LBB12_407
; %bb.406:                              ;   in Loop: Header=BB12_133 Depth=3
	v_bfe_u32 v11, v10, 16, 1
	v_add3_u32 v10, v10, v11, s46
	buffer_store_dword v10, off, s[0:3], s33 offset:344 ; 4-byte Folded Spill
                                        ; implicit-def: $vgpr10
.LBB12_407:                             ;   in Loop: Header=BB12_133 Depth=3
	s_andn2_saveexec_b64 s[92:93], s[92:93]
	s_cbranch_execz .LBB12_409
; %bb.408:                              ;   in Loop: Header=BB12_133 Depth=3
	buffer_load_dword v16, off, s[0:3], s33 offset:128 ; 4-byte Folded Reload
	buffer_load_dword v17, off, s[0:3], s33 offset:132 ; 4-byte Folded Reload
	v_or_b32_e32 v11, 0x10000, v10
	s_waitcnt vmcnt(1)
	v_cmp_eq_u32_sdwa vcc, v10, v16 src0_sel:WORD_0 src1_sel:DWORD
	v_cndmask_b32_e32 v10, v11, v10, vcc
	buffer_store_dword v10, off, s[0:3], s33 offset:344 ; 4-byte Folded Spill
.LBB12_409:                             ;   in Loop: Header=BB12_133 Depth=3
	s_or_b64 exec, exec, s[92:93]
	v_lshlrev_b32_e32 v10, 16, v12
	v_mul_f32_e32 v10, v61, v10
	v_and_b32_e32 v11, 0x7f800000, v10
	v_cmp_ne_u32_e32 vcc, s97, v11
                                        ; implicit-def: $vgpr11
                                        ; kill: killed $vgpr11
	s_and_saveexec_b64 s[92:93], vcc
	s_xor_b64 s[92:93], exec, s[92:93]
	s_cbranch_execz .LBB12_411
; %bb.410:                              ;   in Loop: Header=BB12_133 Depth=3
	v_bfe_u32 v11, v10, 16, 1
	v_add3_u32 v10, v10, v11, s46
	buffer_store_dword v10, off, s[0:3], s33 offset:352 ; 4-byte Folded Spill
                                        ; implicit-def: $vgpr10
.LBB12_411:                             ;   in Loop: Header=BB12_133 Depth=3
	s_andn2_saveexec_b64 s[92:93], s[92:93]
	s_cbranch_execz .LBB12_413
; %bb.412:                              ;   in Loop: Header=BB12_133 Depth=3
	buffer_load_dword v16, off, s[0:3], s33 offset:128 ; 4-byte Folded Reload
	buffer_load_dword v17, off, s[0:3], s33 offset:132 ; 4-byte Folded Reload
	v_or_b32_e32 v11, 0x10000, v10
	s_waitcnt vmcnt(1)
	v_cmp_eq_u32_sdwa vcc, v10, v16 src0_sel:WORD_0 src1_sel:DWORD
	v_cndmask_b32_e32 v10, v11, v10, vcc
	buffer_store_dword v10, off, s[0:3], s33 offset:352 ; 4-byte Folded Spill
.LBB12_413:                             ;   in Loop: Header=BB12_133 Depth=3
	s_or_b64 exec, exec, s[92:93]
	v_and_b32_e32 v10, 0xffff0000, v12
	v_mul_f32_e32 v10, v61, v10
	v_and_b32_e32 v11, 0x7f800000, v10
	v_cmp_ne_u32_e32 vcc, s97, v11
                                        ; implicit-def: $vgpr11
                                        ; kill: killed $vgpr11
	s_and_saveexec_b64 s[92:93], vcc
	s_xor_b64 s[92:93], exec, s[92:93]
	s_cbranch_execz .LBB12_415
; %bb.414:                              ;   in Loop: Header=BB12_133 Depth=3
	v_bfe_u32 v11, v10, 16, 1
	v_add3_u32 v10, v10, v11, s46
	buffer_store_dword v10, off, s[0:3], s33 offset:356 ; 4-byte Folded Spill
                                        ; implicit-def: $vgpr10
.LBB12_415:                             ;   in Loop: Header=BB12_133 Depth=3
	s_andn2_saveexec_b64 s[92:93], s[92:93]
	s_cbranch_execz .LBB12_417
; %bb.416:                              ;   in Loop: Header=BB12_133 Depth=3
	buffer_load_dword v16, off, s[0:3], s33 offset:128 ; 4-byte Folded Reload
	buffer_load_dword v17, off, s[0:3], s33 offset:132 ; 4-byte Folded Reload
	v_or_b32_e32 v11, 0x10000, v10
	s_waitcnt vmcnt(1)
	v_cmp_eq_u32_sdwa vcc, v10, v16 src0_sel:WORD_0 src1_sel:DWORD
	v_cndmask_b32_e32 v10, v11, v10, vcc
	buffer_store_dword v10, off, s[0:3], s33 offset:356 ; 4-byte Folded Spill
.LBB12_417:                             ;   in Loop: Header=BB12_133 Depth=3
	s_or_b64 exec, exec, s[92:93]
	v_lshlrev_b32_e32 v10, 16, v13
	v_mul_f32_e32 v10, v61, v10
	v_and_b32_e32 v11, 0x7f800000, v10
	v_cmp_ne_u32_e32 vcc, s97, v11
                                        ; implicit-def: $vgpr11
                                        ; kill: killed $vgpr11
	;; [unrolled: 54-line block ×3, first 2 shown]
	s_and_saveexec_b64 s[92:93], vcc
	s_xor_b64 s[92:93], exec, s[92:93]
	s_cbranch_execz .LBB12_427
; %bb.426:                              ;   in Loop: Header=BB12_133 Depth=3
	v_bfe_u32 v11, v10, 16, 1
	v_add3_u32 v10, v10, v11, s46
	buffer_store_dword v10, off, s[0:3], s33 offset:368 ; 4-byte Folded Spill
                                        ; implicit-def: $vgpr10
.LBB12_427:                             ;   in Loop: Header=BB12_133 Depth=3
	s_andn2_saveexec_b64 s[92:93], s[92:93]
	s_cbranch_execz .LBB12_429
; %bb.428:                              ;   in Loop: Header=BB12_133 Depth=3
	buffer_load_dword v12, off, s[0:3], s33 offset:128 ; 4-byte Folded Reload
	buffer_load_dword v13, off, s[0:3], s33 offset:132 ; 4-byte Folded Reload
	v_or_b32_e32 v11, 0x10000, v10
	s_waitcnt vmcnt(1)
	v_cmp_eq_u32_sdwa vcc, v10, v12 src0_sel:WORD_0 src1_sel:DWORD
	v_cndmask_b32_e32 v10, v11, v10, vcc
	buffer_store_dword v10, off, s[0:3], s33 offset:368 ; 4-byte Folded Spill
.LBB12_429:                             ;   in Loop: Header=BB12_133 Depth=3
	s_or_b64 exec, exec, s[92:93]
	v_and_b32_e32 v6, 0xffff0000, v6
	v_mul_f32_e32 v6, v61, v6
	v_and_b32_e32 v10, 0x7f800000, v6
	v_cmp_ne_u32_e32 vcc, s97, v10
                                        ; implicit-def: $vgpr10
                                        ; kill: killed $vgpr10
	s_and_saveexec_b64 s[92:93], vcc
	s_xor_b64 s[92:93], exec, s[92:93]
	s_cbranch_execz .LBB12_431
; %bb.430:                              ;   in Loop: Header=BB12_133 Depth=3
	v_bfe_u32 v10, v6, 16, 1
	v_add3_u32 v6, v6, v10, s46
	buffer_store_dword v6, off, s[0:3], s33 offset:372 ; 4-byte Folded Spill
                                        ; implicit-def: $vgpr6
.LBB12_431:                             ;   in Loop: Header=BB12_133 Depth=3
	s_andn2_saveexec_b64 s[92:93], s[92:93]
	s_cbranch_execz .LBB12_433
; %bb.432:                              ;   in Loop: Header=BB12_133 Depth=3
	buffer_load_dword v11, off, s[0:3], s33 offset:128 ; 4-byte Folded Reload
	buffer_load_dword v12, off, s[0:3], s33 offset:132 ; 4-byte Folded Reload
	v_or_b32_e32 v10, 0x10000, v6
	s_waitcnt vmcnt(1)
	v_cmp_eq_u32_sdwa vcc, v6, v11 src0_sel:WORD_0 src1_sel:DWORD
	v_cndmask_b32_e32 v6, v10, v6, vcc
	buffer_store_dword v6, off, s[0:3], s33 offset:372 ; 4-byte Folded Spill
.LBB12_433:                             ;   in Loop: Header=BB12_133 Depth=3
	s_or_b64 exec, exec, s[92:93]
	v_lshlrev_b32_e32 v6, 16, v7
	v_mul_f32_e32 v6, v61, v6
	v_and_b32_e32 v10, 0x7f800000, v6
	v_cmp_ne_u32_e32 vcc, s97, v10
                                        ; implicit-def: $vgpr10
                                        ; kill: killed $vgpr10
	s_and_saveexec_b64 s[92:93], vcc
	s_xor_b64 s[92:93], exec, s[92:93]
	s_cbranch_execz .LBB12_435
; %bb.434:                              ;   in Loop: Header=BB12_133 Depth=3
	v_bfe_u32 v10, v6, 16, 1
	v_add3_u32 v6, v6, v10, s46
	buffer_store_dword v6, off, s[0:3], s33 offset:376 ; 4-byte Folded Spill
                                        ; implicit-def: $vgpr6
.LBB12_435:                             ;   in Loop: Header=BB12_133 Depth=3
	s_andn2_saveexec_b64 s[92:93], s[92:93]
	s_cbranch_execz .LBB12_437
; %bb.436:                              ;   in Loop: Header=BB12_133 Depth=3
	buffer_load_dword v11, off, s[0:3], s33 offset:128 ; 4-byte Folded Reload
	buffer_load_dword v12, off, s[0:3], s33 offset:132 ; 4-byte Folded Reload
	v_or_b32_e32 v10, 0x10000, v6
	s_waitcnt vmcnt(1)
	v_cmp_eq_u32_sdwa vcc, v6, v11 src0_sel:WORD_0 src1_sel:DWORD
	v_cndmask_b32_e32 v6, v10, v6, vcc
	buffer_store_dword v6, off, s[0:3], s33 offset:376 ; 4-byte Folded Spill
.LBB12_437:                             ;   in Loop: Header=BB12_133 Depth=3
	s_or_b64 exec, exec, s[92:93]
	v_and_b32_e32 v6, 0xffff0000, v7
	v_mul_f32_e32 v6, v61, v6
	v_and_b32_e32 v7, 0x7f800000, v6
	v_cmp_ne_u32_e32 vcc, s97, v7
                                        ; implicit-def: $vgpr7
                                        ; kill: killed $vgpr7
	s_and_saveexec_b64 s[92:93], vcc
	s_xor_b64 s[92:93], exec, s[92:93]
	s_cbranch_execz .LBB12_439
; %bb.438:                              ;   in Loop: Header=BB12_133 Depth=3
	v_bfe_u32 v7, v6, 16, 1
	v_add3_u32 v6, v6, v7, s46
	buffer_store_dword v6, off, s[0:3], s33 offset:380 ; 4-byte Folded Spill
                                        ; implicit-def: $vgpr6
.LBB12_439:                             ;   in Loop: Header=BB12_133 Depth=3
	s_andn2_saveexec_b64 s[92:93], s[92:93]
	s_cbranch_execz .LBB12_441
; %bb.440:                              ;   in Loop: Header=BB12_133 Depth=3
	buffer_load_dword v10, off, s[0:3], s33 offset:128 ; 4-byte Folded Reload
	buffer_load_dword v11, off, s[0:3], s33 offset:132 ; 4-byte Folded Reload
	v_or_b32_e32 v7, 0x10000, v6
	s_waitcnt vmcnt(1)
	v_cmp_eq_u32_sdwa vcc, v6, v10 src0_sel:WORD_0 src1_sel:DWORD
	v_cndmask_b32_e32 v6, v7, v6, vcc
	buffer_store_dword v6, off, s[0:3], s33 offset:380 ; 4-byte Folded Spill
.LBB12_441:                             ;   in Loop: Header=BB12_133 Depth=3
	s_or_b64 exec, exec, s[92:93]
	v_lshlrev_b32_e32 v6, 16, v8
	v_mul_f32_e32 v6, v61, v6
	v_and_b32_e32 v7, 0x7f800000, v6
	v_cmp_ne_u32_e32 vcc, s97, v7
                                        ; implicit-def: $vgpr7
                                        ; kill: killed $vgpr7
	s_and_saveexec_b64 s[92:93], vcc
	s_xor_b64 s[92:93], exec, s[92:93]
	s_cbranch_execz .LBB12_443
; %bb.442:                              ;   in Loop: Header=BB12_133 Depth=3
	v_bfe_u32 v7, v6, 16, 1
	v_add3_u32 v6, v6, v7, s46
	buffer_store_dword v6, off, s[0:3], s33 offset:436 ; 4-byte Folded Spill
                                        ; implicit-def: $vgpr6
.LBB12_443:                             ;   in Loop: Header=BB12_133 Depth=3
	s_andn2_saveexec_b64 s[92:93], s[92:93]
	s_cbranch_execz .LBB12_445
; %bb.444:                              ;   in Loop: Header=BB12_133 Depth=3
	buffer_load_dword v10, off, s[0:3], s33 offset:128 ; 4-byte Folded Reload
	buffer_load_dword v11, off, s[0:3], s33 offset:132 ; 4-byte Folded Reload
	v_or_b32_e32 v7, 0x10000, v6
	s_waitcnt vmcnt(1)
	v_cmp_eq_u32_sdwa vcc, v6, v10 src0_sel:WORD_0 src1_sel:DWORD
	v_cndmask_b32_e32 v6, v7, v6, vcc
	buffer_store_dword v6, off, s[0:3], s33 offset:436 ; 4-byte Folded Spill
.LBB12_445:                             ;   in Loop: Header=BB12_133 Depth=3
	s_or_b64 exec, exec, s[92:93]
	v_and_b32_e32 v6, 0xffff0000, v8
	v_mul_f32_e32 v6, v61, v6
	v_and_b32_e32 v7, 0x7f800000, v6
	v_cmp_ne_u32_e32 vcc, s97, v7
                                        ; implicit-def: $vgpr7
                                        ; kill: killed $vgpr7
	s_and_saveexec_b64 s[92:93], vcc
	s_xor_b64 s[92:93], exec, s[92:93]
	s_cbranch_execz .LBB12_447
; %bb.446:                              ;   in Loop: Header=BB12_133 Depth=3
	v_bfe_u32 v7, v6, 16, 1
	v_add3_u32 v6, v6, v7, s46
	buffer_store_dword v6, off, s[0:3], s33 offset:440 ; 4-byte Folded Spill
                                        ; implicit-def: $vgpr6
.LBB12_447:                             ;   in Loop: Header=BB12_133 Depth=3
	s_andn2_saveexec_b64 s[92:93], s[92:93]
	s_cbranch_execz .LBB12_449
; %bb.448:                              ;   in Loop: Header=BB12_133 Depth=3
	buffer_load_dword v10, off, s[0:3], s33 offset:128 ; 4-byte Folded Reload
	buffer_load_dword v11, off, s[0:3], s33 offset:132 ; 4-byte Folded Reload
	v_or_b32_e32 v7, 0x10000, v6
	s_waitcnt vmcnt(1)
	v_cmp_eq_u32_sdwa vcc, v6, v10 src0_sel:WORD_0 src1_sel:DWORD
	v_cndmask_b32_e32 v6, v7, v6, vcc
	buffer_store_dword v6, off, s[0:3], s33 offset:440 ; 4-byte Folded Spill
.LBB12_449:                             ;   in Loop: Header=BB12_133 Depth=3
	s_or_b64 exec, exec, s[92:93]
	v_lshlrev_b32_e32 v6, 16, v9
	v_mul_f32_e32 v6, v61, v6
	v_and_b32_e32 v7, 0x7f800000, v6
	v_cmp_ne_u32_e32 vcc, s97, v7
                                        ; implicit-def: $vgpr7
                                        ; kill: killed $vgpr7
	s_and_saveexec_b64 s[92:93], vcc
	s_xor_b64 s[92:93], exec, s[92:93]
	s_cbranch_execz .LBB12_451
; %bb.450:                              ;   in Loop: Header=BB12_133 Depth=3
	v_bfe_u32 v7, v6, 16, 1
	v_add3_u32 v6, v6, v7, s46
	buffer_store_dword v6, off, s[0:3], s33 offset:444 ; 4-byte Folded Spill
                                        ; implicit-def: $vgpr6
.LBB12_451:                             ;   in Loop: Header=BB12_133 Depth=3
	s_andn2_saveexec_b64 s[92:93], s[92:93]
	s_cbranch_execz .LBB12_453
; %bb.452:                              ;   in Loop: Header=BB12_133 Depth=3
	buffer_load_dword v10, off, s[0:3], s33 offset:128 ; 4-byte Folded Reload
	buffer_load_dword v11, off, s[0:3], s33 offset:132 ; 4-byte Folded Reload
	v_or_b32_e32 v7, 0x10000, v6
	s_waitcnt vmcnt(1)
	v_cmp_eq_u32_sdwa vcc, v6, v10 src0_sel:WORD_0 src1_sel:DWORD
	v_cndmask_b32_e32 v6, v7, v6, vcc
	buffer_store_dword v6, off, s[0:3], s33 offset:444 ; 4-byte Folded Spill
.LBB12_453:                             ;   in Loop: Header=BB12_133 Depth=3
	s_or_b64 exec, exec, s[92:93]
	v_and_b32_e32 v6, 0xffff0000, v9
	v_mul_f32_e32 v6, v61, v6
	v_and_b32_e32 v7, 0x7f800000, v6
	v_cmp_ne_u32_e32 vcc, s97, v7
                                        ; implicit-def: $vgpr7
                                        ; kill: killed $vgpr7
	s_and_saveexec_b64 s[92:93], vcc
	s_xor_b64 s[92:93], exec, s[92:93]
	s_cbranch_execz .LBB12_455
; %bb.454:                              ;   in Loop: Header=BB12_133 Depth=3
	v_bfe_u32 v7, v6, 16, 1
	v_add3_u32 v6, v6, v7, s46
	buffer_store_dword v6, off, s[0:3], s33 offset:448 ; 4-byte Folded Spill
                                        ; implicit-def: $vgpr6
.LBB12_455:                             ;   in Loop: Header=BB12_133 Depth=3
	s_andn2_saveexec_b64 s[92:93], s[92:93]
	s_cbranch_execz .LBB12_457
; %bb.456:                              ;   in Loop: Header=BB12_133 Depth=3
	buffer_load_dword v8, off, s[0:3], s33 offset:128 ; 4-byte Folded Reload
	buffer_load_dword v9, off, s[0:3], s33 offset:132 ; 4-byte Folded Reload
	v_or_b32_e32 v7, 0x10000, v6
	s_waitcnt vmcnt(1)
	v_cmp_eq_u32_sdwa vcc, v6, v8 src0_sel:WORD_0 src1_sel:DWORD
	v_cndmask_b32_e32 v6, v7, v6, vcc
	buffer_store_dword v6, off, s[0:3], s33 offset:448 ; 4-byte Folded Spill
.LBB12_457:                             ;   in Loop: Header=BB12_133 Depth=3
	s_or_b64 exec, exec, s[92:93]
	v_lshlrev_b32_e32 v6, 16, v2
	v_mul_f32_e32 v6, v61, v6
	v_and_b32_e32 v7, 0x7f800000, v6
	v_cmp_ne_u32_e32 vcc, s97, v7
                                        ; implicit-def: $vgpr39
	s_and_saveexec_b64 s[92:93], vcc
	s_xor_b64 s[92:93], exec, s[92:93]
; %bb.458:                              ;   in Loop: Header=BB12_133 Depth=3
	v_bfe_u32 v7, v6, 16, 1
	v_add3_u32 v39, v6, v7, s46
                                        ; implicit-def: $vgpr6
; %bb.459:                              ;   in Loop: Header=BB12_133 Depth=3
	s_andn2_saveexec_b64 s[92:93], s[92:93]
	s_cbranch_execz .LBB12_461
; %bb.460:                              ;   in Loop: Header=BB12_133 Depth=3
	buffer_load_dword v8, off, s[0:3], s33 offset:128 ; 4-byte Folded Reload
	buffer_load_dword v9, off, s[0:3], s33 offset:132 ; 4-byte Folded Reload
	v_or_b32_e32 v7, 0x10000, v6
	s_waitcnt vmcnt(1)
	v_cmp_eq_u32_sdwa vcc, v6, v8 src0_sel:WORD_0 src1_sel:DWORD
	v_cndmask_b32_e32 v39, v7, v6, vcc
.LBB12_461:                             ;   in Loop: Header=BB12_133 Depth=3
	s_or_b64 exec, exec, s[92:93]
	v_and_b32_e32 v2, 0xffff0000, v2
	v_mul_f32_e32 v2, v61, v2
	v_and_b32_e32 v6, 0x7f800000, v2
	v_cmp_ne_u32_e32 vcc, s97, v6
                                        ; implicit-def: $vgpr6
                                        ; kill: killed $vgpr6
	s_and_saveexec_b64 s[92:93], vcc
	s_xor_b64 s[92:93], exec, s[92:93]
	s_cbranch_execz .LBB12_463
; %bb.462:                              ;   in Loop: Header=BB12_133 Depth=3
	v_bfe_u32 v6, v2, 16, 1
	v_add3_u32 v2, v2, v6, s46
	buffer_store_dword v2, off, s[0:3], s33 offset:452 ; 4-byte Folded Spill
                                        ; implicit-def: $vgpr2
.LBB12_463:                             ;   in Loop: Header=BB12_133 Depth=3
	s_andn2_saveexec_b64 s[92:93], s[92:93]
	s_cbranch_execz .LBB12_465
; %bb.464:                              ;   in Loop: Header=BB12_133 Depth=3
	buffer_load_dword v7, off, s[0:3], s33 offset:128 ; 4-byte Folded Reload
	buffer_load_dword v8, off, s[0:3], s33 offset:132 ; 4-byte Folded Reload
	v_or_b32_e32 v6, 0x10000, v2
	s_waitcnt vmcnt(1)
	v_cmp_eq_u32_sdwa vcc, v2, v7 src0_sel:WORD_0 src1_sel:DWORD
	v_cndmask_b32_e32 v2, v6, v2, vcc
	buffer_store_dword v2, off, s[0:3], s33 offset:452 ; 4-byte Folded Spill
.LBB12_465:                             ;   in Loop: Header=BB12_133 Depth=3
	s_or_b64 exec, exec, s[92:93]
	v_lshlrev_b32_e32 v2, 16, v3
	v_mul_f32_e32 v2, v61, v2
	v_and_b32_e32 v6, 0x7f800000, v2
	v_cmp_ne_u32_e32 vcc, s97, v6
                                        ; implicit-def: $vgpr6
                                        ; kill: killed $vgpr6
	s_and_saveexec_b64 s[92:93], vcc
	s_xor_b64 s[92:93], exec, s[92:93]
	s_cbranch_execz .LBB12_467
; %bb.466:                              ;   in Loop: Header=BB12_133 Depth=3
	v_bfe_u32 v6, v2, 16, 1
	v_add3_u32 v2, v2, v6, s46
	buffer_store_dword v2, off, s[0:3], s33 offset:456 ; 4-byte Folded Spill
                                        ; implicit-def: $vgpr2
.LBB12_467:                             ;   in Loop: Header=BB12_133 Depth=3
	s_andn2_saveexec_b64 s[92:93], s[92:93]
	s_cbranch_execz .LBB12_469
; %bb.468:                              ;   in Loop: Header=BB12_133 Depth=3
	buffer_load_dword v7, off, s[0:3], s33 offset:128 ; 4-byte Folded Reload
	buffer_load_dword v8, off, s[0:3], s33 offset:132 ; 4-byte Folded Reload
	v_or_b32_e32 v6, 0x10000, v2
	s_waitcnt vmcnt(1)
	v_cmp_eq_u32_sdwa vcc, v2, v7 src0_sel:WORD_0 src1_sel:DWORD
	v_cndmask_b32_e32 v2, v6, v2, vcc
	buffer_store_dword v2, off, s[0:3], s33 offset:456 ; 4-byte Folded Spill
.LBB12_469:                             ;   in Loop: Header=BB12_133 Depth=3
	s_or_b64 exec, exec, s[92:93]
	v_and_b32_e32 v2, 0xffff0000, v3
	v_mul_f32_e32 v2, v61, v2
	v_and_b32_e32 v3, 0x7f800000, v2
	v_cmp_ne_u32_e32 vcc, s97, v3
                                        ; implicit-def: $vgpr3
                                        ; kill: killed $vgpr3
	s_and_saveexec_b64 s[92:93], vcc
	s_xor_b64 s[92:93], exec, s[92:93]
	s_cbranch_execz .LBB12_471
; %bb.470:                              ;   in Loop: Header=BB12_133 Depth=3
	v_bfe_u32 v3, v2, 16, 1
	v_add3_u32 v2, v2, v3, s46
	buffer_store_dword v2, off, s[0:3], s33 offset:460 ; 4-byte Folded Spill
                                        ; implicit-def: $vgpr2
.LBB12_471:                             ;   in Loop: Header=BB12_133 Depth=3
	s_andn2_saveexec_b64 s[92:93], s[92:93]
	s_cbranch_execz .LBB12_473
; %bb.472:                              ;   in Loop: Header=BB12_133 Depth=3
	buffer_load_dword v6, off, s[0:3], s33 offset:128 ; 4-byte Folded Reload
	buffer_load_dword v7, off, s[0:3], s33 offset:132 ; 4-byte Folded Reload
	v_or_b32_e32 v3, 0x10000, v2
	s_waitcnt vmcnt(1)
	v_cmp_eq_u32_sdwa vcc, v2, v6 src0_sel:WORD_0 src1_sel:DWORD
	v_cndmask_b32_e32 v2, v3, v2, vcc
	buffer_store_dword v2, off, s[0:3], s33 offset:460 ; 4-byte Folded Spill
.LBB12_473:                             ;   in Loop: Header=BB12_133 Depth=3
	s_or_b64 exec, exec, s[92:93]
	v_lshlrev_b32_e32 v2, 16, v4
	v_mul_f32_e32 v2, v61, v2
	v_and_b32_e32 v3, 0x7f800000, v2
	v_cmp_ne_u32_e32 vcc, s97, v3
                                        ; implicit-def: $vgpr3
                                        ; kill: killed $vgpr3
	s_and_saveexec_b64 s[92:93], vcc
	s_xor_b64 s[92:93], exec, s[92:93]
	s_cbranch_execz .LBB12_475
; %bb.474:                              ;   in Loop: Header=BB12_133 Depth=3
	v_bfe_u32 v3, v2, 16, 1
	v_add3_u32 v2, v2, v3, s46
	buffer_store_dword v2, off, s[0:3], s33 offset:464 ; 4-byte Folded Spill
                                        ; implicit-def: $vgpr2
.LBB12_475:                             ;   in Loop: Header=BB12_133 Depth=3
	s_andn2_saveexec_b64 s[92:93], s[92:93]
	s_cbranch_execz .LBB12_477
; %bb.476:                              ;   in Loop: Header=BB12_133 Depth=3
	buffer_load_dword v6, off, s[0:3], s33 offset:128 ; 4-byte Folded Reload
	buffer_load_dword v7, off, s[0:3], s33 offset:132 ; 4-byte Folded Reload
	v_or_b32_e32 v3, 0x10000, v2
	s_waitcnt vmcnt(1)
	v_cmp_eq_u32_sdwa vcc, v2, v6 src0_sel:WORD_0 src1_sel:DWORD
	v_cndmask_b32_e32 v2, v3, v2, vcc
	buffer_store_dword v2, off, s[0:3], s33 offset:464 ; 4-byte Folded Spill
.LBB12_477:                             ;   in Loop: Header=BB12_133 Depth=3
	s_or_b64 exec, exec, s[92:93]
	v_and_b32_e32 v2, 0xffff0000, v4
	v_mul_f32_e32 v2, v61, v2
	v_and_b32_e32 v3, 0x7f800000, v2
	v_cmp_ne_u32_e32 vcc, s97, v3
                                        ; implicit-def: $vgpr3
                                        ; kill: killed $vgpr3
	s_and_saveexec_b64 s[92:93], vcc
	s_xor_b64 s[92:93], exec, s[92:93]
	s_cbranch_execz .LBB12_479
; %bb.478:                              ;   in Loop: Header=BB12_133 Depth=3
	v_bfe_u32 v3, v2, 16, 1
	v_add3_u32 v2, v2, v3, s46
	buffer_store_dword v2, off, s[0:3], s33 offset:468 ; 4-byte Folded Spill
                                        ; implicit-def: $vgpr2
.LBB12_479:                             ;   in Loop: Header=BB12_133 Depth=3
	s_andn2_saveexec_b64 s[92:93], s[92:93]
	s_cbranch_execz .LBB12_481
; %bb.480:                              ;   in Loop: Header=BB12_133 Depth=3
	buffer_load_dword v6, off, s[0:3], s33 offset:128 ; 4-byte Folded Reload
	buffer_load_dword v7, off, s[0:3], s33 offset:132 ; 4-byte Folded Reload
	v_or_b32_e32 v3, 0x10000, v2
	s_waitcnt vmcnt(1)
	v_cmp_eq_u32_sdwa vcc, v2, v6 src0_sel:WORD_0 src1_sel:DWORD
	v_cndmask_b32_e32 v2, v3, v2, vcc
	buffer_store_dword v2, off, s[0:3], s33 offset:468 ; 4-byte Folded Spill
.LBB12_481:                             ;   in Loop: Header=BB12_133 Depth=3
	s_or_b64 exec, exec, s[92:93]
	v_lshlrev_b32_e32 v2, 16, v5
	v_mul_f32_e32 v2, v61, v2
	v_and_b32_e32 v3, 0x7f800000, v2
	v_cmp_ne_u32_e32 vcc, s97, v3
                                        ; implicit-def: $vgpr3
                                        ; kill: killed $vgpr3
	s_and_saveexec_b64 s[92:93], vcc
	s_xor_b64 s[92:93], exec, s[92:93]
	s_cbranch_execz .LBB12_483
; %bb.482:                              ;   in Loop: Header=BB12_133 Depth=3
	v_bfe_u32 v3, v2, 16, 1
	v_add3_u32 v2, v2, v3, s46
	buffer_store_dword v2, off, s[0:3], s33 offset:472 ; 4-byte Folded Spill
                                        ; implicit-def: $vgpr2
.LBB12_483:                             ;   in Loop: Header=BB12_133 Depth=3
	s_andn2_saveexec_b64 s[92:93], s[92:93]
	s_cbranch_execz .LBB12_485
; %bb.484:                              ;   in Loop: Header=BB12_133 Depth=3
	buffer_load_dword v6, off, s[0:3], s33 offset:128 ; 4-byte Folded Reload
	buffer_load_dword v7, off, s[0:3], s33 offset:132 ; 4-byte Folded Reload
	v_or_b32_e32 v3, 0x10000, v2
	s_waitcnt vmcnt(1)
	v_cmp_eq_u32_sdwa vcc, v2, v6 src0_sel:WORD_0 src1_sel:DWORD
	v_cndmask_b32_e32 v2, v3, v2, vcc
	buffer_store_dword v2, off, s[0:3], s33 offset:472 ; 4-byte Folded Spill
.LBB12_485:                             ;   in Loop: Header=BB12_133 Depth=3
	s_or_b64 exec, exec, s[92:93]
	v_and_b32_e32 v2, 0xffff0000, v5
	v_mul_f32_e32 v2, v61, v2
	v_and_b32_e32 v3, 0x7f800000, v2
	v_cmp_ne_u32_e32 vcc, s97, v3
                                        ; implicit-def: $vgpr3
                                        ; kill: killed $vgpr3
	s_and_saveexec_b64 s[92:93], vcc
	s_xor_b64 s[92:93], exec, s[92:93]
	s_cbranch_execz .LBB12_487
; %bb.486:                              ;   in Loop: Header=BB12_133 Depth=3
	v_bfe_u32 v3, v2, 16, 1
	v_add3_u32 v2, v2, v3, s46
	buffer_store_dword v2, off, s[0:3], s33 offset:476 ; 4-byte Folded Spill
                                        ; implicit-def: $vgpr2
.LBB12_487:                             ;   in Loop: Header=BB12_133 Depth=3
	s_andn2_saveexec_b64 s[92:93], s[92:93]
	s_cbranch_execz .LBB12_489
; %bb.488:                              ;   in Loop: Header=BB12_133 Depth=3
	buffer_load_dword v4, off, s[0:3], s33 offset:128 ; 4-byte Folded Reload
	buffer_load_dword v5, off, s[0:3], s33 offset:132 ; 4-byte Folded Reload
	v_or_b32_e32 v3, 0x10000, v2
	s_waitcnt vmcnt(1)
	v_cmp_eq_u32_sdwa vcc, v2, v4 src0_sel:WORD_0 src1_sel:DWORD
	v_cndmask_b32_e32 v2, v3, v2, vcc
	buffer_store_dword v2, off, s[0:3], s33 offset:476 ; 4-byte Folded Spill
.LBB12_489:                             ;   in Loop: Header=BB12_133 Depth=3
	s_or_b64 exec, exec, s[92:93]
	v_lshlrev_b32_e32 v2, 16, v56
	v_mul_f32_e32 v2, v61, v2
	v_and_b32_e32 v3, 0x7f800000, v2
	v_cmp_ne_u32_e32 vcc, s97, v3
                                        ; implicit-def: $vgpr3
                                        ; kill: killed $vgpr3
	s_and_saveexec_b64 s[92:93], vcc
	s_xor_b64 s[92:93], exec, s[92:93]
	s_cbranch_execz .LBB12_491
; %bb.490:                              ;   in Loop: Header=BB12_133 Depth=3
	v_bfe_u32 v3, v2, 16, 1
	v_add3_u32 v2, v2, v3, s46
	buffer_store_dword v2, off, s[0:3], s33 offset:480 ; 4-byte Folded Spill
                                        ; implicit-def: $vgpr2
.LBB12_491:                             ;   in Loop: Header=BB12_133 Depth=3
	s_andn2_saveexec_b64 s[92:93], s[92:93]
	s_cbranch_execz .LBB12_493
; %bb.492:                              ;   in Loop: Header=BB12_133 Depth=3
	buffer_load_dword v4, off, s[0:3], s33 offset:128 ; 4-byte Folded Reload
	buffer_load_dword v5, off, s[0:3], s33 offset:132 ; 4-byte Folded Reload
	v_or_b32_e32 v3, 0x10000, v2
	s_waitcnt vmcnt(1)
	v_cmp_eq_u32_sdwa vcc, v2, v4 src0_sel:WORD_0 src1_sel:DWORD
	v_cndmask_b32_e32 v2, v3, v2, vcc
	buffer_store_dword v2, off, s[0:3], s33 offset:480 ; 4-byte Folded Spill
.LBB12_493:                             ;   in Loop: Header=BB12_133 Depth=3
	s_or_b64 exec, exec, s[92:93]
	v_and_b32_e32 v2, 0xffff0000, v56
	v_mul_f32_e32 v2, v61, v2
	v_and_b32_e32 v3, 0x7f800000, v2
	v_cmp_ne_u32_e32 vcc, s97, v3
                                        ; implicit-def: $vgpr3
                                        ; kill: killed $vgpr3
	s_and_saveexec_b64 s[92:93], vcc
	s_xor_b64 s[92:93], exec, s[92:93]
	s_cbranch_execz .LBB12_495
; %bb.494:                              ;   in Loop: Header=BB12_133 Depth=3
	v_bfe_u32 v3, v2, 16, 1
	v_add3_u32 v2, v2, v3, s46
	buffer_store_dword v2, off, s[0:3], s33 offset:488 ; 4-byte Folded Spill
                                        ; implicit-def: $vgpr2
.LBB12_495:                             ;   in Loop: Header=BB12_133 Depth=3
	s_andn2_saveexec_b64 s[92:93], s[92:93]
	s_cbranch_execz .LBB12_497
; %bb.496:                              ;   in Loop: Header=BB12_133 Depth=3
	buffer_load_dword v4, off, s[0:3], s33 offset:128 ; 4-byte Folded Reload
	buffer_load_dword v5, off, s[0:3], s33 offset:132 ; 4-byte Folded Reload
	v_or_b32_e32 v3, 0x10000, v2
	s_waitcnt vmcnt(1)
	v_cmp_eq_u32_sdwa vcc, v2, v4 src0_sel:WORD_0 src1_sel:DWORD
	v_cndmask_b32_e32 v2, v3, v2, vcc
	buffer_store_dword v2, off, s[0:3], s33 offset:488 ; 4-byte Folded Spill
.LBB12_497:                             ;   in Loop: Header=BB12_133 Depth=3
	s_or_b64 exec, exec, s[92:93]
	v_lshlrev_b32_e32 v2, 16, v57
	v_mul_f32_e32 v2, v61, v2
	v_and_b32_e32 v3, 0x7f800000, v2
	v_cmp_ne_u32_e32 vcc, s97, v3
                                        ; implicit-def: $vgpr8
	s_and_saveexec_b64 s[92:93], vcc
	s_xor_b64 s[92:93], exec, s[92:93]
	s_cbranch_execz .LBB12_499
; %bb.498:                              ;   in Loop: Header=BB12_133 Depth=3
	v_bfe_u32 v3, v2, 16, 1
	s_waitcnt vmcnt(1)
	v_add3_u32 v8, v2, v3, s46
                                        ; implicit-def: $vgpr2
.LBB12_499:                             ;   in Loop: Header=BB12_133 Depth=3
	s_andn2_saveexec_b64 s[92:93], s[92:93]
	s_cbranch_execz .LBB12_501
; %bb.500:                              ;   in Loop: Header=BB12_133 Depth=3
	buffer_load_dword v4, off, s[0:3], s33 offset:128 ; 4-byte Folded Reload
	buffer_load_dword v5, off, s[0:3], s33 offset:132 ; 4-byte Folded Reload
	v_or_b32_e32 v3, 0x10000, v2
	s_waitcnt vmcnt(1)
	v_cmp_eq_u32_sdwa vcc, v2, v4 src0_sel:WORD_0 src1_sel:DWORD
	v_cndmask_b32_e32 v8, v3, v2, vcc
.LBB12_501:                             ;   in Loop: Header=BB12_133 Depth=3
	s_or_b64 exec, exec, s[92:93]
	v_and_b32_e32 v2, 0xffff0000, v57
	v_mul_f32_e32 v2, v61, v2
	v_and_b32_e32 v3, 0x7f800000, v2
	v_cmp_ne_u32_e32 vcc, s97, v3
                                        ; implicit-def: $vgpr57
	s_and_saveexec_b64 s[92:93], vcc
	s_xor_b64 s[92:93], exec, s[92:93]
; %bb.502:                              ;   in Loop: Header=BB12_133 Depth=3
	v_bfe_u32 v3, v2, 16, 1
	v_add3_u32 v57, v2, v3, s46
                                        ; implicit-def: $vgpr2
; %bb.503:                              ;   in Loop: Header=BB12_133 Depth=3
	s_andn2_saveexec_b64 s[92:93], s[92:93]
	s_cbranch_execz .LBB12_505
; %bb.504:                              ;   in Loop: Header=BB12_133 Depth=3
	buffer_load_dword v4, off, s[0:3], s33 offset:128 ; 4-byte Folded Reload
	buffer_load_dword v5, off, s[0:3], s33 offset:132 ; 4-byte Folded Reload
	v_or_b32_e32 v3, 0x10000, v2
	s_waitcnt vmcnt(1)
	v_cmp_eq_u32_sdwa vcc, v2, v4 src0_sel:WORD_0 src1_sel:DWORD
	v_cndmask_b32_e32 v57, v3, v2, vcc
.LBB12_505:                             ;   in Loop: Header=BB12_133 Depth=3
	s_or_b64 exec, exec, s[92:93]
	v_lshlrev_b32_e32 v2, 16, v58
	v_mul_f32_e32 v2, v61, v2
	v_and_b32_e32 v3, 0x7f800000, v2
	v_cmp_ne_u32_e32 vcc, s97, v3
                                        ; implicit-def: $vgpr13
	s_and_saveexec_b64 s[92:93], vcc
	s_xor_b64 s[92:93], exec, s[92:93]
	s_cbranch_execz .LBB12_507
; %bb.506:                              ;   in Loop: Header=BB12_133 Depth=3
	v_bfe_u32 v3, v2, 16, 1
	s_waitcnt vmcnt(1)
	v_add3_u32 v13, v2, v3, s46
                                        ; implicit-def: $vgpr2
.LBB12_507:                             ;   in Loop: Header=BB12_133 Depth=3
	s_andn2_saveexec_b64 s[92:93], s[92:93]
	s_cbranch_execz .LBB12_509
; %bb.508:                              ;   in Loop: Header=BB12_133 Depth=3
	buffer_load_dword v4, off, s[0:3], s33 offset:128 ; 4-byte Folded Reload
	buffer_load_dword v5, off, s[0:3], s33 offset:132 ; 4-byte Folded Reload
	v_or_b32_e32 v3, 0x10000, v2
	s_waitcnt vmcnt(1)
	v_cmp_eq_u32_sdwa vcc, v2, v4 src0_sel:WORD_0 src1_sel:DWORD
	v_cndmask_b32_e32 v13, v3, v2, vcc
.LBB12_509:                             ;   in Loop: Header=BB12_133 Depth=3
	s_or_b64 exec, exec, s[92:93]
	v_and_b32_e32 v2, 0xffff0000, v58
	v_mul_f32_e32 v2, v61, v2
	v_and_b32_e32 v3, 0x7f800000, v2
	v_cmp_ne_u32_e32 vcc, s97, v3
                                        ; implicit-def: $vgpr58
	s_and_saveexec_b64 s[92:93], vcc
	s_xor_b64 s[92:93], exec, s[92:93]
; %bb.510:                              ;   in Loop: Header=BB12_133 Depth=3
	v_bfe_u32 v3, v2, 16, 1
	v_add3_u32 v58, v2, v3, s46
                                        ; implicit-def: $vgpr2
; %bb.511:                              ;   in Loop: Header=BB12_133 Depth=3
	s_andn2_saveexec_b64 s[92:93], s[92:93]
	s_cbranch_execz .LBB12_513
; %bb.512:                              ;   in Loop: Header=BB12_133 Depth=3
	buffer_load_dword v4, off, s[0:3], s33 offset:128 ; 4-byte Folded Reload
	buffer_load_dword v5, off, s[0:3], s33 offset:132 ; 4-byte Folded Reload
	v_or_b32_e32 v3, 0x10000, v2
	s_waitcnt vmcnt(1)
	v_cmp_eq_u32_sdwa vcc, v2, v4 src0_sel:WORD_0 src1_sel:DWORD
	v_cndmask_b32_e32 v58, v3, v2, vcc
.LBB12_513:                             ;   in Loop: Header=BB12_133 Depth=3
	s_or_b64 exec, exec, s[92:93]
	v_lshlrev_b32_e32 v2, 16, v59
	v_mul_f32_e32 v2, v61, v2
	v_and_b32_e32 v3, 0x7f800000, v2
	v_cmp_ne_u32_e32 vcc, s97, v3
                                        ; implicit-def: $vgpr9
	s_and_saveexec_b64 s[92:93], vcc
	s_xor_b64 s[92:93], exec, s[92:93]
	s_cbranch_execz .LBB12_515
; %bb.514:                              ;   in Loop: Header=BB12_133 Depth=3
	v_bfe_u32 v3, v2, 16, 1
	s_waitcnt vmcnt(0)
	v_add3_u32 v9, v2, v3, s46
                                        ; implicit-def: $vgpr2
.LBB12_515:                             ;   in Loop: Header=BB12_133 Depth=3
	s_andn2_saveexec_b64 s[92:93], s[92:93]
	s_cbranch_execz .LBB12_517
; %bb.516:                              ;   in Loop: Header=BB12_133 Depth=3
	buffer_load_dword v4, off, s[0:3], s33 offset:128 ; 4-byte Folded Reload
	buffer_load_dword v5, off, s[0:3], s33 offset:132 ; 4-byte Folded Reload
	v_or_b32_e32 v3, 0x10000, v2
	s_waitcnt vmcnt(1)
	v_cmp_eq_u32_sdwa vcc, v2, v4 src0_sel:WORD_0 src1_sel:DWORD
	v_cndmask_b32_e32 v9, v3, v2, vcc
.LBB12_517:                             ;   in Loop: Header=BB12_133 Depth=3
	s_or_b64 exec, exec, s[92:93]
	v_and_b32_e32 v2, 0xffff0000, v59
	v_mul_f32_e32 v2, v61, v2
	v_and_b32_e32 v3, 0x7f800000, v2
	v_cmp_ne_u32_e32 vcc, s97, v3
                                        ; implicit-def: $vgpr59
	s_and_saveexec_b64 s[92:93], vcc
	s_xor_b64 s[92:93], exec, s[92:93]
; %bb.518:                              ;   in Loop: Header=BB12_133 Depth=3
	v_bfe_u32 v3, v2, 16, 1
	v_add3_u32 v59, v2, v3, s46
                                        ; implicit-def: $vgpr2
; %bb.519:                              ;   in Loop: Header=BB12_133 Depth=3
	s_andn2_saveexec_b64 s[92:93], s[92:93]
	s_cbranch_execz .LBB12_521
; %bb.520:                              ;   in Loop: Header=BB12_133 Depth=3
	buffer_load_dword v4, off, s[0:3], s33 offset:128 ; 4-byte Folded Reload
	buffer_load_dword v5, off, s[0:3], s33 offset:132 ; 4-byte Folded Reload
	v_or_b32_e32 v3, 0x10000, v2
	s_waitcnt vmcnt(1)
	v_cmp_eq_u32_sdwa vcc, v2, v4 src0_sel:WORD_0 src1_sel:DWORD
	v_cndmask_b32_e32 v59, v3, v2, vcc
.LBB12_521:                             ;   in Loop: Header=BB12_133 Depth=3
	s_or_b64 exec, exec, s[92:93]
	v_lshlrev_b32_e32 v2, 16, v40
	v_mul_f32_e32 v2, v61, v2
	v_and_b32_e32 v3, 0x7f800000, v2
	v_cmp_ne_u32_e32 vcc, s97, v3
                                        ; implicit-def: $vgpr10
	s_and_saveexec_b64 s[92:93], vcc
	s_xor_b64 s[92:93], exec, s[92:93]
; %bb.522:                              ;   in Loop: Header=BB12_133 Depth=3
	v_bfe_u32 v3, v2, 16, 1
	v_add3_u32 v10, v2, v3, s46
                                        ; implicit-def: $vgpr2
; %bb.523:                              ;   in Loop: Header=BB12_133 Depth=3
	s_andn2_saveexec_b64 s[92:93], s[92:93]
	s_cbranch_execz .LBB12_525
; %bb.524:                              ;   in Loop: Header=BB12_133 Depth=3
	buffer_load_dword v4, off, s[0:3], s33 offset:128 ; 4-byte Folded Reload
	buffer_load_dword v5, off, s[0:3], s33 offset:132 ; 4-byte Folded Reload
	v_or_b32_e32 v3, 0x10000, v2
	s_waitcnt vmcnt(1)
	v_cmp_eq_u32_sdwa vcc, v2, v4 src0_sel:WORD_0 src1_sel:DWORD
	v_cndmask_b32_e32 v10, v3, v2, vcc
.LBB12_525:                             ;   in Loop: Header=BB12_133 Depth=3
	s_or_b64 exec, exec, s[92:93]
	v_and_b32_e32 v2, 0xffff0000, v40
	v_mul_f32_e32 v2, v61, v2
	v_and_b32_e32 v3, 0x7f800000, v2
	v_cmp_ne_u32_e32 vcc, s97, v3
                                        ; implicit-def: $vgpr40
	s_and_saveexec_b64 s[92:93], vcc
	s_xor_b64 s[92:93], exec, s[92:93]
; %bb.526:                              ;   in Loop: Header=BB12_133 Depth=3
	v_bfe_u32 v3, v2, 16, 1
	v_add3_u32 v40, v2, v3, s46
                                        ; implicit-def: $vgpr2
; %bb.527:                              ;   in Loop: Header=BB12_133 Depth=3
	s_andn2_saveexec_b64 s[92:93], s[92:93]
	s_cbranch_execz .LBB12_529
; %bb.528:                              ;   in Loop: Header=BB12_133 Depth=3
	buffer_load_dword v4, off, s[0:3], s33 offset:128 ; 4-byte Folded Reload
	buffer_load_dword v5, off, s[0:3], s33 offset:132 ; 4-byte Folded Reload
	v_or_b32_e32 v3, 0x10000, v2
	s_waitcnt vmcnt(1)
	v_cmp_eq_u32_sdwa vcc, v2, v4 src0_sel:WORD_0 src1_sel:DWORD
	v_cndmask_b32_e32 v40, v3, v2, vcc
.LBB12_529:                             ;   in Loop: Header=BB12_133 Depth=3
	s_or_b64 exec, exec, s[92:93]
	v_lshlrev_b32_e32 v2, 16, v41
	v_mul_f32_e32 v2, v61, v2
	v_and_b32_e32 v3, 0x7f800000, v2
	v_cmp_ne_u32_e32 vcc, s97, v3
                                        ; implicit-def: $vgpr60
	s_and_saveexec_b64 s[92:93], vcc
	s_xor_b64 s[92:93], exec, s[92:93]
; %bb.530:                              ;   in Loop: Header=BB12_133 Depth=3
	v_bfe_u32 v3, v2, 16, 1
	v_add3_u32 v60, v2, v3, s46
                                        ; implicit-def: $vgpr2
; %bb.531:                              ;   in Loop: Header=BB12_133 Depth=3
	s_andn2_saveexec_b64 s[92:93], s[92:93]
	s_cbranch_execz .LBB12_533
; %bb.532:                              ;   in Loop: Header=BB12_133 Depth=3
	buffer_load_dword v4, off, s[0:3], s33 offset:128 ; 4-byte Folded Reload
	buffer_load_dword v5, off, s[0:3], s33 offset:132 ; 4-byte Folded Reload
	v_or_b32_e32 v3, 0x10000, v2
	s_waitcnt vmcnt(1)
	v_cmp_eq_u32_sdwa vcc, v2, v4 src0_sel:WORD_0 src1_sel:DWORD
	v_cndmask_b32_e32 v60, v3, v2, vcc
.LBB12_533:                             ;   in Loop: Header=BB12_133 Depth=3
	s_or_b64 exec, exec, s[92:93]
	v_and_b32_e32 v2, 0xffff0000, v41
	v_mul_f32_e32 v2, v61, v2
	v_and_b32_e32 v3, 0x7f800000, v2
	v_cmp_ne_u32_e32 vcc, s97, v3
                                        ; implicit-def: $vgpr41
	s_and_saveexec_b64 s[92:93], vcc
	s_xor_b64 s[92:93], exec, s[92:93]
; %bb.534:                              ;   in Loop: Header=BB12_133 Depth=3
	v_bfe_u32 v3, v2, 16, 1
	v_add3_u32 v41, v2, v3, s46
                                        ; implicit-def: $vgpr2
; %bb.535:                              ;   in Loop: Header=BB12_133 Depth=3
	s_andn2_saveexec_b64 s[92:93], s[92:93]
	s_cbranch_execz .LBB12_537
; %bb.536:                              ;   in Loop: Header=BB12_133 Depth=3
	buffer_load_dword v4, off, s[0:3], s33 offset:128 ; 4-byte Folded Reload
	buffer_load_dword v5, off, s[0:3], s33 offset:132 ; 4-byte Folded Reload
	v_or_b32_e32 v3, 0x10000, v2
	s_waitcnt vmcnt(1)
	v_cmp_eq_u32_sdwa vcc, v2, v4 src0_sel:WORD_0 src1_sel:DWORD
	v_cndmask_b32_e32 v41, v3, v2, vcc
.LBB12_537:                             ;   in Loop: Header=BB12_133 Depth=3
	s_or_b64 exec, exec, s[92:93]
	v_lshlrev_b32_e32 v2, 16, v42
	v_mul_f32_e32 v3, v61, v2
	v_and_b32_e32 v2, 0x7f800000, v3
	v_cmp_ne_u32_e32 vcc, s97, v2
                                        ; implicit-def: $vgpr2
	s_and_saveexec_b64 s[92:93], vcc
	s_xor_b64 s[92:93], exec, s[92:93]
; %bb.538:                              ;   in Loop: Header=BB12_133 Depth=3
	v_bfe_u32 v2, v3, 16, 1
	v_add3_u32 v2, v3, v2, s46
                                        ; implicit-def: $vgpr3
; %bb.539:                              ;   in Loop: Header=BB12_133 Depth=3
	s_andn2_saveexec_b64 s[92:93], s[92:93]
	s_cbranch_execz .LBB12_541
; %bb.540:                              ;   in Loop: Header=BB12_133 Depth=3
	buffer_load_dword v4, off, s[0:3], s33 offset:128 ; 4-byte Folded Reload
	buffer_load_dword v5, off, s[0:3], s33 offset:132 ; 4-byte Folded Reload
	v_or_b32_e32 v2, 0x10000, v3
	s_waitcnt vmcnt(1)
	v_cmp_eq_u32_sdwa vcc, v3, v4 src0_sel:WORD_0 src1_sel:DWORD
	v_cndmask_b32_e32 v2, v2, v3, vcc
.LBB12_541:                             ;   in Loop: Header=BB12_133 Depth=3
	s_or_b64 exec, exec, s[92:93]
	v_and_b32_e32 v3, 0xffff0000, v42
	v_mul_f32_e32 v3, v61, v3
	v_and_b32_e32 v4, 0x7f800000, v3
	v_cmp_ne_u32_e32 vcc, s97, v4
                                        ; implicit-def: $vgpr42
	s_and_saveexec_b64 s[92:93], vcc
	s_xor_b64 s[92:93], exec, s[92:93]
; %bb.542:                              ;   in Loop: Header=BB12_133 Depth=3
	v_bfe_u32 v4, v3, 16, 1
	v_add3_u32 v42, v3, v4, s46
                                        ; implicit-def: $vgpr3
; %bb.543:                              ;   in Loop: Header=BB12_133 Depth=3
	s_andn2_saveexec_b64 s[92:93], s[92:93]
	s_cbranch_execz .LBB12_545
; %bb.544:                              ;   in Loop: Header=BB12_133 Depth=3
	buffer_load_dword v5, off, s[0:3], s33 offset:128 ; 4-byte Folded Reload
	buffer_load_dword v6, off, s[0:3], s33 offset:132 ; 4-byte Folded Reload
	v_or_b32_e32 v4, 0x10000, v3
	s_waitcnt vmcnt(1)
	v_cmp_eq_u32_sdwa vcc, v3, v5 src0_sel:WORD_0 src1_sel:DWORD
	v_cndmask_b32_e32 v42, v4, v3, vcc
.LBB12_545:                             ;   in Loop: Header=BB12_133 Depth=3
	s_or_b64 exec, exec, s[92:93]
	v_lshlrev_b32_e32 v3, 16, v43
	v_mul_f32_e32 v3, v61, v3
	v_and_b32_e32 v4, 0x7f800000, v3
	v_cmp_ne_u32_e32 vcc, s97, v4
                                        ; implicit-def: $vgpr6
	s_and_saveexec_b64 s[92:93], vcc
	s_xor_b64 s[92:93], exec, s[92:93]
	s_cbranch_execz .LBB12_547
; %bb.546:                              ;   in Loop: Header=BB12_133 Depth=3
	v_bfe_u32 v4, v3, 16, 1
	s_waitcnt vmcnt(0)
	v_add3_u32 v6, v3, v4, s46
                                        ; implicit-def: $vgpr3
.LBB12_547:                             ;   in Loop: Header=BB12_133 Depth=3
	s_andn2_saveexec_b64 s[92:93], s[92:93]
	s_cbranch_execz .LBB12_549
; %bb.548:                              ;   in Loop: Header=BB12_133 Depth=3
	buffer_load_dword v5, off, s[0:3], s33 offset:128 ; 4-byte Folded Reload
	buffer_load_dword v6, off, s[0:3], s33 offset:132 ; 4-byte Folded Reload
	v_or_b32_e32 v4, 0x10000, v3
	s_waitcnt vmcnt(1)
	v_cmp_eq_u32_sdwa vcc, v3, v5 src0_sel:WORD_0 src1_sel:DWORD
	s_waitcnt vmcnt(0)
	v_cndmask_b32_e32 v6, v4, v3, vcc
.LBB12_549:                             ;   in Loop: Header=BB12_133 Depth=3
	s_or_b64 exec, exec, s[92:93]
	v_and_b32_e32 v3, 0xffff0000, v43
	v_mul_f32_e32 v3, v61, v3
	v_and_b32_e32 v4, 0x7f800000, v3
	v_cmp_ne_u32_e32 vcc, s97, v4
                                        ; implicit-def: $vgpr43
	s_and_saveexec_b64 s[92:93], vcc
	s_xor_b64 s[92:93], exec, s[92:93]
; %bb.550:                              ;   in Loop: Header=BB12_133 Depth=3
	v_bfe_u32 v4, v3, 16, 1
	v_add3_u32 v43, v3, v4, s46
                                        ; implicit-def: $vgpr3
; %bb.551:                              ;   in Loop: Header=BB12_133 Depth=3
	s_andn2_saveexec_b64 s[92:93], s[92:93]
	s_cbranch_execz .LBB12_553
; %bb.552:                              ;   in Loop: Header=BB12_133 Depth=3
	buffer_load_dword v11, off, s[0:3], s33 offset:128 ; 4-byte Folded Reload
	buffer_load_dword v12, off, s[0:3], s33 offset:132 ; 4-byte Folded Reload
	v_or_b32_e32 v4, 0x10000, v3
	s_waitcnt vmcnt(1)
	v_cmp_eq_u32_sdwa vcc, v3, v11 src0_sel:WORD_0 src1_sel:DWORD
	v_cndmask_b32_e32 v43, v4, v3, vcc
.LBB12_553:                             ;   in Loop: Header=BB12_133 Depth=3
	s_or_b64 exec, exec, s[92:93]
	buffer_load_dword v23, off, s[0:3], s33 offset:184 ; 4-byte Folded Reload
	buffer_load_dword v24, off, s[0:3], s33 offset:188 ; 4-byte Folded Reload
	;; [unrolled: 1-line block ×4, first 2 shown]
	s_waitcnt vmcnt(3)
	v_lshlrev_b32_e32 v3, 16, v23
	v_mul_f32_e32 v4, v61, v3
	v_and_b32_e32 v3, 0x7f800000, v4
	v_cmp_ne_u32_e32 vcc, s97, v3
                                        ; implicit-def: $vgpr3
	s_and_saveexec_b64 s[92:93], vcc
	s_xor_b64 s[92:93], exec, s[92:93]
; %bb.554:                              ;   in Loop: Header=BB12_133 Depth=3
	v_bfe_u32 v3, v4, 16, 1
	v_add3_u32 v3, v4, v3, s46
                                        ; implicit-def: $vgpr4
; %bb.555:                              ;   in Loop: Header=BB12_133 Depth=3
	s_andn2_saveexec_b64 s[92:93], s[92:93]
	s_cbranch_execz .LBB12_557
; %bb.556:                              ;   in Loop: Header=BB12_133 Depth=3
	buffer_load_dword v11, off, s[0:3], s33 offset:128 ; 4-byte Folded Reload
	buffer_load_dword v12, off, s[0:3], s33 offset:132 ; 4-byte Folded Reload
	v_or_b32_e32 v3, 0x10000, v4
	s_waitcnt vmcnt(1)
	v_cmp_eq_u32_sdwa vcc, v4, v11 src0_sel:WORD_0 src1_sel:DWORD
	v_cndmask_b32_e32 v3, v3, v4, vcc
.LBB12_557:                             ;   in Loop: Header=BB12_133 Depth=3
	s_or_b64 exec, exec, s[92:93]
	buffer_load_dword v23, off, s[0:3], s33 offset:184 ; 4-byte Folded Reload
	buffer_load_dword v24, off, s[0:3], s33 offset:188 ; 4-byte Folded Reload
	buffer_load_dword v25, off, s[0:3], s33 offset:192 ; 4-byte Folded Reload
	buffer_load_dword v26, off, s[0:3], s33 offset:196 ; 4-byte Folded Reload
                                        ; implicit-def: $vgpr52
	s_waitcnt vmcnt(3)
	v_and_b32_e32 v4, 0xffff0000, v23
	v_mul_f32_e32 v4, v61, v4
	v_and_b32_e32 v5, 0x7f800000, v4
	v_cmp_ne_u32_e32 vcc, s97, v5
	s_and_saveexec_b64 s[92:93], vcc
	s_xor_b64 s[92:93], exec, s[92:93]
; %bb.558:                              ;   in Loop: Header=BB12_133 Depth=3
	v_bfe_u32 v5, v4, 16, 1
	v_add3_u32 v52, v4, v5, s46
                                        ; implicit-def: $vgpr4
; %bb.559:                              ;   in Loop: Header=BB12_133 Depth=3
	s_andn2_saveexec_b64 s[92:93], s[92:93]
	s_cbranch_execz .LBB12_561
; %bb.560:                              ;   in Loop: Header=BB12_133 Depth=3
	buffer_load_dword v11, off, s[0:3], s33 offset:128 ; 4-byte Folded Reload
	buffer_load_dword v12, off, s[0:3], s33 offset:132 ; 4-byte Folded Reload
	v_or_b32_e32 v5, 0x10000, v4
	s_waitcnt vmcnt(1)
	v_cmp_eq_u32_sdwa vcc, v4, v11 src0_sel:WORD_0 src1_sel:DWORD
	v_cndmask_b32_e32 v52, v5, v4, vcc
.LBB12_561:                             ;   in Loop: Header=BB12_133 Depth=3
	s_or_b64 exec, exec, s[92:93]
	buffer_load_dword v23, off, s[0:3], s33 offset:184 ; 4-byte Folded Reload
	buffer_load_dword v24, off, s[0:3], s33 offset:188 ; 4-byte Folded Reload
	;; [unrolled: 1-line block ×4, first 2 shown]
                                        ; implicit-def: $vgpr12
	s_waitcnt vmcnt(2)
	v_lshlrev_b32_e32 v4, 16, v24
	v_mul_f32_e32 v4, v61, v4
	v_and_b32_e32 v5, 0x7f800000, v4
	v_cmp_ne_u32_e32 vcc, s97, v5
	s_and_saveexec_b64 s[92:93], vcc
	s_xor_b64 s[92:93], exec, s[92:93]
; %bb.562:                              ;   in Loop: Header=BB12_133 Depth=3
	v_bfe_u32 v5, v4, 16, 1
	v_add3_u32 v12, v4, v5, s46
                                        ; implicit-def: $vgpr4
; %bb.563:                              ;   in Loop: Header=BB12_133 Depth=3
	s_andn2_saveexec_b64 s[92:93], s[92:93]
	s_cbranch_execz .LBB12_565
; %bb.564:                              ;   in Loop: Header=BB12_133 Depth=3
	buffer_load_dword v11, off, s[0:3], s33 offset:128 ; 4-byte Folded Reload
	buffer_load_dword v12, off, s[0:3], s33 offset:132 ; 4-byte Folded Reload
	v_or_b32_e32 v5, 0x10000, v4
	s_waitcnt vmcnt(1)
	v_cmp_eq_u32_sdwa vcc, v4, v11 src0_sel:WORD_0 src1_sel:DWORD
	s_waitcnt vmcnt(0)
	v_cndmask_b32_e32 v12, v5, v4, vcc
.LBB12_565:                             ;   in Loop: Header=BB12_133 Depth=3
	s_or_b64 exec, exec, s[92:93]
	buffer_load_dword v23, off, s[0:3], s33 offset:184 ; 4-byte Folded Reload
	buffer_load_dword v24, off, s[0:3], s33 offset:188 ; 4-byte Folded Reload
	;; [unrolled: 1-line block ×4, first 2 shown]
                                        ; implicit-def: $vgpr53
	s_waitcnt vmcnt(2)
	v_and_b32_e32 v4, 0xffff0000, v24
	v_mul_f32_e32 v4, v61, v4
	v_and_b32_e32 v5, 0x7f800000, v4
	v_cmp_ne_u32_e32 vcc, s97, v5
	s_and_saveexec_b64 s[92:93], vcc
	s_xor_b64 s[92:93], exec, s[92:93]
; %bb.566:                              ;   in Loop: Header=BB12_133 Depth=3
	v_bfe_u32 v5, v4, 16, 1
	v_add3_u32 v53, v4, v5, s46
                                        ; implicit-def: $vgpr4
; %bb.567:                              ;   in Loop: Header=BB12_133 Depth=3
	s_andn2_saveexec_b64 s[92:93], s[92:93]
	s_cbranch_execz .LBB12_569
; %bb.568:                              ;   in Loop: Header=BB12_133 Depth=3
	buffer_load_dword v16, off, s[0:3], s33 offset:128 ; 4-byte Folded Reload
	buffer_load_dword v17, off, s[0:3], s33 offset:132 ; 4-byte Folded Reload
	v_or_b32_e32 v5, 0x10000, v4
	s_waitcnt vmcnt(1)
	v_cmp_eq_u32_sdwa vcc, v4, v16 src0_sel:WORD_0 src1_sel:DWORD
	v_cndmask_b32_e32 v53, v5, v4, vcc
.LBB12_569:                             ;   in Loop: Header=BB12_133 Depth=3
	s_or_b64 exec, exec, s[92:93]
	buffer_load_dword v23, off, s[0:3], s33 offset:184 ; 4-byte Folded Reload
	buffer_load_dword v24, off, s[0:3], s33 offset:188 ; 4-byte Folded Reload
	;; [unrolled: 1-line block ×4, first 2 shown]
	s_waitcnt vmcnt(1)
	v_lshlrev_b32_e32 v4, 16, v25
	v_mul_f32_e32 v5, v61, v4
	v_and_b32_e32 v4, 0x7f800000, v5
	v_cmp_ne_u32_e32 vcc, s97, v4
                                        ; implicit-def: $vgpr4
	s_and_saveexec_b64 s[92:93], vcc
	s_xor_b64 s[92:93], exec, s[92:93]
; %bb.570:                              ;   in Loop: Header=BB12_133 Depth=3
	v_bfe_u32 v4, v5, 16, 1
	v_add3_u32 v4, v5, v4, s46
                                        ; implicit-def: $vgpr5
; %bb.571:                              ;   in Loop: Header=BB12_133 Depth=3
	s_andn2_saveexec_b64 s[92:93], s[92:93]
	s_cbranch_execz .LBB12_573
; %bb.572:                              ;   in Loop: Header=BB12_133 Depth=3
	buffer_load_dword v16, off, s[0:3], s33 offset:128 ; 4-byte Folded Reload
	buffer_load_dword v17, off, s[0:3], s33 offset:132 ; 4-byte Folded Reload
	v_or_b32_e32 v4, 0x10000, v5
	s_waitcnt vmcnt(1)
	v_cmp_eq_u32_sdwa vcc, v5, v16 src0_sel:WORD_0 src1_sel:DWORD
	v_cndmask_b32_e32 v4, v4, v5, vcc
.LBB12_573:                             ;   in Loop: Header=BB12_133 Depth=3
	s_or_b64 exec, exec, s[92:93]
	buffer_load_dword v23, off, s[0:3], s33 offset:184 ; 4-byte Folded Reload
	buffer_load_dword v24, off, s[0:3], s33 offset:188 ; 4-byte Folded Reload
	;; [unrolled: 1-line block ×4, first 2 shown]
                                        ; implicit-def: $vgpr54
	s_waitcnt vmcnt(1)
	v_and_b32_e32 v5, 0xffff0000, v25
	v_mul_f32_e32 v5, v61, v5
	v_and_b32_e32 v7, 0x7f800000, v5
	v_cmp_ne_u32_e32 vcc, s97, v7
	s_and_saveexec_b64 s[92:93], vcc
	s_xor_b64 s[92:93], exec, s[92:93]
; %bb.574:                              ;   in Loop: Header=BB12_133 Depth=3
	v_bfe_u32 v7, v5, 16, 1
	v_add3_u32 v54, v5, v7, s46
                                        ; implicit-def: $vgpr5
; %bb.575:                              ;   in Loop: Header=BB12_133 Depth=3
	s_andn2_saveexec_b64 s[92:93], s[92:93]
	s_cbranch_execz .LBB12_577
; %bb.576:                              ;   in Loop: Header=BB12_133 Depth=3
	buffer_load_dword v16, off, s[0:3], s33 offset:128 ; 4-byte Folded Reload
	buffer_load_dword v17, off, s[0:3], s33 offset:132 ; 4-byte Folded Reload
	v_or_b32_e32 v7, 0x10000, v5
	s_waitcnt vmcnt(1)
	v_cmp_eq_u32_sdwa vcc, v5, v16 src0_sel:WORD_0 src1_sel:DWORD
	v_cndmask_b32_e32 v54, v7, v5, vcc
.LBB12_577:                             ;   in Loop: Header=BB12_133 Depth=3
	s_or_b64 exec, exec, s[92:93]
	buffer_load_dword v23, off, s[0:3], s33 offset:184 ; 4-byte Folded Reload
	buffer_load_dword v24, off, s[0:3], s33 offset:188 ; 4-byte Folded Reload
	;; [unrolled: 1-line block ×4, first 2 shown]
	s_waitcnt vmcnt(0)
	v_lshlrev_b32_e32 v5, 16, v26
	v_mul_f32_e32 v5, v61, v5
	v_and_b32_e32 v7, 0x7f800000, v5
	v_cmp_ne_u32_e32 vcc, s97, v7
                                        ; implicit-def: $vgpr7
	s_and_saveexec_b64 s[92:93], vcc
	s_xor_b64 s[92:93], exec, s[92:93]
; %bb.578:                              ;   in Loop: Header=BB12_133 Depth=3
	v_bfe_u32 v7, v5, 16, 1
	v_add3_u32 v7, v5, v7, s46
                                        ; implicit-def: $vgpr5
; %bb.579:                              ;   in Loop: Header=BB12_133 Depth=3
	s_andn2_saveexec_b64 s[92:93], s[92:93]
	s_cbranch_execz .LBB12_581
; %bb.580:                              ;   in Loop: Header=BB12_133 Depth=3
	buffer_load_dword v16, off, s[0:3], s33 offset:128 ; 4-byte Folded Reload
	buffer_load_dword v17, off, s[0:3], s33 offset:132 ; 4-byte Folded Reload
	v_or_b32_e32 v7, 0x10000, v5
	s_waitcnt vmcnt(1)
	v_cmp_eq_u32_sdwa vcc, v5, v16 src0_sel:WORD_0 src1_sel:DWORD
	v_cndmask_b32_e32 v7, v7, v5, vcc
.LBB12_581:                             ;   in Loop: Header=BB12_133 Depth=3
	s_or_b64 exec, exec, s[92:93]
	buffer_load_dword v23, off, s[0:3], s33 offset:184 ; 4-byte Folded Reload
	buffer_load_dword v24, off, s[0:3], s33 offset:188 ; 4-byte Folded Reload
	buffer_load_dword v25, off, s[0:3], s33 offset:192 ; 4-byte Folded Reload
	buffer_load_dword v26, off, s[0:3], s33 offset:196 ; 4-byte Folded Reload
                                        ; implicit-def: $vgpr55
	s_waitcnt vmcnt(0)
	v_and_b32_e32 v5, 0xffff0000, v26
	v_mul_f32_e32 v5, v61, v5
	v_and_b32_e32 v11, 0x7f800000, v5
	v_cmp_ne_u32_e32 vcc, s97, v11
	s_and_saveexec_b64 s[92:93], vcc
	s_xor_b64 s[92:93], exec, s[92:93]
; %bb.582:                              ;   in Loop: Header=BB12_133 Depth=3
	v_bfe_u32 v11, v5, 16, 1
	v_add3_u32 v55, v5, v11, s46
                                        ; implicit-def: $vgpr5
; %bb.583:                              ;   in Loop: Header=BB12_133 Depth=3
	s_andn2_saveexec_b64 s[92:93], s[92:93]
	s_cbranch_execz .LBB12_585
; %bb.584:                              ;   in Loop: Header=BB12_133 Depth=3
	buffer_load_dword v16, off, s[0:3], s33 offset:128 ; 4-byte Folded Reload
	buffer_load_dword v17, off, s[0:3], s33 offset:132 ; 4-byte Folded Reload
	v_or_b32_e32 v11, 0x10000, v5
	s_waitcnt vmcnt(1)
	v_cmp_eq_u32_sdwa vcc, v5, v16 src0_sel:WORD_0 src1_sel:DWORD
	v_cndmask_b32_e32 v55, v11, v5, vcc
.LBB12_585:                             ;   in Loop: Header=BB12_133 Depth=3
	s_or_b64 exec, exec, s[92:93]
	v_lshlrev_b32_e32 v5, 16, v19
	v_mul_f32_e32 v11, v61, v5
	v_and_b32_e32 v5, 0x7f800000, v11
	v_cmp_ne_u32_e32 vcc, s97, v5
                                        ; implicit-def: $vgpr5
	s_and_saveexec_b64 s[92:93], vcc
	s_xor_b64 s[92:93], exec, s[92:93]
; %bb.586:                              ;   in Loop: Header=BB12_133 Depth=3
	v_bfe_u32 v5, v11, 16, 1
	v_add3_u32 v5, v11, v5, s46
                                        ; implicit-def: $vgpr11
; %bb.587:                              ;   in Loop: Header=BB12_133 Depth=3
	s_andn2_saveexec_b64 s[92:93], s[92:93]
	s_cbranch_execz .LBB12_589
; %bb.588:                              ;   in Loop: Header=BB12_133 Depth=3
	buffer_load_dword v16, off, s[0:3], s33 offset:128 ; 4-byte Folded Reload
	buffer_load_dword v17, off, s[0:3], s33 offset:132 ; 4-byte Folded Reload
	v_or_b32_e32 v5, 0x10000, v11
	s_waitcnt vmcnt(1)
	v_cmp_eq_u32_sdwa vcc, v11, v16 src0_sel:WORD_0 src1_sel:DWORD
	v_cndmask_b32_e32 v5, v5, v11, vcc
.LBB12_589:                             ;   in Loop: Header=BB12_133 Depth=3
	s_or_b64 exec, exec, s[92:93]
	v_and_b32_e32 v11, 0xffff0000, v19
	v_mul_f32_e32 v11, v61, v11
	v_and_b32_e32 v16, 0x7f800000, v11
	v_cmp_ne_u32_e32 vcc, s97, v16
                                        ; implicit-def: $vgpr36
	s_and_saveexec_b64 s[92:93], vcc
	s_xor_b64 s[92:93], exec, s[92:93]
; %bb.590:                              ;   in Loop: Header=BB12_133 Depth=3
	v_bfe_u32 v16, v11, 16, 1
	v_add3_u32 v36, v11, v16, s46
                                        ; implicit-def: $vgpr11
; %bb.591:                              ;   in Loop: Header=BB12_133 Depth=3
	s_andn2_saveexec_b64 s[92:93], s[92:93]
	s_cbranch_execz .LBB12_593
; %bb.592:                              ;   in Loop: Header=BB12_133 Depth=3
	buffer_load_dword v17, off, s[0:3], s33 offset:128 ; 4-byte Folded Reload
	buffer_load_dword v18, off, s[0:3], s33 offset:132 ; 4-byte Folded Reload
	v_or_b32_e32 v16, 0x10000, v11
	s_waitcnt vmcnt(1)
	v_cmp_eq_u32_sdwa vcc, v11, v17 src0_sel:WORD_0 src1_sel:DWORD
	v_cndmask_b32_e32 v36, v16, v11, vcc
.LBB12_593:                             ;   in Loop: Header=BB12_133 Depth=3
	s_or_b64 exec, exec, s[92:93]
	v_lshlrev_b32_e32 v11, 16, v20
	v_mul_f32_e32 v16, v61, v11
	v_and_b32_e32 v11, 0x7f800000, v16
	v_cmp_ne_u32_e32 vcc, s97, v11
                                        ; implicit-def: $vgpr11
	s_and_saveexec_b64 s[92:93], vcc
	s_xor_b64 s[92:93], exec, s[92:93]
; %bb.594:                              ;   in Loop: Header=BB12_133 Depth=3
	v_bfe_u32 v11, v16, 16, 1
	v_add3_u32 v11, v16, v11, s46
                                        ; implicit-def: $vgpr16
; %bb.595:                              ;   in Loop: Header=BB12_133 Depth=3
	s_andn2_saveexec_b64 s[92:93], s[92:93]
	s_cbranch_execz .LBB12_597
; %bb.596:                              ;   in Loop: Header=BB12_133 Depth=3
	buffer_load_dword v17, off, s[0:3], s33 offset:128 ; 4-byte Folded Reload
	buffer_load_dword v18, off, s[0:3], s33 offset:132 ; 4-byte Folded Reload
	v_or_b32_e32 v11, 0x10000, v16
	s_waitcnt vmcnt(1)
	v_cmp_eq_u32_sdwa vcc, v16, v17 src0_sel:WORD_0 src1_sel:DWORD
	v_cndmask_b32_e32 v11, v11, v16, vcc
.LBB12_597:                             ;   in Loop: Header=BB12_133 Depth=3
	s_or_b64 exec, exec, s[92:93]
	v_and_b32_e32 v16, 0xffff0000, v20
	v_mul_f32_e32 v16, v61, v16
	s_waitcnt vmcnt(0)
	v_and_b32_e32 v17, 0x7f800000, v16
	v_cmp_ne_u32_e32 vcc, s97, v17
                                        ; implicit-def: $vgpr37
	s_and_saveexec_b64 s[92:93], vcc
	s_xor_b64 s[92:93], exec, s[92:93]
; %bb.598:                              ;   in Loop: Header=BB12_133 Depth=3
	v_bfe_u32 v17, v16, 16, 1
	v_add3_u32 v37, v16, v17, s46
                                        ; implicit-def: $vgpr16
; %bb.599:                              ;   in Loop: Header=BB12_133 Depth=3
	s_andn2_saveexec_b64 s[92:93], s[92:93]
	s_cbranch_execz .LBB12_601
; %bb.600:                              ;   in Loop: Header=BB12_133 Depth=3
	buffer_load_dword v18, off, s[0:3], s33 offset:128 ; 4-byte Folded Reload
	buffer_load_dword v19, off, s[0:3], s33 offset:132 ; 4-byte Folded Reload
	;; [unrolled: 1-line block ×6, first 2 shown]
	v_or_b32_e32 v17, 0x10000, v16
	s_waitcnt vmcnt(5)
	v_cmp_eq_u32_sdwa vcc, v16, v18 src0_sel:WORD_0 src1_sel:DWORD
	v_cndmask_b32_e32 v37, v17, v16, vcc
.LBB12_601:                             ;   in Loop: Header=BB12_133 Depth=3
	s_or_b64 exec, exec, s[92:93]
	s_waitcnt vmcnt(1)
	v_lshlrev_b32_e32 v16, 16, v21
	v_mul_f32_e32 v16, v61, v16
	v_and_b32_e32 v17, 0x7f800000, v16
	v_cmp_ne_u32_e32 vcc, s97, v17
                                        ; implicit-def: $vgpr56
	s_and_saveexec_b64 s[92:93], vcc
	s_xor_b64 s[92:93], exec, s[92:93]
; %bb.602:                              ;   in Loop: Header=BB12_133 Depth=3
	v_bfe_u32 v17, v16, 16, 1
	v_add3_u32 v56, v16, v17, s46
                                        ; implicit-def: $vgpr16
; %bb.603:                              ;   in Loop: Header=BB12_133 Depth=3
	s_andn2_saveexec_b64 s[92:93], s[92:93]
	s_cbranch_execz .LBB12_605
; %bb.604:                              ;   in Loop: Header=BB12_133 Depth=3
	buffer_load_dword v18, off, s[0:3], s33 offset:128 ; 4-byte Folded Reload
	buffer_load_dword v19, off, s[0:3], s33 offset:132 ; 4-byte Folded Reload
	;; [unrolled: 1-line block ×6, first 2 shown]
	v_or_b32_e32 v17, 0x10000, v16
	s_waitcnt vmcnt(5)
	v_cmp_eq_u32_sdwa vcc, v16, v18 src0_sel:WORD_0 src1_sel:DWORD
	v_cndmask_b32_e32 v56, v17, v16, vcc
.LBB12_605:                             ;   in Loop: Header=BB12_133 Depth=3
	s_or_b64 exec, exec, s[92:93]
	s_waitcnt vmcnt(1)
	v_and_b32_e32 v16, 0xffff0000, v21
	v_mul_f32_e32 v16, v61, v16
	v_and_b32_e32 v17, 0x7f800000, v16
	v_cmp_ne_u32_e32 vcc, s97, v17
                                        ; implicit-def: $vgpr38
	s_and_saveexec_b64 s[92:93], vcc
	s_xor_b64 s[92:93], exec, s[92:93]
; %bb.606:                              ;   in Loop: Header=BB12_133 Depth=3
	v_bfe_u32 v17, v16, 16, 1
	v_add3_u32 v38, v16, v17, s46
                                        ; implicit-def: $vgpr16
; %bb.607:                              ;   in Loop: Header=BB12_133 Depth=3
	s_andn2_saveexec_b64 s[92:93], s[92:93]
	s_cbranch_execz .LBB12_609
; %bb.608:                              ;   in Loop: Header=BB12_133 Depth=3
	buffer_load_dword v18, off, s[0:3], s33 offset:128 ; 4-byte Folded Reload
	buffer_load_dword v19, off, s[0:3], s33 offset:132 ; 4-byte Folded Reload
	;; [unrolled: 1-line block ×6, first 2 shown]
	v_or_b32_e32 v17, 0x10000, v16
	s_waitcnt vmcnt(5)
	v_cmp_eq_u32_sdwa vcc, v16, v18 src0_sel:WORD_0 src1_sel:DWORD
	v_cndmask_b32_e32 v38, v17, v16, vcc
.LBB12_609:                             ;   in Loop: Header=BB12_133 Depth=3
	s_or_b64 exec, exec, s[92:93]
	s_waitcnt vmcnt(0)
	v_lshlrev_b32_e32 v16, 16, v22
	v_mul_f32_e32 v17, v61, v16
	v_and_b32_e32 v16, 0x7f800000, v17
	v_cmp_ne_u32_e32 vcc, s97, v16
                                        ; implicit-def: $vgpr16
	s_and_saveexec_b64 s[92:93], vcc
	s_xor_b64 s[92:93], exec, s[92:93]
; %bb.610:                              ;   in Loop: Header=BB12_133 Depth=3
	v_bfe_u32 v16, v17, 16, 1
	v_add3_u32 v16, v17, v16, s46
                                        ; implicit-def: $vgpr17
; %bb.611:                              ;   in Loop: Header=BB12_133 Depth=3
	s_andn2_saveexec_b64 s[92:93], s[92:93]
	s_cbranch_execz .LBB12_613
; %bb.612:                              ;   in Loop: Header=BB12_133 Depth=3
	buffer_load_dword v18, off, s[0:3], s33 offset:128 ; 4-byte Folded Reload
	buffer_load_dword v19, off, s[0:3], s33 offset:132 ; 4-byte Folded Reload
	;; [unrolled: 1-line block ×6, first 2 shown]
	v_or_b32_e32 v16, 0x10000, v17
	s_waitcnt vmcnt(5)
	v_cmp_eq_u32_sdwa vcc, v17, v18 src0_sel:WORD_0 src1_sel:DWORD
	v_cndmask_b32_e32 v16, v16, v17, vcc
.LBB12_613:                             ;   in Loop: Header=BB12_133 Depth=3
	s_or_b64 exec, exec, s[92:93]
	s_waitcnt vmcnt(0)
	v_and_b32_e32 v17, 0xffff0000, v22
	v_mul_f32_e32 v17, v61, v17
	v_and_b32_e32 v18, 0x7f800000, v17
	v_cmp_ne_u32_e32 vcc, s97, v18
                                        ; implicit-def: $vgpr18
	s_and_saveexec_b64 s[92:93], vcc
	s_xor_b64 s[92:93], exec, s[92:93]
; %bb.614:                              ;   in Loop: Header=BB12_133 Depth=3
	v_bfe_u32 v18, v17, 16, 1
	v_add3_u32 v18, v17, v18, s46
                                        ; implicit-def: $vgpr17
; %bb.615:                              ;   in Loop: Header=BB12_133 Depth=3
	s_andn2_saveexec_b64 s[92:93], s[92:93]
	s_cbranch_execz .LBB12_617
; %bb.616:                              ;   in Loop: Header=BB12_133 Depth=3
	buffer_load_dword v19, off, s[0:3], s33 offset:128 ; 4-byte Folded Reload
	buffer_load_dword v20, off, s[0:3], s33 offset:132 ; 4-byte Folded Reload
	v_or_b32_e32 v18, 0x10000, v17
	s_waitcnt vmcnt(1)
	v_cmp_eq_u32_sdwa vcc, v17, v19 src0_sel:WORD_0 src1_sel:DWORD
	v_cndmask_b32_e32 v18, v18, v17, vcc
.LBB12_617:                             ;   in Loop: Header=BB12_133 Depth=3
	s_or_b64 exec, exec, s[92:93]
	buffer_load_dword v19, off, s[0:3], s33 offset:168 ; 4-byte Folded Reload
	buffer_load_dword v20, off, s[0:3], s33 offset:172 ; 4-byte Folded Reload
	;; [unrolled: 1-line block ×4, first 2 shown]
	s_waitcnt vmcnt(3)
	v_lshlrev_b32_e32 v17, 16, v19
	v_mul_f32_e32 v19, v61, v17
	v_and_b32_e32 v17, 0x7f800000, v19
	v_cmp_ne_u32_e32 vcc, s97, v17
                                        ; implicit-def: $vgpr17
	s_and_saveexec_b64 s[92:93], vcc
	s_xor_b64 s[92:93], exec, s[92:93]
; %bb.618:                              ;   in Loop: Header=BB12_133 Depth=3
	v_bfe_u32 v17, v19, 16, 1
	v_add3_u32 v17, v19, v17, s46
                                        ; implicit-def: $vgpr19
; %bb.619:                              ;   in Loop: Header=BB12_133 Depth=3
	s_andn2_saveexec_b64 s[92:93], s[92:93]
	s_cbranch_execz .LBB12_621
; %bb.620:                              ;   in Loop: Header=BB12_133 Depth=3
	buffer_load_dword v20, off, s[0:3], s33 offset:128 ; 4-byte Folded Reload
	buffer_load_dword v21, off, s[0:3], s33 offset:132 ; 4-byte Folded Reload
	v_or_b32_e32 v17, 0x10000, v19
	s_waitcnt vmcnt(1)
	v_cmp_eq_u32_sdwa vcc, v19, v20 src0_sel:WORD_0 src1_sel:DWORD
	v_cndmask_b32_e32 v17, v17, v19, vcc
.LBB12_621:                             ;   in Loop: Header=BB12_133 Depth=3
	s_or_b64 exec, exec, s[92:93]
	buffer_load_dword v19, off, s[0:3], s33 offset:168 ; 4-byte Folded Reload
	buffer_load_dword v20, off, s[0:3], s33 offset:172 ; 4-byte Folded Reload
	;; [unrolled: 1-line block ×4, first 2 shown]
	s_waitcnt vmcnt(3)
	v_and_b32_e32 v19, 0xffff0000, v19
	s_waitcnt vmcnt(2)
	v_mul_f32_e32 v20, v61, v19
	v_and_b32_e32 v19, 0x7f800000, v20
	v_cmp_ne_u32_e32 vcc, s97, v19
                                        ; implicit-def: $vgpr19
	s_and_saveexec_b64 s[92:93], vcc
	s_xor_b64 s[92:93], exec, s[92:93]
; %bb.622:                              ;   in Loop: Header=BB12_133 Depth=3
	v_bfe_u32 v19, v20, 16, 1
	v_add3_u32 v19, v20, v19, s46
                                        ; implicit-def: $vgpr20
; %bb.623:                              ;   in Loop: Header=BB12_133 Depth=3
	s_andn2_saveexec_b64 s[92:93], s[92:93]
	s_cbranch_execz .LBB12_625
; %bb.624:                              ;   in Loop: Header=BB12_133 Depth=3
	buffer_load_dword v21, off, s[0:3], s33 offset:128 ; 4-byte Folded Reload
	buffer_load_dword v22, off, s[0:3], s33 offset:132 ; 4-byte Folded Reload
	v_or_b32_e32 v19, 0x10000, v20
	s_waitcnt vmcnt(1)
	v_cmp_eq_u32_sdwa vcc, v20, v21 src0_sel:WORD_0 src1_sel:DWORD
	v_cndmask_b32_e32 v19, v19, v20, vcc
.LBB12_625:                             ;   in Loop: Header=BB12_133 Depth=3
	s_or_b64 exec, exec, s[92:93]
	buffer_load_dword v20, off, s[0:3], s33 offset:168 ; 4-byte Folded Reload
	buffer_load_dword v21, off, s[0:3], s33 offset:172 ; 4-byte Folded Reload
	;; [unrolled: 1-line block ×4, first 2 shown]
                                        ; implicit-def: $vgpr32
	s_waitcnt vmcnt(2)
	v_lshlrev_b32_e32 v20, 16, v21
	v_mul_f32_e32 v20, v61, v20
	v_and_b32_e32 v21, 0x7f800000, v20
	v_cmp_ne_u32_e32 vcc, s97, v21
	s_and_saveexec_b64 s[92:93], vcc
	s_xor_b64 s[92:93], exec, s[92:93]
; %bb.626:                              ;   in Loop: Header=BB12_133 Depth=3
	v_bfe_u32 v21, v20, 16, 1
	v_add3_u32 v32, v20, v21, s46
                                        ; implicit-def: $vgpr20
; %bb.627:                              ;   in Loop: Header=BB12_133 Depth=3
	s_andn2_saveexec_b64 s[92:93], s[92:93]
	s_cbranch_execz .LBB12_629
; %bb.628:                              ;   in Loop: Header=BB12_133 Depth=3
	buffer_load_dword v22, off, s[0:3], s33 offset:128 ; 4-byte Folded Reload
	buffer_load_dword v23, off, s[0:3], s33 offset:132 ; 4-byte Folded Reload
	v_or_b32_e32 v21, 0x10000, v20
	s_waitcnt vmcnt(1)
	v_cmp_eq_u32_sdwa vcc, v20, v22 src0_sel:WORD_0 src1_sel:DWORD
	v_cndmask_b32_e32 v32, v21, v20, vcc
.LBB12_629:                             ;   in Loop: Header=BB12_133 Depth=3
	s_or_b64 exec, exec, s[92:93]
	buffer_load_dword v20, off, s[0:3], s33 offset:168 ; 4-byte Folded Reload
	buffer_load_dword v21, off, s[0:3], s33 offset:172 ; 4-byte Folded Reload
	;; [unrolled: 1-line block ×4, first 2 shown]
	s_waitcnt vmcnt(2)
	v_and_b32_e32 v20, 0xffff0000, v21
	v_mul_f32_e32 v21, v61, v20
	v_and_b32_e32 v20, 0x7f800000, v21
	v_cmp_ne_u32_e32 vcc, s97, v20
                                        ; implicit-def: $vgpr20
	s_and_saveexec_b64 s[92:93], vcc
	s_xor_b64 s[92:93], exec, s[92:93]
; %bb.630:                              ;   in Loop: Header=BB12_133 Depth=3
	v_bfe_u32 v20, v21, 16, 1
	v_add3_u32 v20, v21, v20, s46
                                        ; implicit-def: $vgpr21
; %bb.631:                              ;   in Loop: Header=BB12_133 Depth=3
	s_andn2_saveexec_b64 s[92:93], s[92:93]
	s_cbranch_execz .LBB12_633
; %bb.632:                              ;   in Loop: Header=BB12_133 Depth=3
	buffer_load_dword v22, off, s[0:3], s33 offset:128 ; 4-byte Folded Reload
	buffer_load_dword v23, off, s[0:3], s33 offset:132 ; 4-byte Folded Reload
	v_or_b32_e32 v20, 0x10000, v21
	s_waitcnt vmcnt(1)
	v_cmp_eq_u32_sdwa vcc, v21, v22 src0_sel:WORD_0 src1_sel:DWORD
	v_cndmask_b32_e32 v20, v20, v21, vcc
.LBB12_633:                             ;   in Loop: Header=BB12_133 Depth=3
	s_or_b64 exec, exec, s[92:93]
	buffer_load_dword v21, off, s[0:3], s33 offset:168 ; 4-byte Folded Reload
	buffer_load_dword v22, off, s[0:3], s33 offset:172 ; 4-byte Folded Reload
	buffer_load_dword v23, off, s[0:3], s33 offset:176 ; 4-byte Folded Reload
	buffer_load_dword v24, off, s[0:3], s33 offset:180 ; 4-byte Folded Reload
	s_waitcnt vmcnt(1)
	v_lshlrev_b32_e32 v21, 16, v23
	v_mul_f32_e32 v22, v61, v21
	v_and_b32_e32 v21, 0x7f800000, v22
	v_cmp_ne_u32_e32 vcc, s97, v21
                                        ; implicit-def: $vgpr21
	s_and_saveexec_b64 s[92:93], vcc
	s_xor_b64 s[92:93], exec, s[92:93]
; %bb.634:                              ;   in Loop: Header=BB12_133 Depth=3
	v_bfe_u32 v21, v22, 16, 1
	v_add3_u32 v21, v22, v21, s46
                                        ; implicit-def: $vgpr22
; %bb.635:                              ;   in Loop: Header=BB12_133 Depth=3
	s_andn2_saveexec_b64 s[92:93], s[92:93]
	s_cbranch_execz .LBB12_637
; %bb.636:                              ;   in Loop: Header=BB12_133 Depth=3
	buffer_load_dword v23, off, s[0:3], s33 offset:128 ; 4-byte Folded Reload
	buffer_load_dword v24, off, s[0:3], s33 offset:132 ; 4-byte Folded Reload
	v_or_b32_e32 v21, 0x10000, v22
	s_waitcnt vmcnt(1)
	v_cmp_eq_u32_sdwa vcc, v22, v23 src0_sel:WORD_0 src1_sel:DWORD
	v_cndmask_b32_e32 v21, v21, v22, vcc
.LBB12_637:                             ;   in Loop: Header=BB12_133 Depth=3
	s_or_b64 exec, exec, s[92:93]
	buffer_load_dword v22, off, s[0:3], s33 offset:168 ; 4-byte Folded Reload
	buffer_load_dword v23, off, s[0:3], s33 offset:172 ; 4-byte Folded Reload
	;; [unrolled: 1-line block ×4, first 2 shown]
	s_waitcnt vmcnt(1)
	v_and_b32_e32 v22, 0xffff0000, v24
	v_mul_f32_e32 v23, v61, v22
	v_and_b32_e32 v22, 0x7f800000, v23
	v_cmp_ne_u32_e32 vcc, s97, v22
                                        ; implicit-def: $vgpr22
	s_and_saveexec_b64 s[92:93], vcc
	s_xor_b64 s[92:93], exec, s[92:93]
; %bb.638:                              ;   in Loop: Header=BB12_133 Depth=3
	v_bfe_u32 v22, v23, 16, 1
	v_add3_u32 v22, v23, v22, s46
                                        ; implicit-def: $vgpr23
; %bb.639:                              ;   in Loop: Header=BB12_133 Depth=3
	s_andn2_saveexec_b64 s[92:93], s[92:93]
	s_cbranch_execz .LBB12_641
; %bb.640:                              ;   in Loop: Header=BB12_133 Depth=3
	buffer_load_dword v24, off, s[0:3], s33 offset:128 ; 4-byte Folded Reload
	buffer_load_dword v25, off, s[0:3], s33 offset:132 ; 4-byte Folded Reload
	v_or_b32_e32 v22, 0x10000, v23
	s_waitcnt vmcnt(1)
	v_cmp_eq_u32_sdwa vcc, v23, v24 src0_sel:WORD_0 src1_sel:DWORD
	v_cndmask_b32_e32 v22, v22, v23, vcc
.LBB12_641:                             ;   in Loop: Header=BB12_133 Depth=3
	s_or_b64 exec, exec, s[92:93]
	buffer_load_dword v23, off, s[0:3], s33 offset:168 ; 4-byte Folded Reload
	buffer_load_dword v24, off, s[0:3], s33 offset:172 ; 4-byte Folded Reload
	;; [unrolled: 1-line block ×4, first 2 shown]
	s_waitcnt vmcnt(0)
	v_lshlrev_b32_e32 v23, 16, v26
	v_mul_f32_e32 v33, v61, v23
	v_and_b32_e32 v23, 0x7f800000, v33
	v_cmp_ne_u32_e32 vcc, s97, v23
                                        ; implicit-def: $vgpr23
	s_and_saveexec_b64 s[92:93], vcc
	s_xor_b64 s[92:93], exec, s[92:93]
; %bb.642:                              ;   in Loop: Header=BB12_133 Depth=3
	v_bfe_u32 v23, v33, 16, 1
	v_add3_u32 v23, v33, v23, s46
                                        ; implicit-def: $vgpr33
; %bb.643:                              ;   in Loop: Header=BB12_133 Depth=3
	s_andn2_saveexec_b64 s[92:93], s[92:93]
	s_cbranch_execz .LBB12_645
; %bb.644:                              ;   in Loop: Header=BB12_133 Depth=3
	buffer_load_dword v24, off, s[0:3], s33 offset:128 ; 4-byte Folded Reload
	buffer_load_dword v25, off, s[0:3], s33 offset:132 ; 4-byte Folded Reload
	v_or_b32_e32 v23, 0x10000, v33
	s_waitcnt vmcnt(1)
	v_cmp_eq_u32_sdwa vcc, v33, v24 src0_sel:WORD_0 src1_sel:DWORD
	v_cndmask_b32_e32 v23, v23, v33, vcc
.LBB12_645:                             ;   in Loop: Header=BB12_133 Depth=3
	s_or_b64 exec, exec, s[92:93]
	buffer_load_dword v24, off, s[0:3], s33 offset:168 ; 4-byte Folded Reload
	buffer_load_dword v25, off, s[0:3], s33 offset:172 ; 4-byte Folded Reload
	;; [unrolled: 1-line block ×4, first 2 shown]
                                        ; implicit-def: $vgpr33
	s_waitcnt vmcnt(0)
	v_and_b32_e32 v24, 0xffff0000, v27
	v_mul_f32_e32 v34, v61, v24
	v_and_b32_e32 v24, 0x7f800000, v34
	v_cmp_ne_u32_e32 vcc, s97, v24
	s_and_saveexec_b64 s[92:93], vcc
	s_xor_b64 s[92:93], exec, s[92:93]
; %bb.646:                              ;   in Loop: Header=BB12_133 Depth=3
	v_bfe_u32 v24, v34, 16, 1
	v_add3_u32 v33, v34, v24, s46
                                        ; implicit-def: $vgpr34
; %bb.647:                              ;   in Loop: Header=BB12_133 Depth=3
	s_andn2_saveexec_b64 s[92:93], s[92:93]
	s_cbranch_execz .LBB12_132
; %bb.648:                              ;   in Loop: Header=BB12_133 Depth=3
	buffer_load_dword v25, off, s[0:3], s33 offset:128 ; 4-byte Folded Reload
	buffer_load_dword v26, off, s[0:3], s33 offset:132 ; 4-byte Folded Reload
	v_or_b32_e32 v24, 0x10000, v34
	s_waitcnt vmcnt(1)
	v_cmp_eq_u32_sdwa vcc, v34, v25 src0_sel:WORD_0 src1_sel:DWORD
	v_cndmask_b32_e32 v33, v24, v34, vcc
	s_branch .LBB12_132
.LBB12_649:                             ;   in Loop: Header=BB12_57 Depth=2
	buffer_load_dword v0, off, s[0:3], s33 offset:596 ; 4-byte Folded Reload
	buffer_load_dword v5, off, s[0:3], s33 offset:580 ; 4-byte Folded Reload
	s_and_saveexec_b64 s[26:27], s[76:77]
	s_cbranch_execnz .LBB12_1022
	s_branch .LBB12_1246
.LBB12_650:                             ;   in Loop: Header=BB12_57 Depth=2
	s_or_b64 exec, exec, s[78:79]
	s_and_b64 s[78:79], s[88:89], exec
.LBB12_651:                             ;   in Loop: Header=BB12_57 Depth=2
	s_or_b64 exec, exec, s[26:27]
	s_and_saveexec_b64 s[26:27], s[78:79]
	s_cbranch_execz .LBB12_909
; %bb.652:                              ;   in Loop: Header=BB12_57 Depth=2
	s_trap 2
	ds_read_b32 v0, v0
	s_waitcnt lgkmcnt(0)
	v_lshlrev_b32_e32 v3, 16, v0
	v_lshlrev_b32_e32 v0, 16, v28
	v_mul_f32_e32 v0, v0, v3
	v_and_b32_e32 v1, 0x7f800000, v0
	v_cmp_ne_u32_e32 vcc, s97, v1
                                        ; implicit-def: $vgpr1
                                        ; kill: killed $vgpr1
	s_and_saveexec_b64 s[78:79], vcc
	s_xor_b64 s[78:79], exec, s[78:79]
	s_cbranch_execz .LBB12_654
; %bb.653:                              ;   in Loop: Header=BB12_57 Depth=2
	v_bfe_u32 v1, v0, 16, 1
	v_add3_u32 v0, v0, v1, s46
	buffer_store_dword v0, off, s[0:3], s33 offset:168 ; 4-byte Folded Spill
                                        ; implicit-def: $vgpr0
.LBB12_654:                             ;   in Loop: Header=BB12_57 Depth=2
	s_andn2_saveexec_b64 s[78:79], s[78:79]
	s_cbranch_execz .LBB12_656
; %bb.655:                              ;   in Loop: Header=BB12_57 Depth=2
	buffer_load_dword v4, off, s[0:3], s33 offset:128 ; 4-byte Folded Reload
	buffer_load_dword v5, off, s[0:3], s33 offset:132 ; 4-byte Folded Reload
	v_or_b32_e32 v1, 0x10000, v0
	s_waitcnt vmcnt(1)
	v_cmp_eq_u32_sdwa vcc, v0, v4 src0_sel:WORD_0 src1_sel:DWORD
	v_cndmask_b32_e32 v0, v1, v0, vcc
	buffer_store_dword v0, off, s[0:3], s33 offset:168 ; 4-byte Folded Spill
.LBB12_656:                             ;   in Loop: Header=BB12_57 Depth=2
	s_or_b64 exec, exec, s[78:79]
	v_and_b32_e32 v0, 0xffff0000, v28
	v_mul_f32_e32 v0, v0, v3
	v_and_b32_e32 v1, 0x7f800000, v0
	v_cmp_ne_u32_e32 vcc, s97, v1
                                        ; implicit-def: $vgpr1
                                        ; kill: killed $vgpr1
	s_and_saveexec_b64 s[78:79], vcc
	s_xor_b64 s[78:79], exec, s[78:79]
	s_cbranch_execz .LBB12_658
; %bb.657:                              ;   in Loop: Header=BB12_57 Depth=2
	v_bfe_u32 v1, v0, 16, 1
	v_add3_u32 v0, v0, v1, s46
	buffer_store_dword v0, off, s[0:3], s33 offset:184 ; 4-byte Folded Spill
                                        ; implicit-def: $vgpr0
.LBB12_658:                             ;   in Loop: Header=BB12_57 Depth=2
	s_andn2_saveexec_b64 s[78:79], s[78:79]
	s_cbranch_execz .LBB12_660
; %bb.659:                              ;   in Loop: Header=BB12_57 Depth=2
	buffer_load_dword v4, off, s[0:3], s33 offset:128 ; 4-byte Folded Reload
	buffer_load_dword v5, off, s[0:3], s33 offset:132 ; 4-byte Folded Reload
	v_or_b32_e32 v1, 0x10000, v0
	s_waitcnt vmcnt(1)
	v_cmp_eq_u32_sdwa vcc, v0, v4 src0_sel:WORD_0 src1_sel:DWORD
	v_cndmask_b32_e32 v0, v1, v0, vcc
	buffer_store_dword v0, off, s[0:3], s33 offset:184 ; 4-byte Folded Spill
.LBB12_660:                             ;   in Loop: Header=BB12_57 Depth=2
	s_or_b64 exec, exec, s[78:79]
	v_lshlrev_b32_e32 v0, 16, v29
	v_mul_f32_e32 v0, v0, v3
	v_and_b32_e32 v1, 0x7f800000, v0
	v_cmp_ne_u32_e32 vcc, s97, v1
                                        ; implicit-def: $vgpr1
                                        ; kill: killed $vgpr1
	s_and_saveexec_b64 s[78:79], vcc
	s_xor_b64 s[78:79], exec, s[78:79]
	s_cbranch_execz .LBB12_662
; %bb.661:                              ;   in Loop: Header=BB12_57 Depth=2
	v_bfe_u32 v1, v0, 16, 1
	v_add3_u32 v0, v0, v1, s46
	buffer_store_dword v0, off, s[0:3], s33 offset:300 ; 4-byte Folded Spill
                                        ; implicit-def: $vgpr0
.LBB12_662:                             ;   in Loop: Header=BB12_57 Depth=2
	s_andn2_saveexec_b64 s[78:79], s[78:79]
	s_cbranch_execz .LBB12_664
; %bb.663:                              ;   in Loop: Header=BB12_57 Depth=2
	buffer_load_dword v4, off, s[0:3], s33 offset:128 ; 4-byte Folded Reload
	buffer_load_dword v5, off, s[0:3], s33 offset:132 ; 4-byte Folded Reload
	v_or_b32_e32 v1, 0x10000, v0
	s_waitcnt vmcnt(1)
	v_cmp_eq_u32_sdwa vcc, v0, v4 src0_sel:WORD_0 src1_sel:DWORD
	v_cndmask_b32_e32 v0, v1, v0, vcc
	buffer_store_dword v0, off, s[0:3], s33 offset:300 ; 4-byte Folded Spill
.LBB12_664:                             ;   in Loop: Header=BB12_57 Depth=2
	s_or_b64 exec, exec, s[78:79]
	v_and_b32_e32 v0, 0xffff0000, v29
	v_mul_f32_e32 v0, v0, v3
	v_and_b32_e32 v1, 0x7f800000, v0
	v_cmp_ne_u32_e32 vcc, s97, v1
                                        ; implicit-def: $vgpr1
                                        ; kill: killed $vgpr1
	s_and_saveexec_b64 s[78:79], vcc
	s_xor_b64 s[78:79], exec, s[78:79]
	s_cbranch_execz .LBB12_666
; %bb.665:                              ;   in Loop: Header=BB12_57 Depth=2
	v_bfe_u32 v1, v0, 16, 1
	v_add3_u32 v0, v0, v1, s46
	buffer_store_dword v0, off, s[0:3], s33 offset:324 ; 4-byte Folded Spill
                                        ; implicit-def: $vgpr0
.LBB12_666:                             ;   in Loop: Header=BB12_57 Depth=2
	s_andn2_saveexec_b64 s[78:79], s[78:79]
	s_cbranch_execz .LBB12_668
; %bb.667:                              ;   in Loop: Header=BB12_57 Depth=2
	buffer_load_dword v4, off, s[0:3], s33 offset:128 ; 4-byte Folded Reload
	buffer_load_dword v5, off, s[0:3], s33 offset:132 ; 4-byte Folded Reload
	v_or_b32_e32 v1, 0x10000, v0
	s_waitcnt vmcnt(1)
	v_cmp_eq_u32_sdwa vcc, v0, v4 src0_sel:WORD_0 src1_sel:DWORD
	v_cndmask_b32_e32 v0, v1, v0, vcc
	buffer_store_dword v0, off, s[0:3], s33 offset:324 ; 4-byte Folded Spill
.LBB12_668:                             ;   in Loop: Header=BB12_57 Depth=2
	s_or_b64 exec, exec, s[78:79]
	;; [unrolled: 54-line block ×4, first 2 shown]
	v_lshlrev_b32_e32 v0, 16, v44
	v_mul_f32_e32 v0, v0, v3
	v_and_b32_e32 v1, 0x7f800000, v0
	v_cmp_ne_u32_e32 vcc, s97, v1
                                        ; implicit-def: $vgpr9
	s_and_saveexec_b64 s[78:79], vcc
	s_xor_b64 s[78:79], exec, s[78:79]
; %bb.685:                              ;   in Loop: Header=BB12_57 Depth=2
	v_bfe_u32 v1, v0, 16, 1
	v_add3_u32 v9, v0, v1, s46
                                        ; implicit-def: $vgpr0
; %bb.686:                              ;   in Loop: Header=BB12_57 Depth=2
	s_andn2_saveexec_b64 s[78:79], s[78:79]
	s_cbranch_execz .LBB12_688
; %bb.687:                              ;   in Loop: Header=BB12_57 Depth=2
	buffer_load_dword v4, off, s[0:3], s33 offset:128 ; 4-byte Folded Reload
	buffer_load_dword v5, off, s[0:3], s33 offset:132 ; 4-byte Folded Reload
	v_or_b32_e32 v1, 0x10000, v0
	s_waitcnt vmcnt(1)
	v_cmp_eq_u32_sdwa vcc, v0, v4 src0_sel:WORD_0 src1_sel:DWORD
	v_cndmask_b32_e32 v9, v1, v0, vcc
.LBB12_688:                             ;   in Loop: Header=BB12_57 Depth=2
	s_or_b64 exec, exec, s[78:79]
	v_and_b32_e32 v0, 0xffff0000, v44
	v_mul_f32_e32 v0, v0, v3
	v_and_b32_e32 v1, 0x7f800000, v0
	v_cmp_ne_u32_e32 vcc, s97, v1
                                        ; implicit-def: $vgpr10
	s_and_saveexec_b64 s[78:79], vcc
	s_xor_b64 s[78:79], exec, s[78:79]
; %bb.689:                              ;   in Loop: Header=BB12_57 Depth=2
	v_bfe_u32 v1, v0, 16, 1
	v_add3_u32 v10, v0, v1, s46
                                        ; implicit-def: $vgpr0
; %bb.690:                              ;   in Loop: Header=BB12_57 Depth=2
	s_andn2_saveexec_b64 s[78:79], s[78:79]
	s_cbranch_execz .LBB12_692
; %bb.691:                              ;   in Loop: Header=BB12_57 Depth=2
	buffer_load_dword v4, off, s[0:3], s33 offset:128 ; 4-byte Folded Reload
	buffer_load_dword v5, off, s[0:3], s33 offset:132 ; 4-byte Folded Reload
	v_or_b32_e32 v1, 0x10000, v0
	s_waitcnt vmcnt(1)
	v_cmp_eq_u32_sdwa vcc, v0, v4 src0_sel:WORD_0 src1_sel:DWORD
	v_cndmask_b32_e32 v10, v1, v0, vcc
.LBB12_692:                             ;   in Loop: Header=BB12_57 Depth=2
	s_or_b64 exec, exec, s[78:79]
	v_lshlrev_b32_e32 v0, 16, v45
	v_mul_f32_e32 v0, v0, v3
	v_and_b32_e32 v1, 0x7f800000, v0
	v_cmp_ne_u32_e32 vcc, s97, v1
                                        ; implicit-def: $vgpr11
	s_and_saveexec_b64 s[78:79], vcc
	s_xor_b64 s[78:79], exec, s[78:79]
; %bb.693:                              ;   in Loop: Header=BB12_57 Depth=2
	v_bfe_u32 v1, v0, 16, 1
	v_add3_u32 v11, v0, v1, s46
                                        ; implicit-def: $vgpr0
; %bb.694:                              ;   in Loop: Header=BB12_57 Depth=2
	s_andn2_saveexec_b64 s[78:79], s[78:79]
	s_cbranch_execz .LBB12_696
; %bb.695:                              ;   in Loop: Header=BB12_57 Depth=2
	buffer_load_dword v4, off, s[0:3], s33 offset:128 ; 4-byte Folded Reload
	buffer_load_dword v5, off, s[0:3], s33 offset:132 ; 4-byte Folded Reload
	v_or_b32_e32 v1, 0x10000, v0
	s_waitcnt vmcnt(1)
	v_cmp_eq_u32_sdwa vcc, v0, v4 src0_sel:WORD_0 src1_sel:DWORD
	v_cndmask_b32_e32 v11, v1, v0, vcc
.LBB12_696:                             ;   in Loop: Header=BB12_57 Depth=2
	s_or_b64 exec, exec, s[78:79]
	v_and_b32_e32 v0, 0xffff0000, v45
	v_mul_f32_e32 v0, v0, v3
	v_and_b32_e32 v1, 0x7f800000, v0
	v_cmp_ne_u32_e32 vcc, s97, v1
                                        ; implicit-def: $vgpr12
	s_and_saveexec_b64 s[78:79], vcc
	s_xor_b64 s[78:79], exec, s[78:79]
; %bb.697:                              ;   in Loop: Header=BB12_57 Depth=2
	v_bfe_u32 v1, v0, 16, 1
	v_add3_u32 v12, v0, v1, s46
                                        ; implicit-def: $vgpr0
; %bb.698:                              ;   in Loop: Header=BB12_57 Depth=2
	s_andn2_saveexec_b64 s[78:79], s[78:79]
	s_cbranch_execz .LBB12_700
; %bb.699:                              ;   in Loop: Header=BB12_57 Depth=2
	buffer_load_dword v4, off, s[0:3], s33 offset:128 ; 4-byte Folded Reload
	buffer_load_dword v5, off, s[0:3], s33 offset:132 ; 4-byte Folded Reload
	v_or_b32_e32 v1, 0x10000, v0
	s_waitcnt vmcnt(1)
	v_cmp_eq_u32_sdwa vcc, v0, v4 src0_sel:WORD_0 src1_sel:DWORD
	v_cndmask_b32_e32 v12, v1, v0, vcc
.LBB12_700:                             ;   in Loop: Header=BB12_57 Depth=2
	s_or_b64 exec, exec, s[78:79]
	v_lshlrev_b32_e32 v0, 16, v46
	v_mul_f32_e32 v0, v0, v3
	v_and_b32_e32 v1, 0x7f800000, v0
	v_cmp_ne_u32_e32 vcc, s97, v1
                                        ; implicit-def: $vgpr13
	s_and_saveexec_b64 s[78:79], vcc
	s_xor_b64 s[78:79], exec, s[78:79]
; %bb.701:                              ;   in Loop: Header=BB12_57 Depth=2
	v_bfe_u32 v1, v0, 16, 1
	v_add3_u32 v13, v0, v1, s46
                                        ; implicit-def: $vgpr0
; %bb.702:                              ;   in Loop: Header=BB12_57 Depth=2
	s_andn2_saveexec_b64 s[78:79], s[78:79]
	s_cbranch_execz .LBB12_704
; %bb.703:                              ;   in Loop: Header=BB12_57 Depth=2
	buffer_load_dword v4, off, s[0:3], s33 offset:128 ; 4-byte Folded Reload
	buffer_load_dword v5, off, s[0:3], s33 offset:132 ; 4-byte Folded Reload
	v_or_b32_e32 v1, 0x10000, v0
	s_waitcnt vmcnt(1)
	v_cmp_eq_u32_sdwa vcc, v0, v4 src0_sel:WORD_0 src1_sel:DWORD
	v_cndmask_b32_e32 v13, v1, v0, vcc
.LBB12_704:                             ;   in Loop: Header=BB12_57 Depth=2
	s_or_b64 exec, exec, s[78:79]
	v_and_b32_e32 v0, 0xffff0000, v46
	v_mul_f32_e32 v0, v0, v3
	v_and_b32_e32 v1, 0x7f800000, v0
	v_cmp_ne_u32_e32 vcc, s97, v1
                                        ; implicit-def: $vgpr28
	s_and_saveexec_b64 s[78:79], vcc
	s_xor_b64 s[78:79], exec, s[78:79]
; %bb.705:                              ;   in Loop: Header=BB12_57 Depth=2
	v_bfe_u32 v1, v0, 16, 1
	v_add3_u32 v28, v0, v1, s46
                                        ; implicit-def: $vgpr0
; %bb.706:                              ;   in Loop: Header=BB12_57 Depth=2
	s_andn2_saveexec_b64 s[78:79], s[78:79]
	s_cbranch_execz .LBB12_708
; %bb.707:                              ;   in Loop: Header=BB12_57 Depth=2
	buffer_load_dword v4, off, s[0:3], s33 offset:128 ; 4-byte Folded Reload
	buffer_load_dword v5, off, s[0:3], s33 offset:132 ; 4-byte Folded Reload
	v_or_b32_e32 v1, 0x10000, v0
	s_waitcnt vmcnt(1)
	v_cmp_eq_u32_sdwa vcc, v0, v4 src0_sel:WORD_0 src1_sel:DWORD
	v_cndmask_b32_e32 v28, v1, v0, vcc
.LBB12_708:                             ;   in Loop: Header=BB12_57 Depth=2
	s_or_b64 exec, exec, s[78:79]
	v_lshlrev_b32_e32 v0, 16, v47
	v_mul_f32_e32 v0, v0, v3
	v_and_b32_e32 v1, 0x7f800000, v0
	v_cmp_ne_u32_e32 vcc, s97, v1
                                        ; implicit-def: $vgpr29
	s_and_saveexec_b64 s[78:79], vcc
	s_xor_b64 s[78:79], exec, s[78:79]
; %bb.709:                              ;   in Loop: Header=BB12_57 Depth=2
	v_bfe_u32 v1, v0, 16, 1
	v_add3_u32 v29, v0, v1, s46
                                        ; implicit-def: $vgpr0
; %bb.710:                              ;   in Loop: Header=BB12_57 Depth=2
	s_andn2_saveexec_b64 s[78:79], s[78:79]
	s_cbranch_execz .LBB12_712
; %bb.711:                              ;   in Loop: Header=BB12_57 Depth=2
	buffer_load_dword v4, off, s[0:3], s33 offset:128 ; 4-byte Folded Reload
	buffer_load_dword v5, off, s[0:3], s33 offset:132 ; 4-byte Folded Reload
	v_or_b32_e32 v1, 0x10000, v0
	s_waitcnt vmcnt(1)
	v_cmp_eq_u32_sdwa vcc, v0, v4 src0_sel:WORD_0 src1_sel:DWORD
	v_cndmask_b32_e32 v29, v1, v0, vcc
.LBB12_712:                             ;   in Loop: Header=BB12_57 Depth=2
	s_or_b64 exec, exec, s[78:79]
	v_and_b32_e32 v0, 0xffff0000, v47
	v_mul_f32_e32 v0, v0, v3
	v_and_b32_e32 v1, 0x7f800000, v0
	v_cmp_ne_u32_e32 vcc, s97, v1
                                        ; implicit-def: $vgpr30
	s_and_saveexec_b64 s[78:79], vcc
	s_xor_b64 s[78:79], exec, s[78:79]
; %bb.713:                              ;   in Loop: Header=BB12_57 Depth=2
	v_bfe_u32 v1, v0, 16, 1
	v_add3_u32 v30, v0, v1, s46
                                        ; implicit-def: $vgpr0
; %bb.714:                              ;   in Loop: Header=BB12_57 Depth=2
	s_andn2_saveexec_b64 s[78:79], s[78:79]
	s_cbranch_execz .LBB12_716
; %bb.715:                              ;   in Loop: Header=BB12_57 Depth=2
	buffer_load_dword v4, off, s[0:3], s33 offset:128 ; 4-byte Folded Reload
	buffer_load_dword v5, off, s[0:3], s33 offset:132 ; 4-byte Folded Reload
	v_or_b32_e32 v1, 0x10000, v0
	s_waitcnt vmcnt(1)
	v_cmp_eq_u32_sdwa vcc, v0, v4 src0_sel:WORD_0 src1_sel:DWORD
	v_cndmask_b32_e32 v30, v1, v0, vcc
.LBB12_716:                             ;   in Loop: Header=BB12_57 Depth=2
	s_or_b64 exec, exec, s[78:79]
	buffer_load_dword v4, off, s[0:3], s33 offset:284 ; 4-byte Folded Reload
	buffer_load_dword v5, off, s[0:3], s33 offset:288 ; 4-byte Folded Reload
	;; [unrolled: 1-line block ×4, first 2 shown]
                                        ; implicit-def: $vgpr31
	s_waitcnt vmcnt(3)
	v_lshlrev_b32_e32 v0, 16, v4
	v_mul_f32_e32 v0, v0, v3
	v_and_b32_e32 v1, 0x7f800000, v0
	v_cmp_ne_u32_e32 vcc, s97, v1
	s_and_saveexec_b64 s[78:79], vcc
	s_xor_b64 s[78:79], exec, s[78:79]
; %bb.717:                              ;   in Loop: Header=BB12_57 Depth=2
	v_bfe_u32 v1, v0, 16, 1
	v_add3_u32 v31, v0, v1, s46
                                        ; implicit-def: $vgpr0
; %bb.718:                              ;   in Loop: Header=BB12_57 Depth=2
	s_andn2_saveexec_b64 s[78:79], s[78:79]
	s_cbranch_execz .LBB12_720
; %bb.719:                              ;   in Loop: Header=BB12_57 Depth=2
	buffer_load_dword v4, off, s[0:3], s33 offset:128 ; 4-byte Folded Reload
	buffer_load_dword v5, off, s[0:3], s33 offset:132 ; 4-byte Folded Reload
	v_or_b32_e32 v1, 0x10000, v0
	s_waitcnt vmcnt(1)
	v_cmp_eq_u32_sdwa vcc, v0, v4 src0_sel:WORD_0 src1_sel:DWORD
	v_cndmask_b32_e32 v31, v1, v0, vcc
.LBB12_720:                             ;   in Loop: Header=BB12_57 Depth=2
	s_or_b64 exec, exec, s[78:79]
	buffer_load_dword v4, off, s[0:3], s33 offset:284 ; 4-byte Folded Reload
	buffer_load_dword v5, off, s[0:3], s33 offset:288 ; 4-byte Folded Reload
	;; [unrolled: 1-line block ×4, first 2 shown]
                                        ; implicit-def: $vgpr32
	s_waitcnt vmcnt(3)
	v_and_b32_e32 v0, 0xffff0000, v4
	v_mul_f32_e32 v0, v0, v3
	v_and_b32_e32 v1, 0x7f800000, v0
	v_cmp_ne_u32_e32 vcc, s97, v1
	s_and_saveexec_b64 s[78:79], vcc
	s_xor_b64 s[78:79], exec, s[78:79]
; %bb.721:                              ;   in Loop: Header=BB12_57 Depth=2
	v_bfe_u32 v1, v0, 16, 1
	v_add3_u32 v32, v0, v1, s46
                                        ; implicit-def: $vgpr0
; %bb.722:                              ;   in Loop: Header=BB12_57 Depth=2
	s_andn2_saveexec_b64 s[78:79], s[78:79]
	s_cbranch_execz .LBB12_724
; %bb.723:                              ;   in Loop: Header=BB12_57 Depth=2
	buffer_load_dword v4, off, s[0:3], s33 offset:128 ; 4-byte Folded Reload
	buffer_load_dword v5, off, s[0:3], s33 offset:132 ; 4-byte Folded Reload
	v_or_b32_e32 v1, 0x10000, v0
	s_waitcnt vmcnt(1)
	v_cmp_eq_u32_sdwa vcc, v0, v4 src0_sel:WORD_0 src1_sel:DWORD
	v_cndmask_b32_e32 v32, v1, v0, vcc
.LBB12_724:                             ;   in Loop: Header=BB12_57 Depth=2
	s_or_b64 exec, exec, s[78:79]
	buffer_load_dword v4, off, s[0:3], s33 offset:284 ; 4-byte Folded Reload
	buffer_load_dword v5, off, s[0:3], s33 offset:288 ; 4-byte Folded Reload
	;; [unrolled: 1-line block ×4, first 2 shown]
                                        ; implicit-def: $vgpr33
	s_waitcnt vmcnt(2)
	v_lshlrev_b32_e32 v0, 16, v5
	v_mul_f32_e32 v0, v0, v3
	v_and_b32_e32 v1, 0x7f800000, v0
	v_cmp_ne_u32_e32 vcc, s97, v1
	s_and_saveexec_b64 s[78:79], vcc
	s_xor_b64 s[78:79], exec, s[78:79]
; %bb.725:                              ;   in Loop: Header=BB12_57 Depth=2
	v_bfe_u32 v1, v0, 16, 1
	v_add3_u32 v33, v0, v1, s46
                                        ; implicit-def: $vgpr0
; %bb.726:                              ;   in Loop: Header=BB12_57 Depth=2
	s_andn2_saveexec_b64 s[78:79], s[78:79]
	s_cbranch_execz .LBB12_728
; %bb.727:                              ;   in Loop: Header=BB12_57 Depth=2
	buffer_load_dword v4, off, s[0:3], s33 offset:128 ; 4-byte Folded Reload
	buffer_load_dword v5, off, s[0:3], s33 offset:132 ; 4-byte Folded Reload
	v_or_b32_e32 v1, 0x10000, v0
	s_waitcnt vmcnt(1)
	v_cmp_eq_u32_sdwa vcc, v0, v4 src0_sel:WORD_0 src1_sel:DWORD
	v_cndmask_b32_e32 v33, v1, v0, vcc
.LBB12_728:                             ;   in Loop: Header=BB12_57 Depth=2
	s_or_b64 exec, exec, s[78:79]
	buffer_load_dword v4, off, s[0:3], s33 offset:284 ; 4-byte Folded Reload
	buffer_load_dword v5, off, s[0:3], s33 offset:288 ; 4-byte Folded Reload
	;; [unrolled: 1-line block ×4, first 2 shown]
                                        ; implicit-def: $vgpr34
	s_waitcnt vmcnt(2)
	v_and_b32_e32 v0, 0xffff0000, v5
	v_mul_f32_e32 v0, v0, v3
	v_and_b32_e32 v1, 0x7f800000, v0
	v_cmp_ne_u32_e32 vcc, s97, v1
	s_and_saveexec_b64 s[78:79], vcc
	s_xor_b64 s[78:79], exec, s[78:79]
; %bb.729:                              ;   in Loop: Header=BB12_57 Depth=2
	v_bfe_u32 v1, v0, 16, 1
	v_add3_u32 v34, v0, v1, s46
                                        ; implicit-def: $vgpr0
; %bb.730:                              ;   in Loop: Header=BB12_57 Depth=2
	s_andn2_saveexec_b64 s[78:79], s[78:79]
	s_cbranch_execz .LBB12_732
; %bb.731:                              ;   in Loop: Header=BB12_57 Depth=2
	buffer_load_dword v4, off, s[0:3], s33 offset:128 ; 4-byte Folded Reload
	buffer_load_dword v5, off, s[0:3], s33 offset:132 ; 4-byte Folded Reload
	v_or_b32_e32 v1, 0x10000, v0
	s_waitcnt vmcnt(1)
	v_cmp_eq_u32_sdwa vcc, v0, v4 src0_sel:WORD_0 src1_sel:DWORD
	v_cndmask_b32_e32 v34, v1, v0, vcc
.LBB12_732:                             ;   in Loop: Header=BB12_57 Depth=2
	s_or_b64 exec, exec, s[78:79]
	buffer_load_dword v4, off, s[0:3], s33 offset:284 ; 4-byte Folded Reload
	buffer_load_dword v5, off, s[0:3], s33 offset:288 ; 4-byte Folded Reload
	;; [unrolled: 1-line block ×4, first 2 shown]
                                        ; implicit-def: $vgpr35
	s_waitcnt vmcnt(1)
	v_lshlrev_b32_e32 v0, 16, v6
	v_mul_f32_e32 v0, v0, v3
	v_and_b32_e32 v1, 0x7f800000, v0
	v_cmp_ne_u32_e32 vcc, s97, v1
	s_and_saveexec_b64 s[78:79], vcc
	s_xor_b64 s[78:79], exec, s[78:79]
; %bb.733:                              ;   in Loop: Header=BB12_57 Depth=2
	v_bfe_u32 v1, v0, 16, 1
	v_add3_u32 v35, v0, v1, s46
                                        ; implicit-def: $vgpr0
; %bb.734:                              ;   in Loop: Header=BB12_57 Depth=2
	s_andn2_saveexec_b64 s[78:79], s[78:79]
	s_cbranch_execz .LBB12_736
; %bb.735:                              ;   in Loop: Header=BB12_57 Depth=2
	buffer_load_dword v4, off, s[0:3], s33 offset:128 ; 4-byte Folded Reload
	buffer_load_dword v5, off, s[0:3], s33 offset:132 ; 4-byte Folded Reload
	v_or_b32_e32 v1, 0x10000, v0
	s_waitcnt vmcnt(1)
	v_cmp_eq_u32_sdwa vcc, v0, v4 src0_sel:WORD_0 src1_sel:DWORD
	v_cndmask_b32_e32 v35, v1, v0, vcc
.LBB12_736:                             ;   in Loop: Header=BB12_57 Depth=2
	s_or_b64 exec, exec, s[78:79]
	buffer_load_dword v4, off, s[0:3], s33 offset:284 ; 4-byte Folded Reload
	buffer_load_dword v5, off, s[0:3], s33 offset:288 ; 4-byte Folded Reload
	;; [unrolled: 1-line block ×4, first 2 shown]
                                        ; implicit-def: $vgpr36
	s_waitcnt vmcnt(1)
	v_and_b32_e32 v0, 0xffff0000, v6
	v_mul_f32_e32 v0, v0, v3
	v_and_b32_e32 v1, 0x7f800000, v0
	v_cmp_ne_u32_e32 vcc, s97, v1
	s_and_saveexec_b64 s[78:79], vcc
	s_xor_b64 s[78:79], exec, s[78:79]
; %bb.737:                              ;   in Loop: Header=BB12_57 Depth=2
	v_bfe_u32 v1, v0, 16, 1
	v_add3_u32 v36, v0, v1, s46
                                        ; implicit-def: $vgpr0
; %bb.738:                              ;   in Loop: Header=BB12_57 Depth=2
	s_andn2_saveexec_b64 s[78:79], s[78:79]
	s_cbranch_execz .LBB12_740
; %bb.739:                              ;   in Loop: Header=BB12_57 Depth=2
	buffer_load_dword v4, off, s[0:3], s33 offset:128 ; 4-byte Folded Reload
	buffer_load_dword v5, off, s[0:3], s33 offset:132 ; 4-byte Folded Reload
	v_or_b32_e32 v1, 0x10000, v0
	s_waitcnt vmcnt(1)
	v_cmp_eq_u32_sdwa vcc, v0, v4 src0_sel:WORD_0 src1_sel:DWORD
	v_cndmask_b32_e32 v36, v1, v0, vcc
.LBB12_740:                             ;   in Loop: Header=BB12_57 Depth=2
	s_or_b64 exec, exec, s[78:79]
	buffer_load_dword v4, off, s[0:3], s33 offset:284 ; 4-byte Folded Reload
	buffer_load_dword v5, off, s[0:3], s33 offset:288 ; 4-byte Folded Reload
	buffer_load_dword v6, off, s[0:3], s33 offset:292 ; 4-byte Folded Reload
	buffer_load_dword v7, off, s[0:3], s33 offset:296 ; 4-byte Folded Reload
                                        ; implicit-def: $vgpr37
	s_waitcnt vmcnt(0)
	v_lshlrev_b32_e32 v0, 16, v7
	v_mul_f32_e32 v0, v0, v3
	v_and_b32_e32 v1, 0x7f800000, v0
	v_cmp_ne_u32_e32 vcc, s97, v1
	s_and_saveexec_b64 s[78:79], vcc
	s_xor_b64 s[78:79], exec, s[78:79]
; %bb.741:                              ;   in Loop: Header=BB12_57 Depth=2
	v_bfe_u32 v1, v0, 16, 1
	v_add3_u32 v37, v0, v1, s46
                                        ; implicit-def: $vgpr0
; %bb.742:                              ;   in Loop: Header=BB12_57 Depth=2
	s_andn2_saveexec_b64 s[78:79], s[78:79]
	s_cbranch_execz .LBB12_744
; %bb.743:                              ;   in Loop: Header=BB12_57 Depth=2
	buffer_load_dword v4, off, s[0:3], s33 offset:128 ; 4-byte Folded Reload
	buffer_load_dword v5, off, s[0:3], s33 offset:132 ; 4-byte Folded Reload
	v_or_b32_e32 v1, 0x10000, v0
	s_waitcnt vmcnt(1)
	v_cmp_eq_u32_sdwa vcc, v0, v4 src0_sel:WORD_0 src1_sel:DWORD
	v_cndmask_b32_e32 v37, v1, v0, vcc
.LBB12_744:                             ;   in Loop: Header=BB12_57 Depth=2
	s_or_b64 exec, exec, s[78:79]
	buffer_load_dword v4, off, s[0:3], s33 offset:284 ; 4-byte Folded Reload
	buffer_load_dword v5, off, s[0:3], s33 offset:288 ; 4-byte Folded Reload
	;; [unrolled: 1-line block ×4, first 2 shown]
                                        ; implicit-def: $vgpr38
	s_waitcnt vmcnt(0)
	v_and_b32_e32 v0, 0xffff0000, v7
	v_mul_f32_e32 v0, v0, v3
	v_and_b32_e32 v1, 0x7f800000, v0
	v_cmp_ne_u32_e32 vcc, s97, v1
	s_and_saveexec_b64 s[78:79], vcc
	s_xor_b64 s[78:79], exec, s[78:79]
; %bb.745:                              ;   in Loop: Header=BB12_57 Depth=2
	v_bfe_u32 v1, v0, 16, 1
	v_add3_u32 v38, v0, v1, s46
                                        ; implicit-def: $vgpr0
; %bb.746:                              ;   in Loop: Header=BB12_57 Depth=2
	s_andn2_saveexec_b64 s[78:79], s[78:79]
	s_cbranch_execz .LBB12_748
; %bb.747:                              ;   in Loop: Header=BB12_57 Depth=2
	buffer_load_dword v4, off, s[0:3], s33 offset:128 ; 4-byte Folded Reload
	buffer_load_dword v5, off, s[0:3], s33 offset:132 ; 4-byte Folded Reload
	v_or_b32_e32 v1, 0x10000, v0
	s_waitcnt vmcnt(1)
	v_cmp_eq_u32_sdwa vcc, v0, v4 src0_sel:WORD_0 src1_sel:DWORD
	v_cndmask_b32_e32 v38, v1, v0, vcc
.LBB12_748:                             ;   in Loop: Header=BB12_57 Depth=2
	s_or_b64 exec, exec, s[78:79]
	v_lshlrev_b32_e32 v0, 16, v48
	v_mul_f32_e32 v0, v0, v3
	v_and_b32_e32 v1, 0x7f800000, v0
	v_cmp_ne_u32_e32 vcc, s97, v1
                                        ; implicit-def: $vgpr39
	s_and_saveexec_b64 s[78:79], vcc
	s_xor_b64 s[78:79], exec, s[78:79]
; %bb.749:                              ;   in Loop: Header=BB12_57 Depth=2
	v_bfe_u32 v1, v0, 16, 1
	v_add3_u32 v39, v0, v1, s46
                                        ; implicit-def: $vgpr0
; %bb.750:                              ;   in Loop: Header=BB12_57 Depth=2
	s_andn2_saveexec_b64 s[78:79], s[78:79]
	s_cbranch_execz .LBB12_752
; %bb.751:                              ;   in Loop: Header=BB12_57 Depth=2
	buffer_load_dword v4, off, s[0:3], s33 offset:128 ; 4-byte Folded Reload
	buffer_load_dword v5, off, s[0:3], s33 offset:132 ; 4-byte Folded Reload
	v_or_b32_e32 v1, 0x10000, v0
	s_waitcnt vmcnt(1)
	v_cmp_eq_u32_sdwa vcc, v0, v4 src0_sel:WORD_0 src1_sel:DWORD
	v_cndmask_b32_e32 v39, v1, v0, vcc
.LBB12_752:                             ;   in Loop: Header=BB12_57 Depth=2
	s_or_b64 exec, exec, s[78:79]
	v_and_b32_e32 v0, 0xffff0000, v48
	v_mul_f32_e32 v0, v0, v3
	v_and_b32_e32 v1, 0x7f800000, v0
	v_cmp_ne_u32_e32 vcc, s97, v1
                                        ; implicit-def: $vgpr24
	s_and_saveexec_b64 s[78:79], vcc
	s_xor_b64 s[78:79], exec, s[78:79]
; %bb.753:                              ;   in Loop: Header=BB12_57 Depth=2
	v_bfe_u32 v1, v0, 16, 1
	v_add3_u32 v24, v0, v1, s46
                                        ; implicit-def: $vgpr0
; %bb.754:                              ;   in Loop: Header=BB12_57 Depth=2
	s_andn2_saveexec_b64 s[78:79], s[78:79]
	s_cbranch_execz .LBB12_756
; %bb.755:                              ;   in Loop: Header=BB12_57 Depth=2
	buffer_load_dword v4, off, s[0:3], s33 offset:128 ; 4-byte Folded Reload
	buffer_load_dword v5, off, s[0:3], s33 offset:132 ; 4-byte Folded Reload
	v_or_b32_e32 v1, 0x10000, v0
	s_waitcnt vmcnt(1)
	v_cmp_eq_u32_sdwa vcc, v0, v4 src0_sel:WORD_0 src1_sel:DWORD
	v_cndmask_b32_e32 v24, v1, v0, vcc
.LBB12_756:                             ;   in Loop: Header=BB12_57 Depth=2
	s_or_b64 exec, exec, s[78:79]
	v_lshlrev_b32_e32 v0, 16, v49
	v_mul_f32_e32 v0, v0, v3
	v_mov_b32_e32 v6, v49
	v_and_b32_e32 v1, 0x7f800000, v0
	v_mov_b32_e32 v7, v50
	v_mov_b32_e32 v8, v51
	v_cmp_ne_u32_e32 vcc, s97, v1
                                        ; implicit-def: $vgpr48
	s_and_saveexec_b64 s[78:79], vcc
	s_xor_b64 s[78:79], exec, s[78:79]
; %bb.757:                              ;   in Loop: Header=BB12_57 Depth=2
	v_bfe_u32 v1, v0, 16, 1
	v_add3_u32 v48, v0, v1, s46
                                        ; implicit-def: $vgpr0
; %bb.758:                              ;   in Loop: Header=BB12_57 Depth=2
	s_andn2_saveexec_b64 s[78:79], s[78:79]
	s_cbranch_execz .LBB12_760
; %bb.759:                              ;   in Loop: Header=BB12_57 Depth=2
	buffer_load_dword v4, off, s[0:3], s33 offset:128 ; 4-byte Folded Reload
	buffer_load_dword v5, off, s[0:3], s33 offset:132 ; 4-byte Folded Reload
	v_or_b32_e32 v1, 0x10000, v0
	s_waitcnt vmcnt(1)
	v_cmp_eq_u32_sdwa vcc, v0, v4 src0_sel:WORD_0 src1_sel:DWORD
	v_cndmask_b32_e32 v48, v1, v0, vcc
.LBB12_760:                             ;   in Loop: Header=BB12_57 Depth=2
	s_or_b64 exec, exec, s[78:79]
	v_and_b32_e32 v0, 0xffff0000, v6
	v_mul_f32_e32 v0, v0, v3
	v_and_b32_e32 v1, 0x7f800000, v0
	v_cmp_ne_u32_e32 vcc, s97, v1
                                        ; implicit-def: $vgpr25
	s_and_saveexec_b64 s[78:79], vcc
	s_xor_b64 s[78:79], exec, s[78:79]
; %bb.761:                              ;   in Loop: Header=BB12_57 Depth=2
	v_bfe_u32 v1, v0, 16, 1
	v_add3_u32 v25, v0, v1, s46
                                        ; implicit-def: $vgpr0
; %bb.762:                              ;   in Loop: Header=BB12_57 Depth=2
	s_andn2_saveexec_b64 s[78:79], s[78:79]
	s_cbranch_execz .LBB12_764
; %bb.763:                              ;   in Loop: Header=BB12_57 Depth=2
	buffer_load_dword v4, off, s[0:3], s33 offset:128 ; 4-byte Folded Reload
	buffer_load_dword v5, off, s[0:3], s33 offset:132 ; 4-byte Folded Reload
	v_or_b32_e32 v1, 0x10000, v0
	s_waitcnt vmcnt(1)
	v_cmp_eq_u32_sdwa vcc, v0, v4 src0_sel:WORD_0 src1_sel:DWORD
	v_cndmask_b32_e32 v25, v1, v0, vcc
.LBB12_764:                             ;   in Loop: Header=BB12_57 Depth=2
	s_or_b64 exec, exec, s[78:79]
	v_lshlrev_b32_e32 v0, 16, v7
	v_mul_f32_e32 v0, v0, v3
	v_and_b32_e32 v1, 0x7f800000, v0
	v_cmp_ne_u32_e32 vcc, s97, v1
                                        ; implicit-def: $vgpr49
	s_and_saveexec_b64 s[78:79], vcc
	s_xor_b64 s[78:79], exec, s[78:79]
; %bb.765:                              ;   in Loop: Header=BB12_57 Depth=2
	v_bfe_u32 v1, v0, 16, 1
	v_add3_u32 v49, v0, v1, s46
                                        ; implicit-def: $vgpr0
; %bb.766:                              ;   in Loop: Header=BB12_57 Depth=2
	s_andn2_saveexec_b64 s[78:79], s[78:79]
	s_cbranch_execz .LBB12_768
; %bb.767:                              ;   in Loop: Header=BB12_57 Depth=2
	buffer_load_dword v4, off, s[0:3], s33 offset:128 ; 4-byte Folded Reload
	buffer_load_dword v5, off, s[0:3], s33 offset:132 ; 4-byte Folded Reload
	v_or_b32_e32 v1, 0x10000, v0
	s_waitcnt vmcnt(1)
	v_cmp_eq_u32_sdwa vcc, v0, v4 src0_sel:WORD_0 src1_sel:DWORD
	v_cndmask_b32_e32 v49, v1, v0, vcc
.LBB12_768:                             ;   in Loop: Header=BB12_57 Depth=2
	s_or_b64 exec, exec, s[78:79]
	v_and_b32_e32 v0, 0xffff0000, v7
	v_mul_f32_e32 v0, v0, v3
	v_and_b32_e32 v1, 0x7f800000, v0
	v_cmp_ne_u32_e32 vcc, s97, v1
                                        ; implicit-def: $vgpr26
	s_and_saveexec_b64 s[78:79], vcc
	s_xor_b64 s[78:79], exec, s[78:79]
; %bb.769:                              ;   in Loop: Header=BB12_57 Depth=2
	v_bfe_u32 v1, v0, 16, 1
	v_add3_u32 v26, v0, v1, s46
                                        ; implicit-def: $vgpr0
; %bb.770:                              ;   in Loop: Header=BB12_57 Depth=2
	s_andn2_saveexec_b64 s[78:79], s[78:79]
	s_cbranch_execz .LBB12_772
; %bb.771:                              ;   in Loop: Header=BB12_57 Depth=2
	buffer_load_dword v4, off, s[0:3], s33 offset:128 ; 4-byte Folded Reload
	buffer_load_dword v5, off, s[0:3], s33 offset:132 ; 4-byte Folded Reload
	v_or_b32_e32 v1, 0x10000, v0
	s_waitcnt vmcnt(1)
	v_cmp_eq_u32_sdwa vcc, v0, v4 src0_sel:WORD_0 src1_sel:DWORD
	v_cndmask_b32_e32 v26, v1, v0, vcc
.LBB12_772:                             ;   in Loop: Header=BB12_57 Depth=2
	s_or_b64 exec, exec, s[78:79]
	v_lshlrev_b32_e32 v0, 16, v8
	v_mul_f32_e32 v0, v0, v3
	v_and_b32_e32 v1, 0x7f800000, v0
	v_cmp_ne_u32_e32 vcc, s97, v1
                                        ; implicit-def: $vgpr50
	s_and_saveexec_b64 s[78:79], vcc
	s_xor_b64 s[78:79], exec, s[78:79]
; %bb.773:                              ;   in Loop: Header=BB12_57 Depth=2
	v_bfe_u32 v1, v0, 16, 1
	v_add3_u32 v50, v0, v1, s46
                                        ; implicit-def: $vgpr0
; %bb.774:                              ;   in Loop: Header=BB12_57 Depth=2
	s_andn2_saveexec_b64 s[78:79], s[78:79]
	s_cbranch_execz .LBB12_776
; %bb.775:                              ;   in Loop: Header=BB12_57 Depth=2
	buffer_load_dword v4, off, s[0:3], s33 offset:128 ; 4-byte Folded Reload
	buffer_load_dword v5, off, s[0:3], s33 offset:132 ; 4-byte Folded Reload
	v_or_b32_e32 v1, 0x10000, v0
	s_waitcnt vmcnt(1)
	v_cmp_eq_u32_sdwa vcc, v0, v4 src0_sel:WORD_0 src1_sel:DWORD
	v_cndmask_b32_e32 v50, v1, v0, vcc
.LBB12_776:                             ;   in Loop: Header=BB12_57 Depth=2
	s_or_b64 exec, exec, s[78:79]
	v_and_b32_e32 v0, 0xffff0000, v8
	v_mul_f32_e32 v0, v0, v3
	v_and_b32_e32 v1, 0x7f800000, v0
	v_cmp_ne_u32_e32 vcc, s97, v1
                                        ; implicit-def: $vgpr27
	s_and_saveexec_b64 s[78:79], vcc
	s_xor_b64 s[78:79], exec, s[78:79]
; %bb.777:                              ;   in Loop: Header=BB12_57 Depth=2
	v_bfe_u32 v1, v0, 16, 1
	v_add3_u32 v27, v0, v1, s46
                                        ; implicit-def: $vgpr0
; %bb.778:                              ;   in Loop: Header=BB12_57 Depth=2
	s_andn2_saveexec_b64 s[78:79], s[78:79]
	s_cbranch_execz .LBB12_780
; %bb.779:                              ;   in Loop: Header=BB12_57 Depth=2
	buffer_load_dword v4, off, s[0:3], s33 offset:128 ; 4-byte Folded Reload
	buffer_load_dword v5, off, s[0:3], s33 offset:132 ; 4-byte Folded Reload
	v_or_b32_e32 v1, 0x10000, v0
	s_waitcnt vmcnt(1)
	v_cmp_eq_u32_sdwa vcc, v0, v4 src0_sel:WORD_0 src1_sel:DWORD
	v_cndmask_b32_e32 v27, v1, v0, vcc
.LBB12_780:                             ;   in Loop: Header=BB12_57 Depth=2
	s_or_b64 exec, exec, s[78:79]
	buffer_load_dword v4, off, s[0:3], s33 offset:240 ; 4-byte Folded Reload
	buffer_load_dword v5, off, s[0:3], s33 offset:244 ; 4-byte Folded Reload
	;; [unrolled: 1-line block ×4, first 2 shown]
                                        ; implicit-def: $vgpr51
	s_waitcnt vmcnt(3)
	v_lshlrev_b32_e32 v0, 16, v4
	v_mul_f32_e32 v0, v0, v3
	v_and_b32_e32 v1, 0x7f800000, v0
	v_cmp_ne_u32_e32 vcc, s97, v1
	s_and_saveexec_b64 s[78:79], vcc
	s_xor_b64 s[78:79], exec, s[78:79]
; %bb.781:                              ;   in Loop: Header=BB12_57 Depth=2
	v_bfe_u32 v1, v0, 16, 1
	v_add3_u32 v51, v0, v1, s46
                                        ; implicit-def: $vgpr0
; %bb.782:                              ;   in Loop: Header=BB12_57 Depth=2
	s_andn2_saveexec_b64 s[78:79], s[78:79]
	s_cbranch_execz .LBB12_784
; %bb.783:                              ;   in Loop: Header=BB12_57 Depth=2
	buffer_load_dword v4, off, s[0:3], s33 offset:128 ; 4-byte Folded Reload
	buffer_load_dword v5, off, s[0:3], s33 offset:132 ; 4-byte Folded Reload
	v_or_b32_e32 v1, 0x10000, v0
	s_waitcnt vmcnt(1)
	v_cmp_eq_u32_sdwa vcc, v0, v4 src0_sel:WORD_0 src1_sel:DWORD
	v_cndmask_b32_e32 v51, v1, v0, vcc
.LBB12_784:                             ;   in Loop: Header=BB12_57 Depth=2
	s_or_b64 exec, exec, s[78:79]
	buffer_load_dword v4, off, s[0:3], s33 offset:240 ; 4-byte Folded Reload
	buffer_load_dword v5, off, s[0:3], s33 offset:244 ; 4-byte Folded Reload
	;; [unrolled: 1-line block ×4, first 2 shown]
                                        ; implicit-def: $vgpr20
	s_waitcnt vmcnt(3)
	v_and_b32_e32 v0, 0xffff0000, v4
	v_mul_f32_e32 v0, v0, v3
	v_and_b32_e32 v1, 0x7f800000, v0
	v_cmp_ne_u32_e32 vcc, s97, v1
	s_and_saveexec_b64 s[78:79], vcc
	s_xor_b64 s[78:79], exec, s[78:79]
; %bb.785:                              ;   in Loop: Header=BB12_57 Depth=2
	v_bfe_u32 v1, v0, 16, 1
	v_add3_u32 v20, v0, v1, s46
                                        ; implicit-def: $vgpr0
; %bb.786:                              ;   in Loop: Header=BB12_57 Depth=2
	s_andn2_saveexec_b64 s[78:79], s[78:79]
	s_cbranch_execz .LBB12_788
; %bb.787:                              ;   in Loop: Header=BB12_57 Depth=2
	buffer_load_dword v4, off, s[0:3], s33 offset:128 ; 4-byte Folded Reload
	buffer_load_dword v5, off, s[0:3], s33 offset:132 ; 4-byte Folded Reload
	v_or_b32_e32 v1, 0x10000, v0
	s_waitcnt vmcnt(1)
	v_cmp_eq_u32_sdwa vcc, v0, v4 src0_sel:WORD_0 src1_sel:DWORD
	v_cndmask_b32_e32 v20, v1, v0, vcc
.LBB12_788:                             ;   in Loop: Header=BB12_57 Depth=2
	s_or_b64 exec, exec, s[78:79]
	buffer_load_dword v4, off, s[0:3], s33 offset:240 ; 4-byte Folded Reload
	buffer_load_dword v5, off, s[0:3], s33 offset:244 ; 4-byte Folded Reload
	;; [unrolled: 1-line block ×4, first 2 shown]
                                        ; implicit-def: $vgpr52
	s_waitcnt vmcnt(2)
	v_lshlrev_b32_e32 v0, 16, v5
	v_mul_f32_e32 v0, v0, v3
	v_and_b32_e32 v1, 0x7f800000, v0
	v_cmp_ne_u32_e32 vcc, s97, v1
	s_and_saveexec_b64 s[78:79], vcc
	s_xor_b64 s[78:79], exec, s[78:79]
; %bb.789:                              ;   in Loop: Header=BB12_57 Depth=2
	v_bfe_u32 v1, v0, 16, 1
	v_add3_u32 v52, v0, v1, s46
                                        ; implicit-def: $vgpr0
; %bb.790:                              ;   in Loop: Header=BB12_57 Depth=2
	s_andn2_saveexec_b64 s[78:79], s[78:79]
	s_cbranch_execz .LBB12_792
; %bb.791:                              ;   in Loop: Header=BB12_57 Depth=2
	buffer_load_dword v4, off, s[0:3], s33 offset:128 ; 4-byte Folded Reload
	buffer_load_dword v5, off, s[0:3], s33 offset:132 ; 4-byte Folded Reload
	v_or_b32_e32 v1, 0x10000, v0
	s_waitcnt vmcnt(1)
	v_cmp_eq_u32_sdwa vcc, v0, v4 src0_sel:WORD_0 src1_sel:DWORD
	v_cndmask_b32_e32 v52, v1, v0, vcc
.LBB12_792:                             ;   in Loop: Header=BB12_57 Depth=2
	s_or_b64 exec, exec, s[78:79]
	buffer_load_dword v4, off, s[0:3], s33 offset:240 ; 4-byte Folded Reload
	buffer_load_dword v5, off, s[0:3], s33 offset:244 ; 4-byte Folded Reload
	;; [unrolled: 1-line block ×4, first 2 shown]
                                        ; implicit-def: $vgpr21
	s_waitcnt vmcnt(2)
	v_and_b32_e32 v0, 0xffff0000, v5
	v_mul_f32_e32 v0, v0, v3
	v_and_b32_e32 v1, 0x7f800000, v0
	v_cmp_ne_u32_e32 vcc, s97, v1
	s_and_saveexec_b64 s[78:79], vcc
	s_xor_b64 s[78:79], exec, s[78:79]
; %bb.793:                              ;   in Loop: Header=BB12_57 Depth=2
	v_bfe_u32 v1, v0, 16, 1
	v_add3_u32 v21, v0, v1, s46
                                        ; implicit-def: $vgpr0
; %bb.794:                              ;   in Loop: Header=BB12_57 Depth=2
	s_andn2_saveexec_b64 s[78:79], s[78:79]
	s_cbranch_execz .LBB12_796
; %bb.795:                              ;   in Loop: Header=BB12_57 Depth=2
	buffer_load_dword v4, off, s[0:3], s33 offset:128 ; 4-byte Folded Reload
	buffer_load_dword v5, off, s[0:3], s33 offset:132 ; 4-byte Folded Reload
	v_or_b32_e32 v1, 0x10000, v0
	s_waitcnt vmcnt(1)
	v_cmp_eq_u32_sdwa vcc, v0, v4 src0_sel:WORD_0 src1_sel:DWORD
	v_cndmask_b32_e32 v21, v1, v0, vcc
.LBB12_796:                             ;   in Loop: Header=BB12_57 Depth=2
	s_or_b64 exec, exec, s[78:79]
	buffer_load_dword v4, off, s[0:3], s33 offset:240 ; 4-byte Folded Reload
	buffer_load_dword v5, off, s[0:3], s33 offset:244 ; 4-byte Folded Reload
	;; [unrolled: 1-line block ×4, first 2 shown]
                                        ; implicit-def: $vgpr53
	s_waitcnt vmcnt(1)
	v_lshlrev_b32_e32 v0, 16, v6
	v_mul_f32_e32 v0, v0, v3
	v_and_b32_e32 v1, 0x7f800000, v0
	v_cmp_ne_u32_e32 vcc, s97, v1
	s_and_saveexec_b64 s[78:79], vcc
	s_xor_b64 s[78:79], exec, s[78:79]
; %bb.797:                              ;   in Loop: Header=BB12_57 Depth=2
	v_bfe_u32 v1, v0, 16, 1
	v_add3_u32 v53, v0, v1, s46
                                        ; implicit-def: $vgpr0
; %bb.798:                              ;   in Loop: Header=BB12_57 Depth=2
	s_andn2_saveexec_b64 s[78:79], s[78:79]
	s_cbranch_execz .LBB12_800
; %bb.799:                              ;   in Loop: Header=BB12_57 Depth=2
	buffer_load_dword v4, off, s[0:3], s33 offset:128 ; 4-byte Folded Reload
	buffer_load_dword v5, off, s[0:3], s33 offset:132 ; 4-byte Folded Reload
	v_or_b32_e32 v1, 0x10000, v0
	s_waitcnt vmcnt(1)
	v_cmp_eq_u32_sdwa vcc, v0, v4 src0_sel:WORD_0 src1_sel:DWORD
	v_cndmask_b32_e32 v53, v1, v0, vcc
.LBB12_800:                             ;   in Loop: Header=BB12_57 Depth=2
	s_or_b64 exec, exec, s[78:79]
	buffer_load_dword v4, off, s[0:3], s33 offset:240 ; 4-byte Folded Reload
	buffer_load_dword v5, off, s[0:3], s33 offset:244 ; 4-byte Folded Reload
	;; [unrolled: 1-line block ×4, first 2 shown]
                                        ; implicit-def: $vgpr22
	s_waitcnt vmcnt(1)
	v_and_b32_e32 v0, 0xffff0000, v6
	v_mul_f32_e32 v0, v0, v3
	v_and_b32_e32 v1, 0x7f800000, v0
	v_cmp_ne_u32_e32 vcc, s97, v1
	s_and_saveexec_b64 s[78:79], vcc
	s_xor_b64 s[78:79], exec, s[78:79]
; %bb.801:                              ;   in Loop: Header=BB12_57 Depth=2
	v_bfe_u32 v1, v0, 16, 1
	v_add3_u32 v22, v0, v1, s46
                                        ; implicit-def: $vgpr0
; %bb.802:                              ;   in Loop: Header=BB12_57 Depth=2
	s_andn2_saveexec_b64 s[78:79], s[78:79]
	s_cbranch_execz .LBB12_804
; %bb.803:                              ;   in Loop: Header=BB12_57 Depth=2
	buffer_load_dword v4, off, s[0:3], s33 offset:128 ; 4-byte Folded Reload
	buffer_load_dword v5, off, s[0:3], s33 offset:132 ; 4-byte Folded Reload
	v_or_b32_e32 v1, 0x10000, v0
	s_waitcnt vmcnt(1)
	v_cmp_eq_u32_sdwa vcc, v0, v4 src0_sel:WORD_0 src1_sel:DWORD
	v_cndmask_b32_e32 v22, v1, v0, vcc
.LBB12_804:                             ;   in Loop: Header=BB12_57 Depth=2
	s_or_b64 exec, exec, s[78:79]
	buffer_load_dword v4, off, s[0:3], s33 offset:240 ; 4-byte Folded Reload
	buffer_load_dword v5, off, s[0:3], s33 offset:244 ; 4-byte Folded Reload
	;; [unrolled: 1-line block ×4, first 2 shown]
                                        ; implicit-def: $vgpr54
	s_waitcnt vmcnt(0)
	v_lshlrev_b32_e32 v0, 16, v7
	v_mul_f32_e32 v0, v0, v3
	v_and_b32_e32 v1, 0x7f800000, v0
	v_cmp_ne_u32_e32 vcc, s97, v1
	s_and_saveexec_b64 s[78:79], vcc
	s_xor_b64 s[78:79], exec, s[78:79]
; %bb.805:                              ;   in Loop: Header=BB12_57 Depth=2
	v_bfe_u32 v1, v0, 16, 1
	v_add3_u32 v54, v0, v1, s46
                                        ; implicit-def: $vgpr0
; %bb.806:                              ;   in Loop: Header=BB12_57 Depth=2
	s_andn2_saveexec_b64 s[78:79], s[78:79]
	s_cbranch_execz .LBB12_808
; %bb.807:                              ;   in Loop: Header=BB12_57 Depth=2
	buffer_load_dword v4, off, s[0:3], s33 offset:128 ; 4-byte Folded Reload
	buffer_load_dword v5, off, s[0:3], s33 offset:132 ; 4-byte Folded Reload
	v_or_b32_e32 v1, 0x10000, v0
	s_waitcnt vmcnt(1)
	v_cmp_eq_u32_sdwa vcc, v0, v4 src0_sel:WORD_0 src1_sel:DWORD
	v_cndmask_b32_e32 v54, v1, v0, vcc
.LBB12_808:                             ;   in Loop: Header=BB12_57 Depth=2
	s_or_b64 exec, exec, s[78:79]
	buffer_load_dword v4, off, s[0:3], s33 offset:240 ; 4-byte Folded Reload
	buffer_load_dword v5, off, s[0:3], s33 offset:244 ; 4-byte Folded Reload
	;; [unrolled: 1-line block ×4, first 2 shown]
                                        ; implicit-def: $vgpr23
	s_waitcnt vmcnt(0)
	v_and_b32_e32 v0, 0xffff0000, v7
	v_mul_f32_e32 v0, v0, v3
	v_and_b32_e32 v1, 0x7f800000, v0
	v_cmp_ne_u32_e32 vcc, s97, v1
	s_and_saveexec_b64 s[78:79], vcc
	s_xor_b64 s[78:79], exec, s[78:79]
; %bb.809:                              ;   in Loop: Header=BB12_57 Depth=2
	v_bfe_u32 v1, v0, 16, 1
	v_add3_u32 v23, v0, v1, s46
                                        ; implicit-def: $vgpr0
; %bb.810:                              ;   in Loop: Header=BB12_57 Depth=2
	s_andn2_saveexec_b64 s[78:79], s[78:79]
	s_cbranch_execz .LBB12_812
; %bb.811:                              ;   in Loop: Header=BB12_57 Depth=2
	buffer_load_dword v4, off, s[0:3], s33 offset:128 ; 4-byte Folded Reload
	buffer_load_dword v5, off, s[0:3], s33 offset:132 ; 4-byte Folded Reload
	v_or_b32_e32 v1, 0x10000, v0
	s_waitcnt vmcnt(1)
	v_cmp_eq_u32_sdwa vcc, v0, v4 src0_sel:WORD_0 src1_sel:DWORD
	v_cndmask_b32_e32 v23, v1, v0, vcc
.LBB12_812:                             ;   in Loop: Header=BB12_57 Depth=2
	s_or_b64 exec, exec, s[78:79]
	buffer_load_dword v4, off, s[0:3], s33 offset:492 ; 4-byte Folded Reload
	buffer_load_dword v5, off, s[0:3], s33 offset:496 ; 4-byte Folded Reload
	buffer_load_dword v6, off, s[0:3], s33 offset:500 ; 4-byte Folded Reload
	buffer_load_dword v7, off, s[0:3], s33 offset:504 ; 4-byte Folded Reload
                                        ; implicit-def: $vgpr55
	s_waitcnt vmcnt(3)
	v_lshlrev_b32_e32 v0, 16, v4
	v_mul_f32_e32 v0, v0, v3
	v_and_b32_e32 v1, 0x7f800000, v0
	v_cmp_ne_u32_e32 vcc, s97, v1
	s_and_saveexec_b64 s[78:79], vcc
	s_xor_b64 s[78:79], exec, s[78:79]
; %bb.813:                              ;   in Loop: Header=BB12_57 Depth=2
	v_bfe_u32 v1, v0, 16, 1
	v_add3_u32 v55, v0, v1, s46
                                        ; implicit-def: $vgpr0
; %bb.814:                              ;   in Loop: Header=BB12_57 Depth=2
	s_andn2_saveexec_b64 s[78:79], s[78:79]
	s_cbranch_execz .LBB12_816
; %bb.815:                              ;   in Loop: Header=BB12_57 Depth=2
	buffer_load_dword v4, off, s[0:3], s33 offset:128 ; 4-byte Folded Reload
	buffer_load_dword v5, off, s[0:3], s33 offset:132 ; 4-byte Folded Reload
	v_or_b32_e32 v1, 0x10000, v0
	s_waitcnt vmcnt(1)
	v_cmp_eq_u32_sdwa vcc, v0, v4 src0_sel:WORD_0 src1_sel:DWORD
	v_cndmask_b32_e32 v55, v1, v0, vcc
.LBB12_816:                             ;   in Loop: Header=BB12_57 Depth=2
	s_or_b64 exec, exec, s[78:79]
	buffer_load_dword v4, off, s[0:3], s33 offset:492 ; 4-byte Folded Reload
	buffer_load_dword v5, off, s[0:3], s33 offset:496 ; 4-byte Folded Reload
	buffer_load_dword v6, off, s[0:3], s33 offset:500 ; 4-byte Folded Reload
	buffer_load_dword v7, off, s[0:3], s33 offset:504 ; 4-byte Folded Reload
                                        ; implicit-def: $vgpr16
	s_waitcnt vmcnt(3)
	v_and_b32_e32 v0, 0xffff0000, v4
	v_mul_f32_e32 v0, v0, v3
	v_and_b32_e32 v1, 0x7f800000, v0
	v_cmp_ne_u32_e32 vcc, s97, v1
	s_and_saveexec_b64 s[78:79], vcc
	s_xor_b64 s[78:79], exec, s[78:79]
; %bb.817:                              ;   in Loop: Header=BB12_57 Depth=2
	v_bfe_u32 v1, v0, 16, 1
	v_add3_u32 v16, v0, v1, s46
                                        ; implicit-def: $vgpr0
; %bb.818:                              ;   in Loop: Header=BB12_57 Depth=2
	s_andn2_saveexec_b64 s[78:79], s[78:79]
	s_cbranch_execz .LBB12_820
; %bb.819:                              ;   in Loop: Header=BB12_57 Depth=2
	buffer_load_dword v4, off, s[0:3], s33 offset:128 ; 4-byte Folded Reload
	buffer_load_dword v5, off, s[0:3], s33 offset:132 ; 4-byte Folded Reload
	v_or_b32_e32 v1, 0x10000, v0
	s_waitcnt vmcnt(1)
	v_cmp_eq_u32_sdwa vcc, v0, v4 src0_sel:WORD_0 src1_sel:DWORD
	v_cndmask_b32_e32 v16, v1, v0, vcc
.LBB12_820:                             ;   in Loop: Header=BB12_57 Depth=2
	s_or_b64 exec, exec, s[78:79]
	buffer_load_dword v4, off, s[0:3], s33 offset:492 ; 4-byte Folded Reload
	buffer_load_dword v5, off, s[0:3], s33 offset:496 ; 4-byte Folded Reload
	;; [unrolled: 1-line block ×4, first 2 shown]
                                        ; implicit-def: $vgpr40
	s_waitcnt vmcnt(2)
	v_lshlrev_b32_e32 v0, 16, v5
	v_mul_f32_e32 v0, v0, v3
	v_and_b32_e32 v1, 0x7f800000, v0
	v_cmp_ne_u32_e32 vcc, s97, v1
	s_and_saveexec_b64 s[78:79], vcc
	s_xor_b64 s[78:79], exec, s[78:79]
; %bb.821:                              ;   in Loop: Header=BB12_57 Depth=2
	v_bfe_u32 v1, v0, 16, 1
	v_add3_u32 v40, v0, v1, s46
                                        ; implicit-def: $vgpr0
; %bb.822:                              ;   in Loop: Header=BB12_57 Depth=2
	s_andn2_saveexec_b64 s[78:79], s[78:79]
	s_cbranch_execz .LBB12_824
; %bb.823:                              ;   in Loop: Header=BB12_57 Depth=2
	buffer_load_dword v4, off, s[0:3], s33 offset:128 ; 4-byte Folded Reload
	buffer_load_dword v5, off, s[0:3], s33 offset:132 ; 4-byte Folded Reload
	v_or_b32_e32 v1, 0x10000, v0
	s_waitcnt vmcnt(1)
	v_cmp_eq_u32_sdwa vcc, v0, v4 src0_sel:WORD_0 src1_sel:DWORD
	v_cndmask_b32_e32 v40, v1, v0, vcc
.LBB12_824:                             ;   in Loop: Header=BB12_57 Depth=2
	s_or_b64 exec, exec, s[78:79]
	buffer_load_dword v4, off, s[0:3], s33 offset:492 ; 4-byte Folded Reload
	buffer_load_dword v5, off, s[0:3], s33 offset:496 ; 4-byte Folded Reload
	;; [unrolled: 1-line block ×4, first 2 shown]
                                        ; implicit-def: $vgpr17
	s_waitcnt vmcnt(2)
	v_and_b32_e32 v0, 0xffff0000, v5
	v_mul_f32_e32 v0, v0, v3
	v_and_b32_e32 v1, 0x7f800000, v0
	v_cmp_ne_u32_e32 vcc, s97, v1
	s_and_saveexec_b64 s[78:79], vcc
	s_xor_b64 s[78:79], exec, s[78:79]
; %bb.825:                              ;   in Loop: Header=BB12_57 Depth=2
	v_bfe_u32 v1, v0, 16, 1
	v_add3_u32 v17, v0, v1, s46
                                        ; implicit-def: $vgpr0
; %bb.826:                              ;   in Loop: Header=BB12_57 Depth=2
	s_andn2_saveexec_b64 s[78:79], s[78:79]
	s_cbranch_execz .LBB12_828
; %bb.827:                              ;   in Loop: Header=BB12_57 Depth=2
	buffer_load_dword v4, off, s[0:3], s33 offset:128 ; 4-byte Folded Reload
	buffer_load_dword v5, off, s[0:3], s33 offset:132 ; 4-byte Folded Reload
	v_or_b32_e32 v1, 0x10000, v0
	s_waitcnt vmcnt(1)
	v_cmp_eq_u32_sdwa vcc, v0, v4 src0_sel:WORD_0 src1_sel:DWORD
	v_cndmask_b32_e32 v17, v1, v0, vcc
.LBB12_828:                             ;   in Loop: Header=BB12_57 Depth=2
	s_or_b64 exec, exec, s[78:79]
	buffer_load_dword v4, off, s[0:3], s33 offset:492 ; 4-byte Folded Reload
	buffer_load_dword v5, off, s[0:3], s33 offset:496 ; 4-byte Folded Reload
	buffer_load_dword v6, off, s[0:3], s33 offset:500 ; 4-byte Folded Reload
	buffer_load_dword v7, off, s[0:3], s33 offset:504 ; 4-byte Folded Reload
                                        ; implicit-def: $vgpr41
	s_waitcnt vmcnt(1)
	v_lshlrev_b32_e32 v0, 16, v6
	v_mul_f32_e32 v0, v0, v3
	v_and_b32_e32 v1, 0x7f800000, v0
	v_cmp_ne_u32_e32 vcc, s97, v1
	s_and_saveexec_b64 s[78:79], vcc
	s_xor_b64 s[78:79], exec, s[78:79]
; %bb.829:                              ;   in Loop: Header=BB12_57 Depth=2
	v_bfe_u32 v1, v0, 16, 1
	v_add3_u32 v41, v0, v1, s46
                                        ; implicit-def: $vgpr0
; %bb.830:                              ;   in Loop: Header=BB12_57 Depth=2
	s_andn2_saveexec_b64 s[78:79], s[78:79]
	s_cbranch_execz .LBB12_832
; %bb.831:                              ;   in Loop: Header=BB12_57 Depth=2
	buffer_load_dword v4, off, s[0:3], s33 offset:128 ; 4-byte Folded Reload
	buffer_load_dword v5, off, s[0:3], s33 offset:132 ; 4-byte Folded Reload
	v_or_b32_e32 v1, 0x10000, v0
	s_waitcnt vmcnt(1)
	v_cmp_eq_u32_sdwa vcc, v0, v4 src0_sel:WORD_0 src1_sel:DWORD
	v_cndmask_b32_e32 v41, v1, v0, vcc
.LBB12_832:                             ;   in Loop: Header=BB12_57 Depth=2
	s_or_b64 exec, exec, s[78:79]
	buffer_load_dword v4, off, s[0:3], s33 offset:492 ; 4-byte Folded Reload
	buffer_load_dword v5, off, s[0:3], s33 offset:496 ; 4-byte Folded Reload
	;; [unrolled: 1-line block ×4, first 2 shown]
                                        ; implicit-def: $vgpr18
	s_waitcnt vmcnt(1)
	v_and_b32_e32 v0, 0xffff0000, v6
	v_mul_f32_e32 v0, v0, v3
	v_and_b32_e32 v1, 0x7f800000, v0
	v_cmp_ne_u32_e32 vcc, s97, v1
	s_and_saveexec_b64 s[78:79], vcc
	s_xor_b64 s[78:79], exec, s[78:79]
; %bb.833:                              ;   in Loop: Header=BB12_57 Depth=2
	v_bfe_u32 v1, v0, 16, 1
	v_add3_u32 v18, v0, v1, s46
                                        ; implicit-def: $vgpr0
; %bb.834:                              ;   in Loop: Header=BB12_57 Depth=2
	s_andn2_saveexec_b64 s[78:79], s[78:79]
	s_cbranch_execz .LBB12_836
; %bb.835:                              ;   in Loop: Header=BB12_57 Depth=2
	buffer_load_dword v4, off, s[0:3], s33 offset:128 ; 4-byte Folded Reload
	buffer_load_dword v5, off, s[0:3], s33 offset:132 ; 4-byte Folded Reload
	v_or_b32_e32 v1, 0x10000, v0
	s_waitcnt vmcnt(1)
	v_cmp_eq_u32_sdwa vcc, v0, v4 src0_sel:WORD_0 src1_sel:DWORD
	v_cndmask_b32_e32 v18, v1, v0, vcc
.LBB12_836:                             ;   in Loop: Header=BB12_57 Depth=2
	s_or_b64 exec, exec, s[78:79]
	buffer_load_dword v4, off, s[0:3], s33 offset:492 ; 4-byte Folded Reload
	buffer_load_dword v5, off, s[0:3], s33 offset:496 ; 4-byte Folded Reload
	;; [unrolled: 1-line block ×4, first 2 shown]
                                        ; implicit-def: $vgpr42
	s_waitcnt vmcnt(0)
	v_lshlrev_b32_e32 v0, 16, v7
	v_mul_f32_e32 v0, v0, v3
	v_and_b32_e32 v1, 0x7f800000, v0
	v_cmp_ne_u32_e32 vcc, s97, v1
	s_and_saveexec_b64 s[78:79], vcc
	s_xor_b64 s[78:79], exec, s[78:79]
; %bb.837:                              ;   in Loop: Header=BB12_57 Depth=2
	v_bfe_u32 v1, v0, 16, 1
	v_add3_u32 v42, v0, v1, s46
                                        ; implicit-def: $vgpr0
; %bb.838:                              ;   in Loop: Header=BB12_57 Depth=2
	s_andn2_saveexec_b64 s[78:79], s[78:79]
	s_cbranch_execz .LBB12_840
; %bb.839:                              ;   in Loop: Header=BB12_57 Depth=2
	buffer_load_dword v4, off, s[0:3], s33 offset:128 ; 4-byte Folded Reload
	buffer_load_dword v5, off, s[0:3], s33 offset:132 ; 4-byte Folded Reload
	v_or_b32_e32 v1, 0x10000, v0
	s_waitcnt vmcnt(1)
	v_cmp_eq_u32_sdwa vcc, v0, v4 src0_sel:WORD_0 src1_sel:DWORD
	v_cndmask_b32_e32 v42, v1, v0, vcc
.LBB12_840:                             ;   in Loop: Header=BB12_57 Depth=2
	s_or_b64 exec, exec, s[78:79]
	buffer_load_dword v4, off, s[0:3], s33 offset:492 ; 4-byte Folded Reload
	buffer_load_dword v5, off, s[0:3], s33 offset:496 ; 4-byte Folded Reload
	;; [unrolled: 1-line block ×4, first 2 shown]
                                        ; implicit-def: $vgpr19
	s_waitcnt vmcnt(0)
	v_and_b32_e32 v0, 0xffff0000, v7
	v_mul_f32_e32 v0, v0, v3
	v_and_b32_e32 v1, 0x7f800000, v0
	v_cmp_ne_u32_e32 vcc, s97, v1
	s_and_saveexec_b64 s[78:79], vcc
	s_xor_b64 s[78:79], exec, s[78:79]
; %bb.841:                              ;   in Loop: Header=BB12_57 Depth=2
	v_bfe_u32 v1, v0, 16, 1
	v_add3_u32 v19, v0, v1, s46
                                        ; implicit-def: $vgpr0
; %bb.842:                              ;   in Loop: Header=BB12_57 Depth=2
	s_andn2_saveexec_b64 s[78:79], s[78:79]
	s_cbranch_execz .LBB12_844
; %bb.843:                              ;   in Loop: Header=BB12_57 Depth=2
	buffer_load_dword v4, off, s[0:3], s33 offset:128 ; 4-byte Folded Reload
	buffer_load_dword v5, off, s[0:3], s33 offset:132 ; 4-byte Folded Reload
	v_or_b32_e32 v1, 0x10000, v0
	s_waitcnt vmcnt(1)
	v_cmp_eq_u32_sdwa vcc, v0, v4 src0_sel:WORD_0 src1_sel:DWORD
	v_cndmask_b32_e32 v19, v1, v0, vcc
.LBB12_844:                             ;   in Loop: Header=BB12_57 Depth=2
	s_or_b64 exec, exec, s[78:79]
	buffer_load_dword v4, off, s[0:3], s33 offset:216 ; 4-byte Folded Reload
	buffer_load_dword v5, off, s[0:3], s33 offset:220 ; 4-byte Folded Reload
	;; [unrolled: 1-line block ×4, first 2 shown]
                                        ; implicit-def: $vgpr43
	s_waitcnt vmcnt(3)
	v_lshlrev_b32_e32 v0, 16, v4
	v_mul_f32_e32 v0, v0, v3
	v_and_b32_e32 v1, 0x7f800000, v0
	v_cmp_ne_u32_e32 vcc, s97, v1
	s_and_saveexec_b64 s[78:79], vcc
	s_xor_b64 s[78:79], exec, s[78:79]
; %bb.845:                              ;   in Loop: Header=BB12_57 Depth=2
	v_bfe_u32 v1, v0, 16, 1
	v_add3_u32 v43, v0, v1, s46
                                        ; implicit-def: $vgpr0
; %bb.846:                              ;   in Loop: Header=BB12_57 Depth=2
	s_andn2_saveexec_b64 s[78:79], s[78:79]
	s_cbranch_execz .LBB12_848
; %bb.847:                              ;   in Loop: Header=BB12_57 Depth=2
	buffer_load_dword v4, off, s[0:3], s33 offset:128 ; 4-byte Folded Reload
	buffer_load_dword v5, off, s[0:3], s33 offset:132 ; 4-byte Folded Reload
	v_or_b32_e32 v1, 0x10000, v0
	s_waitcnt vmcnt(1)
	v_cmp_eq_u32_sdwa vcc, v0, v4 src0_sel:WORD_0 src1_sel:DWORD
	v_cndmask_b32_e32 v43, v1, v0, vcc
.LBB12_848:                             ;   in Loop: Header=BB12_57 Depth=2
	s_or_b64 exec, exec, s[78:79]
	buffer_load_dword v4, off, s[0:3], s33 offset:216 ; 4-byte Folded Reload
	buffer_load_dword v5, off, s[0:3], s33 offset:220 ; 4-byte Folded Reload
	;; [unrolled: 1-line block ×4, first 2 shown]
                                        ; implicit-def: $vgpr44
	s_waitcnt vmcnt(3)
	v_and_b32_e32 v0, 0xffff0000, v4
	v_mul_f32_e32 v0, v0, v3
	v_and_b32_e32 v1, 0x7f800000, v0
	v_cmp_ne_u32_e32 vcc, s97, v1
	s_and_saveexec_b64 s[78:79], vcc
	s_xor_b64 s[78:79], exec, s[78:79]
; %bb.849:                              ;   in Loop: Header=BB12_57 Depth=2
	v_bfe_u32 v1, v0, 16, 1
	v_add3_u32 v44, v0, v1, s46
                                        ; implicit-def: $vgpr0
; %bb.850:                              ;   in Loop: Header=BB12_57 Depth=2
	s_andn2_saveexec_b64 s[78:79], s[78:79]
	s_cbranch_execz .LBB12_852
; %bb.851:                              ;   in Loop: Header=BB12_57 Depth=2
	buffer_load_dword v4, off, s[0:3], s33 offset:128 ; 4-byte Folded Reload
	buffer_load_dword v5, off, s[0:3], s33 offset:132 ; 4-byte Folded Reload
	v_or_b32_e32 v1, 0x10000, v0
	s_waitcnt vmcnt(1)
	v_cmp_eq_u32_sdwa vcc, v0, v4 src0_sel:WORD_0 src1_sel:DWORD
	v_cndmask_b32_e32 v44, v1, v0, vcc
.LBB12_852:                             ;   in Loop: Header=BB12_57 Depth=2
	s_or_b64 exec, exec, s[78:79]
	buffer_load_dword v4, off, s[0:3], s33 offset:216 ; 4-byte Folded Reload
	buffer_load_dword v5, off, s[0:3], s33 offset:220 ; 4-byte Folded Reload
	;; [unrolled: 1-line block ×4, first 2 shown]
                                        ; implicit-def: $vgpr45
	s_waitcnt vmcnt(2)
	v_lshlrev_b32_e32 v0, 16, v5
	v_mul_f32_e32 v0, v0, v3
	v_and_b32_e32 v1, 0x7f800000, v0
	v_cmp_ne_u32_e32 vcc, s97, v1
	s_and_saveexec_b64 s[78:79], vcc
	s_xor_b64 s[78:79], exec, s[78:79]
; %bb.853:                              ;   in Loop: Header=BB12_57 Depth=2
	v_bfe_u32 v1, v0, 16, 1
	v_add3_u32 v45, v0, v1, s46
                                        ; implicit-def: $vgpr0
; %bb.854:                              ;   in Loop: Header=BB12_57 Depth=2
	s_andn2_saveexec_b64 s[78:79], s[78:79]
	s_cbranch_execz .LBB12_856
; %bb.855:                              ;   in Loop: Header=BB12_57 Depth=2
	buffer_load_dword v4, off, s[0:3], s33 offset:128 ; 4-byte Folded Reload
	buffer_load_dword v5, off, s[0:3], s33 offset:132 ; 4-byte Folded Reload
	v_or_b32_e32 v1, 0x10000, v0
	s_waitcnt vmcnt(1)
	v_cmp_eq_u32_sdwa vcc, v0, v4 src0_sel:WORD_0 src1_sel:DWORD
	v_cndmask_b32_e32 v45, v1, v0, vcc
.LBB12_856:                             ;   in Loop: Header=BB12_57 Depth=2
	s_or_b64 exec, exec, s[78:79]
	buffer_load_dword v4, off, s[0:3], s33 offset:216 ; 4-byte Folded Reload
	buffer_load_dword v5, off, s[0:3], s33 offset:220 ; 4-byte Folded Reload
	;; [unrolled: 1-line block ×4, first 2 shown]
                                        ; implicit-def: $vgpr46
	s_waitcnt vmcnt(2)
	v_and_b32_e32 v0, 0xffff0000, v5
	v_mul_f32_e32 v0, v0, v3
	v_and_b32_e32 v1, 0x7f800000, v0
	v_cmp_ne_u32_e32 vcc, s97, v1
	s_and_saveexec_b64 s[78:79], vcc
	s_xor_b64 s[78:79], exec, s[78:79]
; %bb.857:                              ;   in Loop: Header=BB12_57 Depth=2
	v_bfe_u32 v1, v0, 16, 1
	v_add3_u32 v46, v0, v1, s46
                                        ; implicit-def: $vgpr0
; %bb.858:                              ;   in Loop: Header=BB12_57 Depth=2
	s_andn2_saveexec_b64 s[78:79], s[78:79]
	s_cbranch_execz .LBB12_860
; %bb.859:                              ;   in Loop: Header=BB12_57 Depth=2
	buffer_load_dword v4, off, s[0:3], s33 offset:128 ; 4-byte Folded Reload
	buffer_load_dword v5, off, s[0:3], s33 offset:132 ; 4-byte Folded Reload
	v_or_b32_e32 v1, 0x10000, v0
	s_waitcnt vmcnt(1)
	v_cmp_eq_u32_sdwa vcc, v0, v4 src0_sel:WORD_0 src1_sel:DWORD
	v_cndmask_b32_e32 v46, v1, v0, vcc
.LBB12_860:                             ;   in Loop: Header=BB12_57 Depth=2
	s_or_b64 exec, exec, s[78:79]
	buffer_load_dword v4, off, s[0:3], s33 offset:216 ; 4-byte Folded Reload
	buffer_load_dword v5, off, s[0:3], s33 offset:220 ; 4-byte Folded Reload
	;; [unrolled: 1-line block ×4, first 2 shown]
                                        ; implicit-def: $vgpr47
	s_waitcnt vmcnt(1)
	v_lshlrev_b32_e32 v0, 16, v6
	v_mul_f32_e32 v0, v0, v3
	v_and_b32_e32 v1, 0x7f800000, v0
	v_cmp_ne_u32_e32 vcc, s97, v1
	s_and_saveexec_b64 s[78:79], vcc
	s_xor_b64 s[78:79], exec, s[78:79]
; %bb.861:                              ;   in Loop: Header=BB12_57 Depth=2
	v_bfe_u32 v1, v0, 16, 1
	v_add3_u32 v47, v0, v1, s46
                                        ; implicit-def: $vgpr0
; %bb.862:                              ;   in Loop: Header=BB12_57 Depth=2
	s_andn2_saveexec_b64 s[78:79], s[78:79]
	s_cbranch_execz .LBB12_864
; %bb.863:                              ;   in Loop: Header=BB12_57 Depth=2
	buffer_load_dword v4, off, s[0:3], s33 offset:128 ; 4-byte Folded Reload
	buffer_load_dword v5, off, s[0:3], s33 offset:132 ; 4-byte Folded Reload
	v_or_b32_e32 v1, 0x10000, v0
	s_waitcnt vmcnt(1)
	v_cmp_eq_u32_sdwa vcc, v0, v4 src0_sel:WORD_0 src1_sel:DWORD
	v_cndmask_b32_e32 v47, v1, v0, vcc
.LBB12_864:                             ;   in Loop: Header=BB12_57 Depth=2
	s_or_b64 exec, exec, s[78:79]
	buffer_load_dword v4, off, s[0:3], s33 offset:216 ; 4-byte Folded Reload
	buffer_load_dword v5, off, s[0:3], s33 offset:220 ; 4-byte Folded Reload
	buffer_load_dword v6, off, s[0:3], s33 offset:224 ; 4-byte Folded Reload
	buffer_load_dword v7, off, s[0:3], s33 offset:228 ; 4-byte Folded Reload
                                        ; implicit-def: $vgpr56
	s_waitcnt vmcnt(1)
	v_and_b32_e32 v0, 0xffff0000, v6
	v_mul_f32_e32 v0, v0, v3
	v_and_b32_e32 v1, 0x7f800000, v0
	v_cmp_ne_u32_e32 vcc, s97, v1
	s_and_saveexec_b64 s[78:79], vcc
	s_xor_b64 s[78:79], exec, s[78:79]
; %bb.865:                              ;   in Loop: Header=BB12_57 Depth=2
	v_bfe_u32 v1, v0, 16, 1
	v_add3_u32 v56, v0, v1, s46
                                        ; implicit-def: $vgpr0
; %bb.866:                              ;   in Loop: Header=BB12_57 Depth=2
	s_andn2_saveexec_b64 s[78:79], s[78:79]
	s_cbranch_execz .LBB12_868
; %bb.867:                              ;   in Loop: Header=BB12_57 Depth=2
	buffer_load_dword v4, off, s[0:3], s33 offset:128 ; 4-byte Folded Reload
	buffer_load_dword v5, off, s[0:3], s33 offset:132 ; 4-byte Folded Reload
	v_or_b32_e32 v1, 0x10000, v0
	s_waitcnt vmcnt(1)
	v_cmp_eq_u32_sdwa vcc, v0, v4 src0_sel:WORD_0 src1_sel:DWORD
	v_cndmask_b32_e32 v56, v1, v0, vcc
.LBB12_868:                             ;   in Loop: Header=BB12_57 Depth=2
	s_or_b64 exec, exec, s[78:79]
	buffer_load_dword v4, off, s[0:3], s33 offset:216 ; 4-byte Folded Reload
	buffer_load_dword v5, off, s[0:3], s33 offset:220 ; 4-byte Folded Reload
	;; [unrolled: 1-line block ×4, first 2 shown]
                                        ; implicit-def: $vgpr57
	s_waitcnt vmcnt(0)
	v_lshlrev_b32_e32 v0, 16, v7
	v_mul_f32_e32 v0, v0, v3
	v_and_b32_e32 v1, 0x7f800000, v0
	v_cmp_ne_u32_e32 vcc, s97, v1
	s_and_saveexec_b64 s[78:79], vcc
	s_xor_b64 s[78:79], exec, s[78:79]
; %bb.869:                              ;   in Loop: Header=BB12_57 Depth=2
	v_bfe_u32 v1, v0, 16, 1
	v_add3_u32 v57, v0, v1, s46
                                        ; implicit-def: $vgpr0
; %bb.870:                              ;   in Loop: Header=BB12_57 Depth=2
	s_andn2_saveexec_b64 s[78:79], s[78:79]
	s_cbranch_execz .LBB12_872
; %bb.871:                              ;   in Loop: Header=BB12_57 Depth=2
	buffer_load_dword v4, off, s[0:3], s33 offset:128 ; 4-byte Folded Reload
	buffer_load_dword v5, off, s[0:3], s33 offset:132 ; 4-byte Folded Reload
	v_or_b32_e32 v1, 0x10000, v0
	s_waitcnt vmcnt(1)
	v_cmp_eq_u32_sdwa vcc, v0, v4 src0_sel:WORD_0 src1_sel:DWORD
	v_cndmask_b32_e32 v57, v1, v0, vcc
.LBB12_872:                             ;   in Loop: Header=BB12_57 Depth=2
	s_or_b64 exec, exec, s[78:79]
	buffer_load_dword v4, off, s[0:3], s33 offset:216 ; 4-byte Folded Reload
	buffer_load_dword v5, off, s[0:3], s33 offset:220 ; 4-byte Folded Reload
	;; [unrolled: 1-line block ×4, first 2 shown]
                                        ; implicit-def: $vgpr59
	s_waitcnt vmcnt(0)
	v_and_b32_e32 v0, 0xffff0000, v7
	v_mul_f32_e32 v0, v0, v3
	v_and_b32_e32 v1, 0x7f800000, v0
	v_cmp_ne_u32_e32 vcc, s97, v1
	s_and_saveexec_b64 s[78:79], vcc
	s_xor_b64 s[78:79], exec, s[78:79]
; %bb.873:                              ;   in Loop: Header=BB12_57 Depth=2
	v_bfe_u32 v1, v0, 16, 1
	v_add3_u32 v59, v0, v1, s46
                                        ; implicit-def: $vgpr0
; %bb.874:                              ;   in Loop: Header=BB12_57 Depth=2
	s_andn2_saveexec_b64 s[78:79], s[78:79]
	s_cbranch_execz .LBB12_876
; %bb.875:                              ;   in Loop: Header=BB12_57 Depth=2
	buffer_load_dword v4, off, s[0:3], s33 offset:128 ; 4-byte Folded Reload
	buffer_load_dword v5, off, s[0:3], s33 offset:132 ; 4-byte Folded Reload
	v_or_b32_e32 v1, 0x10000, v0
	s_waitcnt vmcnt(1)
	v_cmp_eq_u32_sdwa vcc, v0, v4 src0_sel:WORD_0 src1_sel:DWORD
	v_cndmask_b32_e32 v59, v1, v0, vcc
.LBB12_876:                             ;   in Loop: Header=BB12_57 Depth=2
	s_or_b64 exec, exec, s[78:79]
	buffer_load_dword v4, off, s[0:3], s33 offset:200 ; 4-byte Folded Reload
	buffer_load_dword v5, off, s[0:3], s33 offset:204 ; 4-byte Folded Reload
	;; [unrolled: 1-line block ×4, first 2 shown]
                                        ; implicit-def: $vgpr58
	s_waitcnt vmcnt(3)
	v_lshlrev_b32_e32 v0, 16, v4
	v_mul_f32_e32 v0, v0, v3
	v_and_b32_e32 v1, 0x7f800000, v0
	v_cmp_ne_u32_e32 vcc, s97, v1
	s_and_saveexec_b64 s[78:79], vcc
	s_xor_b64 s[78:79], exec, s[78:79]
; %bb.877:                              ;   in Loop: Header=BB12_57 Depth=2
	v_bfe_u32 v1, v0, 16, 1
	v_add3_u32 v58, v0, v1, s46
                                        ; implicit-def: $vgpr0
; %bb.878:                              ;   in Loop: Header=BB12_57 Depth=2
	s_andn2_saveexec_b64 s[78:79], s[78:79]
	s_cbranch_execz .LBB12_880
; %bb.879:                              ;   in Loop: Header=BB12_57 Depth=2
	buffer_load_dword v4, off, s[0:3], s33 offset:128 ; 4-byte Folded Reload
	buffer_load_dword v5, off, s[0:3], s33 offset:132 ; 4-byte Folded Reload
	v_or_b32_e32 v1, 0x10000, v0
	s_waitcnt vmcnt(1)
	v_cmp_eq_u32_sdwa vcc, v0, v4 src0_sel:WORD_0 src1_sel:DWORD
	v_cndmask_b32_e32 v58, v1, v0, vcc
.LBB12_880:                             ;   in Loop: Header=BB12_57 Depth=2
	s_or_b64 exec, exec, s[78:79]
	buffer_load_dword v4, off, s[0:3], s33 offset:200 ; 4-byte Folded Reload
	buffer_load_dword v5, off, s[0:3], s33 offset:204 ; 4-byte Folded Reload
	buffer_load_dword v6, off, s[0:3], s33 offset:208 ; 4-byte Folded Reload
	buffer_load_dword v7, off, s[0:3], s33 offset:212 ; 4-byte Folded Reload
                                        ; implicit-def: $vgpr60
	s_waitcnt vmcnt(3)
	v_and_b32_e32 v0, 0xffff0000, v4
	v_mul_f32_e32 v0, v0, v3
	v_and_b32_e32 v1, 0x7f800000, v0
	v_cmp_ne_u32_e32 vcc, s97, v1
	s_and_saveexec_b64 s[78:79], vcc
	s_xor_b64 s[78:79], exec, s[78:79]
; %bb.881:                              ;   in Loop: Header=BB12_57 Depth=2
	v_bfe_u32 v1, v0, 16, 1
	v_add3_u32 v60, v0, v1, s46
                                        ; implicit-def: $vgpr0
; %bb.882:                              ;   in Loop: Header=BB12_57 Depth=2
	s_andn2_saveexec_b64 s[78:79], s[78:79]
	s_cbranch_execz .LBB12_884
; %bb.883:                              ;   in Loop: Header=BB12_57 Depth=2
	buffer_load_dword v4, off, s[0:3], s33 offset:128 ; 4-byte Folded Reload
	buffer_load_dword v5, off, s[0:3], s33 offset:132 ; 4-byte Folded Reload
	v_or_b32_e32 v1, 0x10000, v0
	s_waitcnt vmcnt(1)
	v_cmp_eq_u32_sdwa vcc, v0, v4 src0_sel:WORD_0 src1_sel:DWORD
	v_cndmask_b32_e32 v60, v1, v0, vcc
.LBB12_884:                             ;   in Loop: Header=BB12_57 Depth=2
	s_or_b64 exec, exec, s[78:79]
	buffer_load_dword v4, off, s[0:3], s33 offset:200 ; 4-byte Folded Reload
	buffer_load_dword v5, off, s[0:3], s33 offset:204 ; 4-byte Folded Reload
	;; [unrolled: 1-line block ×4, first 2 shown]
                                        ; implicit-def: $vgpr61
	s_waitcnt vmcnt(2)
	v_lshlrev_b32_e32 v0, 16, v5
	v_mul_f32_e32 v0, v0, v3
	v_and_b32_e32 v1, 0x7f800000, v0
	v_cmp_ne_u32_e32 vcc, s97, v1
	s_and_saveexec_b64 s[78:79], vcc
	s_xor_b64 s[78:79], exec, s[78:79]
; %bb.885:                              ;   in Loop: Header=BB12_57 Depth=2
	v_bfe_u32 v1, v0, 16, 1
	v_add3_u32 v61, v0, v1, s46
                                        ; implicit-def: $vgpr0
; %bb.886:                              ;   in Loop: Header=BB12_57 Depth=2
	s_andn2_saveexec_b64 s[78:79], s[78:79]
	s_cbranch_execz .LBB12_888
; %bb.887:                              ;   in Loop: Header=BB12_57 Depth=2
	buffer_load_dword v4, off, s[0:3], s33 offset:128 ; 4-byte Folded Reload
	buffer_load_dword v5, off, s[0:3], s33 offset:132 ; 4-byte Folded Reload
	v_or_b32_e32 v1, 0x10000, v0
	s_waitcnt vmcnt(1)
	v_cmp_eq_u32_sdwa vcc, v0, v4 src0_sel:WORD_0 src1_sel:DWORD
	v_cndmask_b32_e32 v61, v1, v0, vcc
.LBB12_888:                             ;   in Loop: Header=BB12_57 Depth=2
	s_or_b64 exec, exec, s[78:79]
	buffer_load_dword v4, off, s[0:3], s33 offset:200 ; 4-byte Folded Reload
	buffer_load_dword v5, off, s[0:3], s33 offset:204 ; 4-byte Folded Reload
	;; [unrolled: 1-line block ×4, first 2 shown]
	s_waitcnt vmcnt(2)
	v_and_b32_e32 v0, 0xffff0000, v5
	v_mul_f32_e32 v1, v0, v3
	v_and_b32_e32 v0, 0x7f800000, v1
	v_cmp_ne_u32_e32 vcc, s97, v0
                                        ; implicit-def: $vgpr0
	s_and_saveexec_b64 s[78:79], vcc
	s_xor_b64 s[78:79], exec, s[78:79]
; %bb.889:                              ;   in Loop: Header=BB12_57 Depth=2
	v_bfe_u32 v0, v1, 16, 1
	v_add3_u32 v0, v1, v0, s46
                                        ; implicit-def: $vgpr1
; %bb.890:                              ;   in Loop: Header=BB12_57 Depth=2
	s_andn2_saveexec_b64 s[78:79], s[78:79]
	s_cbranch_execz .LBB12_892
; %bb.891:                              ;   in Loop: Header=BB12_57 Depth=2
	buffer_load_dword v4, off, s[0:3], s33 offset:128 ; 4-byte Folded Reload
	buffer_load_dword v5, off, s[0:3], s33 offset:132 ; 4-byte Folded Reload
	v_or_b32_e32 v0, 0x10000, v1
	s_waitcnt vmcnt(1)
	v_cmp_eq_u32_sdwa vcc, v1, v4 src0_sel:WORD_0 src1_sel:DWORD
	v_cndmask_b32_e32 v0, v0, v1, vcc
.LBB12_892:                             ;   in Loop: Header=BB12_57 Depth=2
	s_or_b64 exec, exec, s[78:79]
	buffer_load_dword v4, off, s[0:3], s33 offset:200 ; 4-byte Folded Reload
	buffer_load_dword v5, off, s[0:3], s33 offset:204 ; 4-byte Folded Reload
	;; [unrolled: 1-line block ×4, first 2 shown]
	s_waitcnt vmcnt(1)
	v_lshlrev_b32_e32 v1, 16, v6
	v_mul_f32_e32 v2, v1, v3
	v_and_b32_e32 v1, 0x7f800000, v2
	v_cmp_ne_u32_e32 vcc, s97, v1
                                        ; implicit-def: $vgpr1
	s_and_saveexec_b64 s[78:79], vcc
	s_xor_b64 s[78:79], exec, s[78:79]
; %bb.893:                              ;   in Loop: Header=BB12_57 Depth=2
	v_bfe_u32 v1, v2, 16, 1
	v_add3_u32 v1, v2, v1, s46
                                        ; implicit-def: $vgpr2
; %bb.894:                              ;   in Loop: Header=BB12_57 Depth=2
	s_andn2_saveexec_b64 s[78:79], s[78:79]
	s_cbranch_execz .LBB12_896
; %bb.895:                              ;   in Loop: Header=BB12_57 Depth=2
	buffer_load_dword v4, off, s[0:3], s33 offset:128 ; 4-byte Folded Reload
	buffer_load_dword v5, off, s[0:3], s33 offset:132 ; 4-byte Folded Reload
	v_or_b32_e32 v1, 0x10000, v2
	s_waitcnt vmcnt(1)
	v_cmp_eq_u32_sdwa vcc, v2, v4 src0_sel:WORD_0 src1_sel:DWORD
	v_cndmask_b32_e32 v1, v1, v2, vcc
.LBB12_896:                             ;   in Loop: Header=BB12_57 Depth=2
	s_or_b64 exec, exec, s[78:79]
	buffer_load_dword v4, off, s[0:3], s33 offset:200 ; 4-byte Folded Reload
	buffer_load_dword v5, off, s[0:3], s33 offset:204 ; 4-byte Folded Reload
	;; [unrolled: 1-line block ×4, first 2 shown]
	s_waitcnt vmcnt(1)
	v_and_b32_e32 v2, 0xffff0000, v6
	v_mul_f32_e32 v4, v2, v3
	v_and_b32_e32 v2, 0x7f800000, v4
	v_cmp_ne_u32_e32 vcc, s97, v2
                                        ; implicit-def: $vgpr2
	s_and_saveexec_b64 s[78:79], vcc
	s_xor_b64 s[78:79], exec, s[78:79]
; %bb.897:                              ;   in Loop: Header=BB12_57 Depth=2
	v_bfe_u32 v2, v4, 16, 1
	v_add3_u32 v2, v4, v2, s46
                                        ; implicit-def: $vgpr4
; %bb.898:                              ;   in Loop: Header=BB12_57 Depth=2
	s_andn2_saveexec_b64 s[78:79], s[78:79]
	s_cbranch_execz .LBB12_900
; %bb.899:                              ;   in Loop: Header=BB12_57 Depth=2
	buffer_load_dword v5, off, s[0:3], s33 offset:128 ; 4-byte Folded Reload
	buffer_load_dword v6, off, s[0:3], s33 offset:132 ; 4-byte Folded Reload
	v_or_b32_e32 v2, 0x10000, v4
	s_waitcnt vmcnt(1)
	v_cmp_eq_u32_sdwa vcc, v4, v5 src0_sel:WORD_0 src1_sel:DWORD
	v_cndmask_b32_e32 v2, v2, v4, vcc
.LBB12_900:                             ;   in Loop: Header=BB12_57 Depth=2
	s_or_b64 exec, exec, s[78:79]
	buffer_load_dword v4, off, s[0:3], s33 offset:200 ; 4-byte Folded Reload
	buffer_load_dword v5, off, s[0:3], s33 offset:204 ; 4-byte Folded Reload
	;; [unrolled: 1-line block ×4, first 2 shown]
	s_waitcnt vmcnt(0)
	v_lshlrev_b32_e32 v4, 16, v7
	v_mul_f32_e32 v5, v4, v3
	v_and_b32_e32 v4, 0x7f800000, v5
	v_cmp_ne_u32_e32 vcc, s97, v4
                                        ; implicit-def: $vgpr4
	s_and_saveexec_b64 s[78:79], vcc
	s_xor_b64 s[78:79], exec, s[78:79]
; %bb.901:                              ;   in Loop: Header=BB12_57 Depth=2
	v_bfe_u32 v4, v5, 16, 1
	v_add3_u32 v4, v5, v4, s46
                                        ; implicit-def: $vgpr5
; %bb.902:                              ;   in Loop: Header=BB12_57 Depth=2
	s_andn2_saveexec_b64 s[78:79], s[78:79]
	s_cbranch_execz .LBB12_904
; %bb.903:                              ;   in Loop: Header=BB12_57 Depth=2
	buffer_load_dword v6, off, s[0:3], s33 offset:128 ; 4-byte Folded Reload
	buffer_load_dword v7, off, s[0:3], s33 offset:132 ; 4-byte Folded Reload
	v_or_b32_e32 v4, 0x10000, v5
	s_waitcnt vmcnt(1)
	v_cmp_eq_u32_sdwa vcc, v5, v6 src0_sel:WORD_0 src1_sel:DWORD
	v_cndmask_b32_e32 v4, v4, v5, vcc
.LBB12_904:                             ;   in Loop: Header=BB12_57 Depth=2
	s_or_b64 exec, exec, s[78:79]
	buffer_load_dword v5, off, s[0:3], s33 offset:200 ; 4-byte Folded Reload
	buffer_load_dword v6, off, s[0:3], s33 offset:204 ; 4-byte Folded Reload
	;; [unrolled: 1-line block ×4, first 2 shown]
	s_waitcnt vmcnt(0)
	v_and_b32_e32 v5, 0xffff0000, v8
	v_mul_f32_e32 v5, v5, v3
	v_and_b32_e32 v3, 0x7f800000, v5
	v_cmp_ne_u32_e32 vcc, s97, v3
                                        ; implicit-def: $vgpr3
	s_and_saveexec_b64 s[78:79], vcc
	s_xor_b64 s[78:79], exec, s[78:79]
; %bb.905:                              ;   in Loop: Header=BB12_57 Depth=2
	v_bfe_u32 v3, v5, 16, 1
	v_add3_u32 v3, v5, v3, s46
                                        ; implicit-def: $vgpr5
; %bb.906:                              ;   in Loop: Header=BB12_57 Depth=2
	s_andn2_saveexec_b64 s[78:79], s[78:79]
	s_cbranch_execz .LBB12_908
; %bb.907:                              ;   in Loop: Header=BB12_57 Depth=2
	buffer_load_dword v6, off, s[0:3], s33 offset:128 ; 4-byte Folded Reload
	buffer_load_dword v7, off, s[0:3], s33 offset:132 ; 4-byte Folded Reload
	v_or_b32_e32 v3, 0x10000, v5
	s_waitcnt vmcnt(1)
	v_cmp_eq_u32_sdwa vcc, v5, v6 src0_sel:WORD_0 src1_sel:DWORD
	v_cndmask_b32_e32 v3, v3, v5, vcc
.LBB12_908:                             ;   in Loop: Header=BB12_57 Depth=2
	s_or_b64 exec, exec, s[78:79]
	v_lshrrev_b32_e32 v5, 16, v45
	v_and_or_b32 v45, v46, s47, v5
	v_lshrrev_b32_e32 v5, 16, v47
	v_and_or_b32 v46, v56, s47, v5
	;; [unrolled: 2-line block ×22, first 2 shown]
	buffer_load_dword v5, off, s[0:3], s33 offset:300 ; 4-byte Folded Reload
	buffer_load_dword v6, off, s[0:3], s33 offset:324 ; 4-byte Folded Reload
	v_lshrrev_b32_e32 v43, 16, v43
	v_lshrrev_b32_e32 v55, 16, v55
	v_and_or_b32 v44, v44, s47, v43
	v_and_or_b32 v16, v16, s47, v55
	s_waitcnt vmcnt(1)
	v_lshrrev_b32_e32 v5, 16, v5
	s_waitcnt vmcnt(0)
	v_and_or_b32 v29, v6, s47, v5
	buffer_load_dword v5, off, s[0:3], s33 offset:168 ; 4-byte Folded Reload
	buffer_load_dword v6, off, s[0:3], s33 offset:184 ; 4-byte Folded Reload
	s_waitcnt vmcnt(1)
	v_lshrrev_b32_e32 v5, 16, v5
	s_waitcnt vmcnt(0)
	v_and_or_b32 v28, v6, s47, v5
	buffer_load_dword v5, off, s[0:3], s33 offset:332 ; 4-byte Folded Reload
	buffer_load_dword v6, off, s[0:3], s33 offset:340 ; 4-byte Folded Reload
	;; [unrolled: 6-line block ×3, first 2 shown]
	s_waitcnt vmcnt(1)
	v_lshrrev_b32_e32 v5, 16, v5
	s_waitcnt vmcnt(0)
	v_and_or_b32 v31, v6, s47, v5
	v_lshrrev_b32_e32 v5, 16, v61
	v_and_or_b32 v6, v0, s47, v5
	v_lshrrev_b32_e32 v0, 16, v58
	;; [unrolled: 2-line block ×4, first 2 shown]
	v_and_or_b32 v8, v3, s47, v0
	v_add_co_u32_e32 v0, vcc, s81, v14
	v_addc_co_u32_e32 v1, vcc, 0, v15, vcc
	global_store_dwordx4 v[14:15], v[28:31], off glc slc
	global_store_dwordx4 v[14:15], v[10:13], off offset:1024 glc slc
	global_store_dwordx4 v[14:15], v[32:35], off offset:2048 glc slc
	;; [unrolled: 1-line block ×3, first 2 shown]
	global_store_dwordx4 v[0:1], v[20:23], off glc slc
	global_store_dwordx4 v[0:1], v[16:19], off offset:1024 glc slc
	global_store_dwordx4 v[0:1], v[44:47], off offset:2048 glc slc
	;; [unrolled: 1-line block ×3, first 2 shown]
.LBB12_909:                             ;   in Loop: Header=BB12_57 Depth=2
	s_or_b64 exec, exec, s[26:27]
	buffer_load_dword v0, off, s[0:3], s33 offset:720 ; 4-byte Folded Reload
                                        ; implicit-def: $vgpr4
                                        ; implicit-def: $vgpr5
	s_waitcnt vmcnt(0)
	v_lshlrev_b32_e32 v12, 13, v0
	buffer_load_dword v0, off, s[0:3], s33 offset:688 ; 4-byte Folded Reload
	s_waitcnt vmcnt(0)
	v_cmp_ne_u32_e32 vcc, v0, v12
                                        ; implicit-def: $vgpr0
	s_and_saveexec_b64 s[78:79], vcc
	s_cbranch_execz .LBB12_1021
; %bb.910:                              ;   in Loop: Header=BB12_57 Depth=2
	buffer_load_dword v1, off, s[0:3], s33 offset:316 ; 4-byte Folded Reload
	buffer_load_dword v0, off, s[0:3], s33 offset:688 ; 4-byte Folded Reload
	;; [unrolled: 1-line block ×3, first 2 shown]
	s_mov_b64 s[90:91], 0
	s_waitcnt vmcnt(2)
	v_lshlrev_b32_e32 v1, 6, v1
	s_waitcnt vmcnt(1)
	v_sub_u32_e32 v0, v0, v12
	s_waitcnt vmcnt(0)
	v_sub_u32_e32 v1, v2, v1
	v_ashrrev_i32_e32 v2, 31, v1
	v_lshrrev_b32_e32 v2, 26, v2
	v_add_u32_e32 v2, v1, v2
	v_ashrrev_i32_e32 v3, 6, v2
	v_and_b32_e32 v2, 0xffffffc0, v2
	v_sub_u32_e32 v13, v1, v2
	v_lshlrev_b32_e32 v1, 4, v13
	v_lshl_add_u32 v1, v3, 10, v1
	v_add_u32_e32 v4, v1, v12
	v_sub_u32_e32 v17, v0, v1
	v_ashrrev_i32_e32 v1, 31, v0
	v_lshrrev_b32_e32 v1, 22, v1
	v_add_u32_e32 v1, v0, v1
	v_and_b32_e32 v14, 0xfffffc00, v1
	v_sub_u32_e32 v16, v0, v14
	v_ashrrev_i32_e32 v2, 10, v1
	v_cmp_lt_i32_e64 s[26:27], 15, v16
	v_addc_co_u32_e64 v0, vcc, 0, v2, s[26:27]
	v_sub_u32_e32 v15, v0, v3
	buffer_load_dword v0, off, s[0:3], s33 offset:692 ; 4-byte Folded Reload
	buffer_load_dword v1, off, s[0:3], s33 offset:696 ; 4-byte Folded Reload
	v_ashrrev_i32_e32 v5, 31, v4
                                        ; implicit-def: $vgpr2_vgpr3
	s_waitcnt vmcnt(1)
	v_add_co_u32_e32 v0, vcc, v4, v0
	s_waitcnt vmcnt(0)
	v_addc_co_u32_e32 v1, vcc, v5, v1, vcc
	v_cmp_lt_i32_e32 vcc, 15, v17
	s_and_saveexec_b64 s[88:89], vcc
	s_cbranch_execz .LBB12_984
; %bb.911:                              ;   in Loop: Header=BB12_57 Depth=2
	s_trap 2
	ds_read_b32 v2, v0
	buffer_load_dword v6, off, s[0:3], s33 offset:700 ; 4-byte Folded Reload
	buffer_load_dword v7, off, s[0:3], s33 offset:704 ; 4-byte Folded Reload
	s_mov_b64 s[94:95], 0
                                        ; implicit-def: $sgpr92_sgpr93
	s_waitcnt lgkmcnt(0)
	v_lshlrev_b32_e32 v18, 16, v2
	s_waitcnt vmcnt(1)
	v_add_co_u32_e32 v10, vcc, v4, v6
	s_waitcnt vmcnt(0)
	v_addc_co_u32_e32 v11, vcc, v5, v7, vcc
                                        ; implicit-def: $vgpr2_vgpr3
	s_branch .LBB12_913
.LBB12_912:                             ;   in Loop: Header=BB12_913 Depth=3
	s_or_b64 exec, exec, s[30:31]
	v_cmp_gt_i32_e32 vcc, 16, v17
	s_or_b64 s[90:91], vcc, s[90:91]
	s_andn2_b64 s[92:93], s[92:93], exec
	s_and_b64 vcc, s[94:95], exec
	s_or_b64 s[92:93], s[92:93], vcc
	s_andn2_b64 exec, exec, s[90:91]
	s_cbranch_execz .LBB12_983
.LBB12_913:                             ;   Parent Loop BB12_47 Depth=1
                                        ;     Parent Loop BB12_57 Depth=2
                                        ; =>    This Inner Loop Header: Depth=3
	global_load_dwordx4 v[6:9], v[10:11], off glc slc
	s_and_saveexec_b64 s[30:31], s[94:95]
	s_cbranch_execz .LBB12_947
; %bb.914:                              ;   in Loop: Header=BB12_913 Depth=3
	v_lshlrev_b32_e32 v19, 16, v2
	v_mul_f32_e32 v20, v18, v19
	v_and_b32_e32 v19, 0x7f800000, v20
	v_cmp_ne_u32_e32 vcc, s97, v19
                                        ; implicit-def: $vgpr19
	s_and_saveexec_b64 s[94:95], vcc
	s_xor_b64 s[94:95], exec, s[94:95]
; %bb.915:                              ;   in Loop: Header=BB12_913 Depth=3
	v_bfe_u32 v19, v20, 16, 1
	v_add3_u32 v19, v20, v19, s46
                                        ; implicit-def: $vgpr20
; %bb.916:                              ;   in Loop: Header=BB12_913 Depth=3
	s_andn2_saveexec_b64 s[94:95], s[94:95]
	s_cbranch_execz .LBB12_918
; %bb.917:                              ;   in Loop: Header=BB12_913 Depth=3
	buffer_load_dword v21, off, s[0:3], s33 offset:128 ; 4-byte Folded Reload
	buffer_load_dword v22, off, s[0:3], s33 offset:132 ; 4-byte Folded Reload
	v_or_b32_e32 v19, 0x10000, v20
	s_waitcnt vmcnt(1)
	v_cmp_eq_u32_sdwa vcc, v20, v21 src0_sel:WORD_0 src1_sel:DWORD
	v_cndmask_b32_e32 v19, v19, v20, vcc
.LBB12_918:                             ;   in Loop: Header=BB12_913 Depth=3
	s_or_b64 exec, exec, s[94:95]
	v_and_b32_e32 v2, 0xffff0000, v2
	v_mul_f32_e32 v20, v18, v2
	v_and_b32_e32 v2, 0x7f800000, v20
	v_cmp_ne_u32_e32 vcc, s97, v2
                                        ; implicit-def: $vgpr2
	s_and_saveexec_b64 s[94:95], vcc
	s_xor_b64 s[94:95], exec, s[94:95]
; %bb.919:                              ;   in Loop: Header=BB12_913 Depth=3
	v_bfe_u32 v2, v20, 16, 1
	v_add3_u32 v2, v20, v2, s46
                                        ; implicit-def: $vgpr20
; %bb.920:                              ;   in Loop: Header=BB12_913 Depth=3
	s_andn2_saveexec_b64 s[94:95], s[94:95]
	s_cbranch_execz .LBB12_922
; %bb.921:                              ;   in Loop: Header=BB12_913 Depth=3
	buffer_load_dword v21, off, s[0:3], s33 offset:128 ; 4-byte Folded Reload
	buffer_load_dword v22, off, s[0:3], s33 offset:132 ; 4-byte Folded Reload
	v_or_b32_e32 v2, 0x10000, v20
	s_waitcnt vmcnt(1)
	v_cmp_eq_u32_sdwa vcc, v20, v21 src0_sel:WORD_0 src1_sel:DWORD
	v_cndmask_b32_e32 v2, v2, v20, vcc
.LBB12_922:                             ;   in Loop: Header=BB12_913 Depth=3
	s_or_b64 exec, exec, s[94:95]
	v_lshlrev_b32_e32 v20, 16, v3
	v_mul_f32_e32 v21, v18, v20
	v_and_b32_e32 v20, 0x7f800000, v21
	v_cmp_ne_u32_e32 vcc, s97, v20
                                        ; implicit-def: $vgpr20
	s_and_saveexec_b64 s[94:95], vcc
	s_xor_b64 s[94:95], exec, s[94:95]
; %bb.923:                              ;   in Loop: Header=BB12_913 Depth=3
	v_bfe_u32 v20, v21, 16, 1
	v_add3_u32 v20, v21, v20, s46
                                        ; implicit-def: $vgpr21
; %bb.924:                              ;   in Loop: Header=BB12_913 Depth=3
	s_andn2_saveexec_b64 s[94:95], s[94:95]
	s_cbranch_execz .LBB12_926
; %bb.925:                              ;   in Loop: Header=BB12_913 Depth=3
	buffer_load_dword v22, off, s[0:3], s33 offset:128 ; 4-byte Folded Reload
	buffer_load_dword v23, off, s[0:3], s33 offset:132 ; 4-byte Folded Reload
	v_or_b32_e32 v20, 0x10000, v21
	s_waitcnt vmcnt(1)
	v_cmp_eq_u32_sdwa vcc, v21, v22 src0_sel:WORD_0 src1_sel:DWORD
	v_cndmask_b32_e32 v20, v20, v21, vcc
.LBB12_926:                             ;   in Loop: Header=BB12_913 Depth=3
	s_or_b64 exec, exec, s[94:95]
	v_and_b32_e32 v3, 0xffff0000, v3
	v_mul_f32_e32 v21, v18, v3
	v_and_b32_e32 v3, 0x7f800000, v21
	v_cmp_ne_u32_e32 vcc, s97, v3
                                        ; implicit-def: $vgpr3
	s_and_saveexec_b64 s[94:95], vcc
	s_xor_b64 s[94:95], exec, s[94:95]
; %bb.927:                              ;   in Loop: Header=BB12_913 Depth=3
	v_bfe_u32 v3, v21, 16, 1
	v_add3_u32 v3, v21, v3, s46
                                        ; implicit-def: $vgpr21
; %bb.928:                              ;   in Loop: Header=BB12_913 Depth=3
	s_andn2_saveexec_b64 s[94:95], s[94:95]
	s_cbranch_execz .LBB12_930
; %bb.929:                              ;   in Loop: Header=BB12_913 Depth=3
	buffer_load_dword v22, off, s[0:3], s33 offset:128 ; 4-byte Folded Reload
	buffer_load_dword v23, off, s[0:3], s33 offset:132 ; 4-byte Folded Reload
	v_or_b32_e32 v3, 0x10000, v21
	s_waitcnt vmcnt(1)
	v_cmp_eq_u32_sdwa vcc, v21, v22 src0_sel:WORD_0 src1_sel:DWORD
	v_cndmask_b32_e32 v3, v3, v21, vcc
.LBB12_930:                             ;   in Loop: Header=BB12_913 Depth=3
	s_or_b64 exec, exec, s[94:95]
	v_lshlrev_b32_e32 v21, 16, v4
	s_waitcnt vmcnt(0)
	v_mul_f32_e32 v22, v18, v21
	v_and_b32_e32 v21, 0x7f800000, v22
	v_cmp_ne_u32_e32 vcc, s97, v21
                                        ; implicit-def: $vgpr21
	s_and_saveexec_b64 s[94:95], vcc
	s_xor_b64 s[94:95], exec, s[94:95]
; %bb.931:                              ;   in Loop: Header=BB12_913 Depth=3
	v_bfe_u32 v21, v22, 16, 1
	v_add3_u32 v21, v22, v21, s46
                                        ; implicit-def: $vgpr22
; %bb.932:                              ;   in Loop: Header=BB12_913 Depth=3
	s_andn2_saveexec_b64 s[94:95], s[94:95]
	s_cbranch_execz .LBB12_934
; %bb.933:                              ;   in Loop: Header=BB12_913 Depth=3
	buffer_load_dword v23, off, s[0:3], s33 offset:128 ; 4-byte Folded Reload
	buffer_load_dword v24, off, s[0:3], s33 offset:132 ; 4-byte Folded Reload
	v_or_b32_e32 v21, 0x10000, v22
	s_waitcnt vmcnt(1)
	v_cmp_eq_u32_sdwa vcc, v22, v23 src0_sel:WORD_0 src1_sel:DWORD
	v_cndmask_b32_e32 v21, v21, v22, vcc
.LBB12_934:                             ;   in Loop: Header=BB12_913 Depth=3
	s_or_b64 exec, exec, s[94:95]
	v_and_b32_e32 v4, 0xffff0000, v4
	v_mul_f32_e32 v22, v18, v4
	v_and_b32_e32 v4, 0x7f800000, v22
	v_cmp_ne_u32_e32 vcc, s97, v4
                                        ; implicit-def: $vgpr4
	s_and_saveexec_b64 s[94:95], vcc
	s_xor_b64 s[94:95], exec, s[94:95]
; %bb.935:                              ;   in Loop: Header=BB12_913 Depth=3
	v_bfe_u32 v4, v22, 16, 1
	v_add3_u32 v4, v22, v4, s46
                                        ; implicit-def: $vgpr22
; %bb.936:                              ;   in Loop: Header=BB12_913 Depth=3
	s_andn2_saveexec_b64 s[94:95], s[94:95]
	s_cbranch_execz .LBB12_938
; %bb.937:                              ;   in Loop: Header=BB12_913 Depth=3
	buffer_load_dword v23, off, s[0:3], s33 offset:128 ; 4-byte Folded Reload
	buffer_load_dword v24, off, s[0:3], s33 offset:132 ; 4-byte Folded Reload
	v_or_b32_e32 v4, 0x10000, v22
	s_waitcnt vmcnt(1)
	v_cmp_eq_u32_sdwa vcc, v22, v23 src0_sel:WORD_0 src1_sel:DWORD
	v_cndmask_b32_e32 v4, v4, v22, vcc
.LBB12_938:                             ;   in Loop: Header=BB12_913 Depth=3
	s_or_b64 exec, exec, s[94:95]
	v_lshlrev_b32_e32 v22, 16, v5
	v_mul_f32_e32 v23, v18, v22
	v_and_b32_e32 v22, 0x7f800000, v23
	v_cmp_ne_u32_e32 vcc, s97, v22
                                        ; implicit-def: $vgpr22
	s_and_saveexec_b64 s[94:95], vcc
	s_xor_b64 s[94:95], exec, s[94:95]
; %bb.939:                              ;   in Loop: Header=BB12_913 Depth=3
	v_bfe_u32 v22, v23, 16, 1
	v_add3_u32 v22, v23, v22, s46
                                        ; implicit-def: $vgpr23
; %bb.940:                              ;   in Loop: Header=BB12_913 Depth=3
	s_andn2_saveexec_b64 s[94:95], s[94:95]
	s_cbranch_execz .LBB12_942
; %bb.941:                              ;   in Loop: Header=BB12_913 Depth=3
	buffer_load_dword v24, off, s[0:3], s33 offset:128 ; 4-byte Folded Reload
	buffer_load_dword v25, off, s[0:3], s33 offset:132 ; 4-byte Folded Reload
	v_or_b32_e32 v22, 0x10000, v23
	s_waitcnt vmcnt(1)
	v_cmp_eq_u32_sdwa vcc, v23, v24 src0_sel:WORD_0 src1_sel:DWORD
	v_cndmask_b32_e32 v22, v22, v23, vcc
.LBB12_942:                             ;   in Loop: Header=BB12_913 Depth=3
	s_or_b64 exec, exec, s[94:95]
	v_and_b32_e32 v5, 0xffff0000, v5
	v_mul_f32_e32 v23, v18, v5
	v_and_b32_e32 v5, 0x7f800000, v23
	v_cmp_ne_u32_e32 vcc, s97, v5
                                        ; implicit-def: $vgpr5
	s_and_saveexec_b64 s[94:95], vcc
	s_xor_b64 s[94:95], exec, s[94:95]
; %bb.943:                              ;   in Loop: Header=BB12_913 Depth=3
	v_bfe_u32 v5, v23, 16, 1
	v_add3_u32 v5, v23, v5, s46
                                        ; implicit-def: $vgpr23
; %bb.944:                              ;   in Loop: Header=BB12_913 Depth=3
	s_andn2_saveexec_b64 s[94:95], s[94:95]
	s_cbranch_execz .LBB12_946
; %bb.945:                              ;   in Loop: Header=BB12_913 Depth=3
	buffer_load_dword v24, off, s[0:3], s33 offset:128 ; 4-byte Folded Reload
	buffer_load_dword v25, off, s[0:3], s33 offset:132 ; 4-byte Folded Reload
	v_or_b32_e32 v5, 0x10000, v23
	s_waitcnt vmcnt(1)
	v_cmp_eq_u32_sdwa vcc, v23, v24 src0_sel:WORD_0 src1_sel:DWORD
	v_cndmask_b32_e32 v5, v5, v23, vcc
.LBB12_946:                             ;   in Loop: Header=BB12_913 Depth=3
	s_or_b64 exec, exec, s[94:95]
	v_lshrrev_b32_e32 v19, 16, v19
	v_and_or_b32 v2, v2, s47, v19
	v_lshrrev_b32_e32 v19, 16, v21
	v_and_or_b32 v4, v4, s47, v19
	;; [unrolled: 2-line block ×3, first 2 shown]
	buffer_load_dword v19, off, s[0:3], s33 offset:420 ; 4-byte Folded Reload
	v_lshrrev_b32_e32 v20, 16, v20
	v_and_or_b32 v3, v3, s47, v20
	global_store_dwordx4 v[0:1], v[2:5], off glc slc
	s_waitcnt vmcnt(1)
	v_add_co_u32_e32 v0, vcc, v0, v19
	buffer_load_dword v19, off, s[0:3], s33 offset:424 ; 4-byte Folded Reload
	s_waitcnt vmcnt(0)
	v_addc_co_u32_e32 v1, vcc, v1, v19, vcc
.LBB12_947:                             ;   in Loop: Header=BB12_913 Depth=3
	s_or_b64 exec, exec, s[30:31]
	buffer_load_dword v19, off, s[0:3], s33 offset:420 ; 4-byte Folded Reload
	s_waitcnt vmcnt(0)
	v_add_co_u32_e32 v10, vcc, v10, v19
	buffer_load_dword v19, off, s[0:3], s33 offset:424 ; 4-byte Folded Reload
	s_waitcnt vmcnt(0)
	v_addc_co_u32_e32 v11, vcc, v11, v19, vcc
	buffer_load_dword v19, off, s[0:3], s33 offset:384 ; 4-byte Folded Reload
	s_waitcnt vmcnt(0)
	v_sub_u32_e32 v17, v17, v19
	v_cmp_lt_i32_e64 s[94:95], 15, v17
	s_and_saveexec_b64 s[30:31], s[94:95]
	s_cbranch_execz .LBB12_949
; %bb.948:                              ;   in Loop: Header=BB12_913 Depth=3
	global_load_dwordx4 v[2:5], v[10:11], off glc slc
	v_add_co_u32_e32 v10, vcc, 0x400, v10
	v_addc_co_u32_e32 v11, vcc, 0, v11, vcc
.LBB12_949:                             ;   in Loop: Header=BB12_913 Depth=3
	s_or_b64 exec, exec, s[30:31]
	v_lshlrev_b32_e32 v19, 16, v6
	v_mul_f32_e32 v20, v18, v19
	v_and_b32_e32 v19, 0x7f800000, v20
	v_cmp_ne_u32_e32 vcc, s97, v19
                                        ; implicit-def: $vgpr19
	s_and_saveexec_b64 s[30:31], vcc
	s_xor_b64 vcc, exec, s[30:31]
; %bb.950:                              ;   in Loop: Header=BB12_913 Depth=3
	v_bfe_u32 v19, v20, 16, 1
	v_add3_u32 v19, v20, v19, s46
                                        ; implicit-def: $vgpr20
; %bb.951:                              ;   in Loop: Header=BB12_913 Depth=3
	s_andn2_saveexec_b64 s[30:31], vcc
	s_cbranch_execz .LBB12_953
; %bb.952:                              ;   in Loop: Header=BB12_913 Depth=3
	buffer_load_dword v21, off, s[0:3], s33 offset:128 ; 4-byte Folded Reload
	buffer_load_dword v22, off, s[0:3], s33 offset:132 ; 4-byte Folded Reload
	v_or_b32_e32 v19, 0x10000, v20
	s_waitcnt vmcnt(1)
	v_cmp_eq_u32_sdwa vcc, v20, v21 src0_sel:WORD_0 src1_sel:DWORD
	v_cndmask_b32_e32 v19, v19, v20, vcc
.LBB12_953:                             ;   in Loop: Header=BB12_913 Depth=3
	s_or_b64 exec, exec, s[30:31]
	v_and_b32_e32 v6, 0xffff0000, v6
	v_mul_f32_e32 v20, v18, v6
	v_and_b32_e32 v6, 0x7f800000, v20
	v_cmp_ne_u32_e32 vcc, s97, v6
                                        ; implicit-def: $vgpr6
	s_and_saveexec_b64 s[30:31], vcc
	s_xor_b64 vcc, exec, s[30:31]
; %bb.954:                              ;   in Loop: Header=BB12_913 Depth=3
	v_bfe_u32 v6, v20, 16, 1
	v_add3_u32 v6, v20, v6, s46
                                        ; implicit-def: $vgpr20
; %bb.955:                              ;   in Loop: Header=BB12_913 Depth=3
	s_andn2_saveexec_b64 s[30:31], vcc
	s_cbranch_execz .LBB12_957
; %bb.956:                              ;   in Loop: Header=BB12_913 Depth=3
	buffer_load_dword v21, off, s[0:3], s33 offset:128 ; 4-byte Folded Reload
	buffer_load_dword v22, off, s[0:3], s33 offset:132 ; 4-byte Folded Reload
	v_or_b32_e32 v6, 0x10000, v20
	s_waitcnt vmcnt(1)
	v_cmp_eq_u32_sdwa vcc, v20, v21 src0_sel:WORD_0 src1_sel:DWORD
	v_cndmask_b32_e32 v6, v6, v20, vcc
.LBB12_957:                             ;   in Loop: Header=BB12_913 Depth=3
	s_or_b64 exec, exec, s[30:31]
	v_lshlrev_b32_e32 v20, 16, v7
	v_mul_f32_e32 v21, v18, v20
	v_and_b32_e32 v20, 0x7f800000, v21
	v_cmp_ne_u32_e32 vcc, s97, v20
                                        ; implicit-def: $vgpr20
	s_and_saveexec_b64 s[30:31], vcc
	s_xor_b64 vcc, exec, s[30:31]
; %bb.958:                              ;   in Loop: Header=BB12_913 Depth=3
	v_bfe_u32 v20, v21, 16, 1
	v_add3_u32 v20, v21, v20, s46
                                        ; implicit-def: $vgpr21
; %bb.959:                              ;   in Loop: Header=BB12_913 Depth=3
	s_andn2_saveexec_b64 s[30:31], vcc
	s_cbranch_execz .LBB12_961
; %bb.960:                              ;   in Loop: Header=BB12_913 Depth=3
	buffer_load_dword v22, off, s[0:3], s33 offset:128 ; 4-byte Folded Reload
	buffer_load_dword v23, off, s[0:3], s33 offset:132 ; 4-byte Folded Reload
	v_or_b32_e32 v20, 0x10000, v21
	s_waitcnt vmcnt(1)
	v_cmp_eq_u32_sdwa vcc, v21, v22 src0_sel:WORD_0 src1_sel:DWORD
	v_cndmask_b32_e32 v20, v20, v21, vcc
.LBB12_961:                             ;   in Loop: Header=BB12_913 Depth=3
	s_or_b64 exec, exec, s[30:31]
	v_and_b32_e32 v7, 0xffff0000, v7
	v_mul_f32_e32 v21, v18, v7
	v_and_b32_e32 v7, 0x7f800000, v21
	v_cmp_ne_u32_e32 vcc, s97, v7
                                        ; implicit-def: $vgpr7
	s_and_saveexec_b64 s[30:31], vcc
	s_xor_b64 vcc, exec, s[30:31]
; %bb.962:                              ;   in Loop: Header=BB12_913 Depth=3
	v_bfe_u32 v7, v21, 16, 1
	v_add3_u32 v7, v21, v7, s46
                                        ; implicit-def: $vgpr21
; %bb.963:                              ;   in Loop: Header=BB12_913 Depth=3
	s_andn2_saveexec_b64 s[30:31], vcc
	s_cbranch_execz .LBB12_965
; %bb.964:                              ;   in Loop: Header=BB12_913 Depth=3
	buffer_load_dword v22, off, s[0:3], s33 offset:128 ; 4-byte Folded Reload
	buffer_load_dword v23, off, s[0:3], s33 offset:132 ; 4-byte Folded Reload
	v_or_b32_e32 v7, 0x10000, v21
	s_waitcnt vmcnt(1)
	v_cmp_eq_u32_sdwa vcc, v21, v22 src0_sel:WORD_0 src1_sel:DWORD
	v_cndmask_b32_e32 v7, v7, v21, vcc
.LBB12_965:                             ;   in Loop: Header=BB12_913 Depth=3
	s_or_b64 exec, exec, s[30:31]
	v_lshlrev_b32_e32 v21, 16, v8
	s_waitcnt vmcnt(0)
	v_mul_f32_e32 v22, v18, v21
	v_and_b32_e32 v21, 0x7f800000, v22
	v_cmp_ne_u32_e32 vcc, s97, v21
                                        ; implicit-def: $vgpr21
	s_and_saveexec_b64 s[30:31], vcc
	s_xor_b64 vcc, exec, s[30:31]
; %bb.966:                              ;   in Loop: Header=BB12_913 Depth=3
	v_bfe_u32 v21, v22, 16, 1
	v_add3_u32 v21, v22, v21, s46
                                        ; implicit-def: $vgpr22
; %bb.967:                              ;   in Loop: Header=BB12_913 Depth=3
	s_andn2_saveexec_b64 s[30:31], vcc
	s_cbranch_execz .LBB12_969
; %bb.968:                              ;   in Loop: Header=BB12_913 Depth=3
	buffer_load_dword v23, off, s[0:3], s33 offset:128 ; 4-byte Folded Reload
	buffer_load_dword v24, off, s[0:3], s33 offset:132 ; 4-byte Folded Reload
	v_or_b32_e32 v21, 0x10000, v22
	s_waitcnt vmcnt(1)
	v_cmp_eq_u32_sdwa vcc, v22, v23 src0_sel:WORD_0 src1_sel:DWORD
	v_cndmask_b32_e32 v21, v21, v22, vcc
.LBB12_969:                             ;   in Loop: Header=BB12_913 Depth=3
	s_or_b64 exec, exec, s[30:31]
	v_and_b32_e32 v8, 0xffff0000, v8
	v_mul_f32_e32 v22, v18, v8
	v_and_b32_e32 v8, 0x7f800000, v22
	v_cmp_ne_u32_e32 vcc, s97, v8
                                        ; implicit-def: $vgpr8
	s_and_saveexec_b64 s[30:31], vcc
	s_xor_b64 vcc, exec, s[30:31]
; %bb.970:                              ;   in Loop: Header=BB12_913 Depth=3
	v_bfe_u32 v8, v22, 16, 1
	v_add3_u32 v8, v22, v8, s46
                                        ; implicit-def: $vgpr22
; %bb.971:                              ;   in Loop: Header=BB12_913 Depth=3
	s_andn2_saveexec_b64 s[30:31], vcc
	s_cbranch_execz .LBB12_973
; %bb.972:                              ;   in Loop: Header=BB12_913 Depth=3
	buffer_load_dword v23, off, s[0:3], s33 offset:128 ; 4-byte Folded Reload
	buffer_load_dword v24, off, s[0:3], s33 offset:132 ; 4-byte Folded Reload
	v_or_b32_e32 v8, 0x10000, v22
	s_waitcnt vmcnt(1)
	v_cmp_eq_u32_sdwa vcc, v22, v23 src0_sel:WORD_0 src1_sel:DWORD
	v_cndmask_b32_e32 v8, v8, v22, vcc
.LBB12_973:                             ;   in Loop: Header=BB12_913 Depth=3
	s_or_b64 exec, exec, s[30:31]
	v_lshlrev_b32_e32 v22, 16, v9
	v_mul_f32_e32 v23, v18, v22
	v_and_b32_e32 v22, 0x7f800000, v23
	v_cmp_ne_u32_e32 vcc, s97, v22
                                        ; implicit-def: $vgpr22
	s_and_saveexec_b64 s[30:31], vcc
	s_xor_b64 vcc, exec, s[30:31]
; %bb.974:                              ;   in Loop: Header=BB12_913 Depth=3
	v_bfe_u32 v22, v23, 16, 1
	v_add3_u32 v22, v23, v22, s46
                                        ; implicit-def: $vgpr23
; %bb.975:                              ;   in Loop: Header=BB12_913 Depth=3
	s_andn2_saveexec_b64 s[30:31], vcc
	s_cbranch_execz .LBB12_977
; %bb.976:                              ;   in Loop: Header=BB12_913 Depth=3
	buffer_load_dword v24, off, s[0:3], s33 offset:128 ; 4-byte Folded Reload
	buffer_load_dword v25, off, s[0:3], s33 offset:132 ; 4-byte Folded Reload
	v_or_b32_e32 v22, 0x10000, v23
	s_waitcnt vmcnt(1)
	v_cmp_eq_u32_sdwa vcc, v23, v24 src0_sel:WORD_0 src1_sel:DWORD
	v_cndmask_b32_e32 v22, v22, v23, vcc
.LBB12_977:                             ;   in Loop: Header=BB12_913 Depth=3
	s_or_b64 exec, exec, s[30:31]
	v_and_b32_e32 v9, 0xffff0000, v9
	v_mul_f32_e32 v23, v18, v9
	v_and_b32_e32 v9, 0x7f800000, v23
	v_cmp_ne_u32_e32 vcc, s97, v9
                                        ; implicit-def: $vgpr9
	s_and_saveexec_b64 s[30:31], vcc
	s_xor_b64 vcc, exec, s[30:31]
; %bb.978:                              ;   in Loop: Header=BB12_913 Depth=3
	v_bfe_u32 v9, v23, 16, 1
	v_add3_u32 v9, v23, v9, s46
                                        ; implicit-def: $vgpr23
; %bb.979:                              ;   in Loop: Header=BB12_913 Depth=3
	s_andn2_saveexec_b64 s[30:31], vcc
	s_cbranch_execz .LBB12_981
; %bb.980:                              ;   in Loop: Header=BB12_913 Depth=3
	buffer_load_dword v24, off, s[0:3], s33 offset:128 ; 4-byte Folded Reload
	buffer_load_dword v25, off, s[0:3], s33 offset:132 ; 4-byte Folded Reload
	v_or_b32_e32 v9, 0x10000, v23
	s_waitcnt vmcnt(1)
	v_cmp_eq_u32_sdwa vcc, v23, v24 src0_sel:WORD_0 src1_sel:DWORD
	v_cndmask_b32_e32 v9, v9, v23, vcc
.LBB12_981:                             ;   in Loop: Header=BB12_913 Depth=3
	s_or_b64 exec, exec, s[30:31]
	buffer_load_dword v23, off, s[0:3], s33 offset:152 ; 4-byte Folded Reload
	v_lshrrev_b32_e32 v19, 16, v19
	v_and_or_b32 v6, v6, s47, v19
	v_lshrrev_b32_e32 v19, 16, v21
	v_lshrrev_b32_e32 v20, 16, v20
	v_and_or_b32 v8, v8, s47, v19
	v_lshrrev_b32_e32 v19, 16, v22
	v_and_or_b32 v7, v7, s47, v20
	v_and_or_b32 v9, v9, s47, v19
	global_store_dwordx4 v[0:1], v[6:9], off glc slc
	v_add_co_u32_e32 v0, vcc, 0x400, v0
	v_addc_co_u32_e32 v1, vcc, 0, v1, vcc
	s_waitcnt vmcnt(1)
	v_sub_u32_e32 v15, v15, v23
	s_and_saveexec_b64 s[30:31], s[94:95]
	s_cbranch_execz .LBB12_912
; %bb.982:                              ;   in Loop: Header=BB12_913 Depth=3
	buffer_load_dword v6, off, s[0:3], s33 offset:152 ; 4-byte Folded Reload
	buffer_load_dword v7, off, s[0:3], s33 offset:416 ; 4-byte Folded Reload
	s_waitcnt vmcnt(1)
	v_sub_u32_e32 v15, v15, v6
	buffer_load_dword v6, off, s[0:3], s33 offset:384 ; 4-byte Folded Reload
	s_waitcnt vmcnt(0)
	v_sub_u32_e32 v17, v17, v6
	buffer_load_dword v6, off, s[0:3], s33 offset:412 ; 4-byte Folded Reload
	s_waitcnt vmcnt(0)
	v_add_co_u32_e32 v10, vcc, v10, v6
	v_addc_co_u32_e32 v11, vcc, v11, v7, vcc
	v_add_co_u32_e32 v0, vcc, v0, v6
	v_addc_co_u32_e32 v1, vcc, v1, v7, vcc
	s_branch .LBB12_912
.LBB12_983:                             ;   in Loop: Header=BB12_57 Depth=2
	s_or_b64 exec, exec, s[90:91]
	s_and_b64 s[90:91], s[92:93], exec
.LBB12_984:                             ;   in Loop: Header=BB12_57 Depth=2
	s_or_b64 exec, exec, s[88:89]
	s_and_saveexec_b64 s[88:89], s[90:91]
	s_cbranch_execz .LBB12_1018
; %bb.985:                              ;   in Loop: Header=BB12_57 Depth=2
	s_trap 2
	ds_read_b32 v6, v0
	s_waitcnt lgkmcnt(0)
	v_lshlrev_b32_e32 v7, 16, v6
	v_lshlrev_b32_e32 v6, 16, v2
	v_mul_f32_e32 v8, v6, v7
	v_and_b32_e32 v6, 0x7f800000, v8
	v_cmp_ne_u32_e32 vcc, s97, v6
                                        ; implicit-def: $vgpr6
	s_and_saveexec_b64 s[90:91], vcc
	s_xor_b64 s[90:91], exec, s[90:91]
; %bb.986:                              ;   in Loop: Header=BB12_57 Depth=2
	v_bfe_u32 v6, v8, 16, 1
	v_add3_u32 v6, v8, v6, s46
                                        ; implicit-def: $vgpr8
; %bb.987:                              ;   in Loop: Header=BB12_57 Depth=2
	s_andn2_saveexec_b64 s[90:91], s[90:91]
	s_cbranch_execz .LBB12_989
; %bb.988:                              ;   in Loop: Header=BB12_57 Depth=2
	buffer_load_dword v9, off, s[0:3], s33 offset:128 ; 4-byte Folded Reload
	buffer_load_dword v10, off, s[0:3], s33 offset:132 ; 4-byte Folded Reload
	v_or_b32_e32 v6, 0x10000, v8
	s_waitcnt vmcnt(1)
	v_cmp_eq_u32_sdwa vcc, v8, v9 src0_sel:WORD_0 src1_sel:DWORD
	v_cndmask_b32_e32 v6, v6, v8, vcc
.LBB12_989:                             ;   in Loop: Header=BB12_57 Depth=2
	s_or_b64 exec, exec, s[90:91]
	v_and_b32_e32 v2, 0xffff0000, v2
	v_mul_f32_e32 v8, v2, v7
	v_and_b32_e32 v2, 0x7f800000, v8
	v_cmp_ne_u32_e32 vcc, s97, v2
                                        ; implicit-def: $vgpr2
	s_and_saveexec_b64 s[90:91], vcc
	s_xor_b64 s[90:91], exec, s[90:91]
; %bb.990:                              ;   in Loop: Header=BB12_57 Depth=2
	v_bfe_u32 v2, v8, 16, 1
	v_add3_u32 v2, v8, v2, s46
                                        ; implicit-def: $vgpr8
; %bb.991:                              ;   in Loop: Header=BB12_57 Depth=2
	s_andn2_saveexec_b64 s[90:91], s[90:91]
	s_cbranch_execz .LBB12_993
; %bb.992:                              ;   in Loop: Header=BB12_57 Depth=2
	buffer_load_dword v9, off, s[0:3], s33 offset:128 ; 4-byte Folded Reload
	buffer_load_dword v10, off, s[0:3], s33 offset:132 ; 4-byte Folded Reload
	v_or_b32_e32 v2, 0x10000, v8
	s_waitcnt vmcnt(1)
	v_cmp_eq_u32_sdwa vcc, v8, v9 src0_sel:WORD_0 src1_sel:DWORD
	v_cndmask_b32_e32 v2, v2, v8, vcc
.LBB12_993:                             ;   in Loop: Header=BB12_57 Depth=2
	s_or_b64 exec, exec, s[90:91]
	v_lshlrev_b32_e32 v8, 16, v3
	v_mul_f32_e32 v9, v8, v7
	v_and_b32_e32 v8, 0x7f800000, v9
	v_cmp_ne_u32_e32 vcc, s97, v8
                                        ; implicit-def: $vgpr8
	s_and_saveexec_b64 s[90:91], vcc
	s_xor_b64 s[90:91], exec, s[90:91]
; %bb.994:                              ;   in Loop: Header=BB12_57 Depth=2
	v_bfe_u32 v8, v9, 16, 1
	v_add3_u32 v8, v9, v8, s46
                                        ; implicit-def: $vgpr9
; %bb.995:                              ;   in Loop: Header=BB12_57 Depth=2
	s_andn2_saveexec_b64 s[90:91], s[90:91]
	s_cbranch_execz .LBB12_997
; %bb.996:                              ;   in Loop: Header=BB12_57 Depth=2
	buffer_load_dword v10, off, s[0:3], s33 offset:128 ; 4-byte Folded Reload
	buffer_load_dword v11, off, s[0:3], s33 offset:132 ; 4-byte Folded Reload
	v_or_b32_e32 v8, 0x10000, v9
	s_waitcnt vmcnt(1)
	v_cmp_eq_u32_sdwa vcc, v9, v10 src0_sel:WORD_0 src1_sel:DWORD
	v_cndmask_b32_e32 v8, v8, v9, vcc
.LBB12_997:                             ;   in Loop: Header=BB12_57 Depth=2
	s_or_b64 exec, exec, s[90:91]
	v_and_b32_e32 v3, 0xffff0000, v3
	v_mul_f32_e32 v9, v3, v7
	v_and_b32_e32 v3, 0x7f800000, v9
	v_cmp_ne_u32_e32 vcc, s97, v3
                                        ; implicit-def: $vgpr3
	s_and_saveexec_b64 s[90:91], vcc
	s_xor_b64 s[90:91], exec, s[90:91]
; %bb.998:                              ;   in Loop: Header=BB12_57 Depth=2
	v_bfe_u32 v3, v9, 16, 1
	v_add3_u32 v3, v9, v3, s46
                                        ; implicit-def: $vgpr9
; %bb.999:                              ;   in Loop: Header=BB12_57 Depth=2
	s_andn2_saveexec_b64 s[90:91], s[90:91]
	s_cbranch_execz .LBB12_1001
; %bb.1000:                             ;   in Loop: Header=BB12_57 Depth=2
	buffer_load_dword v10, off, s[0:3], s33 offset:128 ; 4-byte Folded Reload
	buffer_load_dword v11, off, s[0:3], s33 offset:132 ; 4-byte Folded Reload
	v_or_b32_e32 v3, 0x10000, v9
	s_waitcnt vmcnt(1)
	v_cmp_eq_u32_sdwa vcc, v9, v10 src0_sel:WORD_0 src1_sel:DWORD
	v_cndmask_b32_e32 v3, v3, v9, vcc
.LBB12_1001:                            ;   in Loop: Header=BB12_57 Depth=2
	s_or_b64 exec, exec, s[90:91]
	v_lshlrev_b32_e32 v9, 16, v4
	s_waitcnt vmcnt(0)
	v_mul_f32_e32 v10, v9, v7
	v_and_b32_e32 v9, 0x7f800000, v10
	v_cmp_ne_u32_e32 vcc, s97, v9
                                        ; implicit-def: $vgpr9
	s_and_saveexec_b64 s[90:91], vcc
	s_xor_b64 s[90:91], exec, s[90:91]
; %bb.1002:                             ;   in Loop: Header=BB12_57 Depth=2
	v_bfe_u32 v9, v10, 16, 1
	v_add3_u32 v9, v10, v9, s46
                                        ; implicit-def: $vgpr10
; %bb.1003:                             ;   in Loop: Header=BB12_57 Depth=2
	s_andn2_saveexec_b64 s[90:91], s[90:91]
	s_cbranch_execz .LBB12_1005
; %bb.1004:                             ;   in Loop: Header=BB12_57 Depth=2
	buffer_load_dword v17, off, s[0:3], s33 offset:128 ; 4-byte Folded Reload
	buffer_load_dword v18, off, s[0:3], s33 offset:132 ; 4-byte Folded Reload
	v_or_b32_e32 v9, 0x10000, v10
	s_waitcnt vmcnt(1)
	v_cmp_eq_u32_sdwa vcc, v10, v17 src0_sel:WORD_0 src1_sel:DWORD
	v_cndmask_b32_e32 v9, v9, v10, vcc
.LBB12_1005:                            ;   in Loop: Header=BB12_57 Depth=2
	s_or_b64 exec, exec, s[90:91]
	v_and_b32_e32 v4, 0xffff0000, v4
	v_mul_f32_e32 v10, v4, v7
	v_and_b32_e32 v4, 0x7f800000, v10
	v_cmp_ne_u32_e32 vcc, s97, v4
                                        ; implicit-def: $vgpr4
	s_and_saveexec_b64 s[90:91], vcc
	s_xor_b64 s[90:91], exec, s[90:91]
; %bb.1006:                             ;   in Loop: Header=BB12_57 Depth=2
	v_bfe_u32 v4, v10, 16, 1
	v_add3_u32 v4, v10, v4, s46
                                        ; implicit-def: $vgpr10
; %bb.1007:                             ;   in Loop: Header=BB12_57 Depth=2
	s_andn2_saveexec_b64 s[90:91], s[90:91]
	s_cbranch_execz .LBB12_1009
; %bb.1008:                             ;   in Loop: Header=BB12_57 Depth=2
	buffer_load_dword v17, off, s[0:3], s33 offset:128 ; 4-byte Folded Reload
	buffer_load_dword v18, off, s[0:3], s33 offset:132 ; 4-byte Folded Reload
	v_or_b32_e32 v4, 0x10000, v10
	s_waitcnt vmcnt(1)
	v_cmp_eq_u32_sdwa vcc, v10, v17 src0_sel:WORD_0 src1_sel:DWORD
	v_cndmask_b32_e32 v4, v4, v10, vcc
.LBB12_1009:                            ;   in Loop: Header=BB12_57 Depth=2
	s_or_b64 exec, exec, s[90:91]
	v_lshlrev_b32_e32 v10, 16, v5
	v_mul_f32_e32 v11, v10, v7
	v_and_b32_e32 v10, 0x7f800000, v11
	v_cmp_ne_u32_e32 vcc, s97, v10
                                        ; implicit-def: $vgpr10
	s_and_saveexec_b64 s[90:91], vcc
	s_xor_b64 s[90:91], exec, s[90:91]
; %bb.1010:                             ;   in Loop: Header=BB12_57 Depth=2
	v_bfe_u32 v10, v11, 16, 1
	v_add3_u32 v10, v11, v10, s46
                                        ; implicit-def: $vgpr11
; %bb.1011:                             ;   in Loop: Header=BB12_57 Depth=2
	s_andn2_saveexec_b64 s[90:91], s[90:91]
	s_cbranch_execz .LBB12_1013
; %bb.1012:                             ;   in Loop: Header=BB12_57 Depth=2
	buffer_load_dword v17, off, s[0:3], s33 offset:128 ; 4-byte Folded Reload
	buffer_load_dword v18, off, s[0:3], s33 offset:132 ; 4-byte Folded Reload
	v_or_b32_e32 v10, 0x10000, v11
	s_waitcnt vmcnt(1)
	v_cmp_eq_u32_sdwa vcc, v11, v17 src0_sel:WORD_0 src1_sel:DWORD
	v_cndmask_b32_e32 v10, v10, v11, vcc
.LBB12_1013:                            ;   in Loop: Header=BB12_57 Depth=2
	s_or_b64 exec, exec, s[90:91]
	v_and_b32_e32 v5, 0xffff0000, v5
	v_mul_f32_e32 v7, v5, v7
	v_and_b32_e32 v5, 0x7f800000, v7
	v_cmp_ne_u32_e32 vcc, s97, v5
                                        ; implicit-def: $vgpr5
	s_and_saveexec_b64 s[90:91], vcc
	s_xor_b64 s[90:91], exec, s[90:91]
; %bb.1014:                             ;   in Loop: Header=BB12_57 Depth=2
	v_bfe_u32 v5, v7, 16, 1
	v_add3_u32 v5, v7, v5, s46
                                        ; implicit-def: $vgpr7
; %bb.1015:                             ;   in Loop: Header=BB12_57 Depth=2
	s_andn2_saveexec_b64 s[90:91], s[90:91]
	s_cbranch_execz .LBB12_1017
; %bb.1016:                             ;   in Loop: Header=BB12_57 Depth=2
	buffer_load_dword v17, off, s[0:3], s33 offset:128 ; 4-byte Folded Reload
	buffer_load_dword v18, off, s[0:3], s33 offset:132 ; 4-byte Folded Reload
	v_or_b32_e32 v5, 0x10000, v7
	s_waitcnt vmcnt(1)
	v_cmp_eq_u32_sdwa vcc, v7, v17 src0_sel:WORD_0 src1_sel:DWORD
	v_cndmask_b32_e32 v5, v5, v7, vcc
.LBB12_1017:                            ;   in Loop: Header=BB12_57 Depth=2
	s_or_b64 exec, exec, s[90:91]
	v_lshrrev_b32_e32 v6, 16, v6
	v_and_or_b32 v2, v2, s47, v6
	v_lshrrev_b32_e32 v6, 16, v9
	v_lshrrev_b32_e32 v7, 16, v8
	v_and_or_b32 v4, v4, s47, v6
	v_lshrrev_b32_e32 v6, 16, v10
	v_and_or_b32 v3, v3, s47, v7
	v_and_or_b32 v5, v5, s47, v6
	global_store_dwordx4 v[0:1], v[2:5], off glc slc
.LBB12_1018:                            ;   in Loop: Header=BB12_57 Depth=2
	s_or_b64 exec, exec, s[88:89]
	buffer_load_dword v0, off, s[0:3], s33 offset:688 ; 4-byte Folded Reload
	s_mov_b64 s[90:91], s[76:77]
                                        ; implicit-def: $vgpr4
                                        ; implicit-def: $vgpr5
	s_waitcnt vmcnt(0)
	v_and_b32_e32 v1, 14, v0
	v_cndmask_b32_e64 v0, v16, v1, s[26:27]
	v_cmp_ne_u32_e32 vcc, 0, v0
	buffer_store_dword v0, off, s[0:3], s33 offset:688 ; 4-byte Folded Spill
                                        ; implicit-def: $vgpr0
	s_and_saveexec_b64 s[88:89], vcc
	s_cbranch_execz .LBB12_1020
; %bb.1019:                             ;   in Loop: Header=BB12_57 Depth=2
	v_sub_u32_e32 v0, v16, v1
	v_cndmask_b32_e64 v0, 0, v0, s[26:27]
	v_add3_u32 v4, v14, v12, v0
	buffer_load_dword v0, off, s[0:3], s33 offset:152 ; 4-byte Folded Reload
	v_cmp_lt_i32_e32 vcc, 0, v15
	s_or_b64 s[90:91], s[76:77], exec
	s_waitcnt vmcnt(0)
	v_cndmask_b32_e32 v0, 0, v0, vcc
	v_sub_u32_e32 v0, v0, v15
	v_lshl_add_u32 v0, v0, 6, v13
	v_ashrrev_i32_e32 v1, 31, v0
	v_lshrrev_b32_e32 v1, 26, v1
	v_add_u32_e32 v1, v0, v1
	v_and_b32_e32 v1, 0xffffffc0, v1
	v_sub_u32_e32 v5, v0, v1
.LBB12_1020:                            ;   in Loop: Header=BB12_57 Depth=2
	s_or_b64 exec, exec, s[88:89]
	s_andn2_b64 s[26:27], s[76:77], exec
	s_and_b64 s[76:77], s[90:91], exec
	s_or_b64 s[76:77], s[26:27], s[76:77]
.LBB12_1021:                            ;   in Loop: Header=BB12_57 Depth=2
	s_or_b64 exec, exec, s[78:79]
	s_and_saveexec_b64 s[26:27], s[76:77]
	s_cbranch_execz .LBB12_1246
.LBB12_1022:                            ;   in Loop: Header=BB12_57 Depth=2
	s_waitcnt vmcnt(1)
	v_ashrrev_i32_e32 v1, 31, v0
	v_lshrrev_b32_e32 v1, 26, v1
	v_add_u32_e32 v0, v0, v1
	v_ashrrev_i32_e32 v0, 6, v0
	v_lshlrev_b32_e32 v1, 11, v0
	s_waitcnt vmcnt(0)
	v_lshlrev_b32_e32 v2, 1, v5
	v_add3_u32 v9, v4, v2, v1
	buffer_load_dword v2, off, s[0:3], s33 offset:688 ; 4-byte Folded Reload
	v_ashrrev_i32_e32 v10, 31, v9
	v_mov_b32_e32 v8, 0
	s_mov_b64 s[78:79], 0
	v_mov_b32_e32 v34, 0
	v_mov_b32_e32 v32, 0
	;; [unrolled: 1-line block ×14, first 2 shown]
	s_waitcnt vmcnt(0)
	v_ashrrev_i32_e32 v1, 31, v2
	v_lshrrev_b32_e32 v1, 21, v1
	v_add_u32_e32 v1, v2, v1
	v_ashrrev_i32_e32 v6, 11, v1
	v_sub_u32_e32 v7, v6, v0
	buffer_load_dword v0, off, s[0:3], s33 offset:692 ; 4-byte Folded Reload
	buffer_load_dword v1, off, s[0:3], s33 offset:696 ; 4-byte Folded Reload
	v_mov_b32_e32 v2, 0
	s_waitcnt vmcnt(1)
	v_add_co_u32_e32 v0, vcc, v0, v9
	s_waitcnt vmcnt(0)
	v_addc_co_u32_e32 v1, vcc, v1, v10, vcc
	v_cmp_lt_i32_e32 vcc, 0, v7
	s_and_saveexec_b64 s[76:77], vcc
	s_cbranch_execz .LBB12_1158
; %bb.1023:                             ;   in Loop: Header=BB12_57 Depth=2
	s_trap 2
	ds_read_b32 v8, v0
	buffer_load_dword v2, off, s[0:3], s33 offset:700 ; 4-byte Folded Reload
	buffer_load_dword v3, off, s[0:3], s33 offset:704 ; 4-byte Folded Reload
	s_mov_b64 s[90:91], 0
	s_mov_b64 s[88:89], 0
                                        ; implicit-def: $sgpr78_sgpr79
                                        ; implicit-def: $vgpr37
                                        ; implicit-def: $vgpr35
                                        ; implicit-def: $vgpr33
                                        ; implicit-def: $vgpr31
                                        ; implicit-def: $vgpr29
                                        ; implicit-def: $vgpr27
                                        ; implicit-def: $vgpr25
                                        ; implicit-def: $vgpr23
                                        ; implicit-def: $vgpr21
                                        ; implicit-def: $vgpr19
                                        ; implicit-def: $vgpr17
                                        ; implicit-def: $vgpr15
                                        ; implicit-def: $vgpr13
                                        ; implicit-def: $vgpr11
	s_waitcnt lgkmcnt(0)
	v_lshlrev_b32_e32 v8, 16, v8
	s_waitcnt vmcnt(1)
	v_add_co_u32_e32 v2, vcc, v9, v2
	s_waitcnt vmcnt(0)
	v_addc_co_u32_e32 v3, vcc, v10, v3, vcc
                                        ; implicit-def: $vgpr10
                                        ; implicit-def: $vgpr9
	s_branch .LBB12_1025
.LBB12_1024:                            ;   in Loop: Header=BB12_1025 Depth=3
	s_or_b64 exec, exec, s[92:93]
	flat_store_short_d16_hi v[0:1], v48 glc slc
	flat_store_short_d16_hi v[0:1], v39 offset:128 glc slc
	flat_store_short_d16_hi v[0:1], v38 offset:256 glc slc
	;; [unrolled: 1-line block ×15, first 2 shown]
	buffer_load_dword v38, off, s[0:3], s33 offset:272 ; 4-byte Folded Reload
	buffer_load_dword v39, off, s[0:3], s33 offset:276 ; 4-byte Folded Reload
	v_mov_b32_e32 v16, 0x800
	s_waitcnt vmcnt(0)
	v_cndmask_b32_e64 v14, 0, v38, s[90:91]
	v_cndmask_b32_e64 v12, 0, v39, s[90:91]
	v_add_co_u32_e32 v2, vcc, v2, v14
	v_addc_co_u32_e32 v3, vcc, v3, v12, vcc
	buffer_load_dword v12, off, s[0:3], s33 offset:236 ; 4-byte Folded Reload
	buffer_load_dword v14, off, s[0:3], s33 offset:232 ; 4-byte Folded Reload
	s_waitcnt vmcnt(0)
	v_cndmask_b32_e64 v12, 0, v12, s[90:91]
	v_cndmask_b32_e64 v14, v16, v14, s[90:91]
	v_add_co_u32_e32 v0, vcc, v0, v14
	v_addc_co_u32_e32 v1, vcc, v1, v12, vcc
	buffer_load_dword v12, off, s[0:3], s33 offset:152 ; 4-byte Folded Reload
	s_waitcnt vmcnt(0)
	v_cndmask_b32_e64 v12, 0, v12, s[90:91]
	v_sub_u32_e32 v7, v7, v12
	v_cmp_gt_i32_e32 vcc, 1, v7
	s_or_b64 s[88:89], vcc, s[88:89]
	s_andn2_b64 s[78:79], s[78:79], exec
	s_and_b64 s[92:93], s[90:91], exec
	s_or_b64 s[78:79], s[78:79], s[92:93]
	s_andn2_b64 exec, exec, s[88:89]
	s_cbranch_execz .LBB12_1157
.LBB12_1025:                            ;   Parent Loop BB12_47 Depth=1
                                        ;     Parent Loop BB12_57 Depth=2
                                        ; =>    This Inner Loop Header: Depth=3
	flat_load_ushort v48, v[2:3] glc slc
	flat_load_ushort v39, v[2:3] offset:128 glc slc
	flat_load_ushort v38, v[2:3] offset:256 glc slc
	;; [unrolled: 1-line block ×15, first 2 shown]
	s_and_saveexec_b64 s[92:93], s[90:91]
	s_cbranch_execz .LBB12_1091
; %bb.1026:                             ;   in Loop: Header=BB12_1025 Depth=3
	v_lshlrev_b32_e32 v37, 16, v37
	v_mul_f32_e32 v49, v8, v37
	v_and_b32_e32 v37, 0x7f800000, v49
	v_cmp_ne_u32_e32 vcc, s97, v37
                                        ; implicit-def: $vgpr37
	s_and_saveexec_b64 s[90:91], vcc
	s_xor_b64 s[90:91], exec, s[90:91]
; %bb.1027:                             ;   in Loop: Header=BB12_1025 Depth=3
	v_bfe_u32 v37, v49, 16, 1
	v_add3_u32 v37, v49, v37, s46
                                        ; implicit-def: $vgpr49
; %bb.1028:                             ;   in Loop: Header=BB12_1025 Depth=3
	s_andn2_saveexec_b64 s[90:91], s[90:91]
	s_cbranch_execz .LBB12_1030
; %bb.1029:                             ;   in Loop: Header=BB12_1025 Depth=3
	buffer_load_dword v50, off, s[0:3], s33 offset:128 ; 4-byte Folded Reload
	buffer_load_dword v51, off, s[0:3], s33 offset:132 ; 4-byte Folded Reload
	v_or_b32_e32 v37, 0x10000, v49
	s_waitcnt vmcnt(0)
	v_cmp_eq_u32_sdwa vcc, v49, v50 src0_sel:WORD_0 src1_sel:DWORD
	v_cndmask_b32_e32 v37, v37, v49, vcc
.LBB12_1030:                            ;   in Loop: Header=BB12_1025 Depth=3
	s_or_b64 exec, exec, s[90:91]
	v_lshlrev_b32_e32 v35, 16, v35
	v_mul_f32_e32 v49, v8, v35
	v_and_b32_e32 v35, 0x7f800000, v49
	v_cmp_ne_u32_e32 vcc, s97, v35
                                        ; implicit-def: $vgpr35
	s_and_saveexec_b64 s[90:91], vcc
	s_xor_b64 s[90:91], exec, s[90:91]
; %bb.1031:                             ;   in Loop: Header=BB12_1025 Depth=3
	v_bfe_u32 v35, v49, 16, 1
	v_add3_u32 v35, v49, v35, s46
                                        ; implicit-def: $vgpr49
; %bb.1032:                             ;   in Loop: Header=BB12_1025 Depth=3
	s_andn2_saveexec_b64 s[90:91], s[90:91]
	s_cbranch_execz .LBB12_1034
; %bb.1033:                             ;   in Loop: Header=BB12_1025 Depth=3
	buffer_load_dword v50, off, s[0:3], s33 offset:128 ; 4-byte Folded Reload
	buffer_load_dword v51, off, s[0:3], s33 offset:132 ; 4-byte Folded Reload
	v_or_b32_e32 v35, 0x10000, v49
	s_waitcnt vmcnt(0)
	v_cmp_eq_u32_sdwa vcc, v49, v50 src0_sel:WORD_0 src1_sel:DWORD
	v_cndmask_b32_e32 v35, v35, v49, vcc
.LBB12_1034:                            ;   in Loop: Header=BB12_1025 Depth=3
	s_or_b64 exec, exec, s[90:91]
	v_lshlrev_b32_e32 v33, 16, v33
	v_mul_f32_e32 v49, v8, v33
	v_and_b32_e32 v33, 0x7f800000, v49
	v_cmp_ne_u32_e32 vcc, s97, v33
                                        ; implicit-def: $vgpr33
	s_and_saveexec_b64 s[90:91], vcc
	s_xor_b64 s[90:91], exec, s[90:91]
; %bb.1035:                             ;   in Loop: Header=BB12_1025 Depth=3
	v_bfe_u32 v33, v49, 16, 1
	v_add3_u32 v33, v49, v33, s46
                                        ; implicit-def: $vgpr49
; %bb.1036:                             ;   in Loop: Header=BB12_1025 Depth=3
	s_andn2_saveexec_b64 s[90:91], s[90:91]
	s_cbranch_execz .LBB12_1038
; %bb.1037:                             ;   in Loop: Header=BB12_1025 Depth=3
	buffer_load_dword v50, off, s[0:3], s33 offset:128 ; 4-byte Folded Reload
	buffer_load_dword v51, off, s[0:3], s33 offset:132 ; 4-byte Folded Reload
	v_or_b32_e32 v33, 0x10000, v49
	s_waitcnt vmcnt(0)
	v_cmp_eq_u32_sdwa vcc, v49, v50 src0_sel:WORD_0 src1_sel:DWORD
	v_cndmask_b32_e32 v33, v33, v49, vcc
.LBB12_1038:                            ;   in Loop: Header=BB12_1025 Depth=3
	s_or_b64 exec, exec, s[90:91]
	v_lshlrev_b32_e32 v31, 16, v31
	v_mul_f32_e32 v49, v8, v31
	v_and_b32_e32 v31, 0x7f800000, v49
	v_cmp_ne_u32_e32 vcc, s97, v31
                                        ; implicit-def: $vgpr31
	s_and_saveexec_b64 s[90:91], vcc
	s_xor_b64 s[90:91], exec, s[90:91]
; %bb.1039:                             ;   in Loop: Header=BB12_1025 Depth=3
	v_bfe_u32 v31, v49, 16, 1
	v_add3_u32 v31, v49, v31, s46
                                        ; implicit-def: $vgpr49
; %bb.1040:                             ;   in Loop: Header=BB12_1025 Depth=3
	s_andn2_saveexec_b64 s[90:91], s[90:91]
	s_cbranch_execz .LBB12_1042
; %bb.1041:                             ;   in Loop: Header=BB12_1025 Depth=3
	buffer_load_dword v50, off, s[0:3], s33 offset:128 ; 4-byte Folded Reload
	buffer_load_dword v51, off, s[0:3], s33 offset:132 ; 4-byte Folded Reload
	v_or_b32_e32 v31, 0x10000, v49
	s_waitcnt vmcnt(0)
	v_cmp_eq_u32_sdwa vcc, v49, v50 src0_sel:WORD_0 src1_sel:DWORD
	v_cndmask_b32_e32 v31, v31, v49, vcc
.LBB12_1042:                            ;   in Loop: Header=BB12_1025 Depth=3
	s_or_b64 exec, exec, s[90:91]
	v_lshlrev_b32_e32 v29, 16, v29
	v_mul_f32_e32 v49, v8, v29
	v_and_b32_e32 v29, 0x7f800000, v49
	v_cmp_ne_u32_e32 vcc, s97, v29
                                        ; implicit-def: $vgpr29
	s_and_saveexec_b64 s[90:91], vcc
	s_xor_b64 s[90:91], exec, s[90:91]
; %bb.1043:                             ;   in Loop: Header=BB12_1025 Depth=3
	v_bfe_u32 v29, v49, 16, 1
	v_add3_u32 v29, v49, v29, s46
                                        ; implicit-def: $vgpr49
; %bb.1044:                             ;   in Loop: Header=BB12_1025 Depth=3
	s_andn2_saveexec_b64 s[90:91], s[90:91]
	s_cbranch_execz .LBB12_1046
; %bb.1045:                             ;   in Loop: Header=BB12_1025 Depth=3
	buffer_load_dword v50, off, s[0:3], s33 offset:128 ; 4-byte Folded Reload
	buffer_load_dword v51, off, s[0:3], s33 offset:132 ; 4-byte Folded Reload
	v_or_b32_e32 v29, 0x10000, v49
	s_waitcnt vmcnt(0)
	v_cmp_eq_u32_sdwa vcc, v49, v50 src0_sel:WORD_0 src1_sel:DWORD
	v_cndmask_b32_e32 v29, v29, v49, vcc
.LBB12_1046:                            ;   in Loop: Header=BB12_1025 Depth=3
	s_or_b64 exec, exec, s[90:91]
	v_lshlrev_b32_e32 v27, 16, v27
	v_mul_f32_e32 v49, v8, v27
	v_and_b32_e32 v27, 0x7f800000, v49
	v_cmp_ne_u32_e32 vcc, s97, v27
                                        ; implicit-def: $vgpr27
	s_and_saveexec_b64 s[90:91], vcc
	s_xor_b64 s[90:91], exec, s[90:91]
; %bb.1047:                             ;   in Loop: Header=BB12_1025 Depth=3
	v_bfe_u32 v27, v49, 16, 1
	v_add3_u32 v27, v49, v27, s46
                                        ; implicit-def: $vgpr49
; %bb.1048:                             ;   in Loop: Header=BB12_1025 Depth=3
	s_andn2_saveexec_b64 s[90:91], s[90:91]
	s_cbranch_execz .LBB12_1050
; %bb.1049:                             ;   in Loop: Header=BB12_1025 Depth=3
	buffer_load_dword v50, off, s[0:3], s33 offset:128 ; 4-byte Folded Reload
	buffer_load_dword v51, off, s[0:3], s33 offset:132 ; 4-byte Folded Reload
	v_or_b32_e32 v27, 0x10000, v49
	s_waitcnt vmcnt(0)
	v_cmp_eq_u32_sdwa vcc, v49, v50 src0_sel:WORD_0 src1_sel:DWORD
	v_cndmask_b32_e32 v27, v27, v49, vcc
.LBB12_1050:                            ;   in Loop: Header=BB12_1025 Depth=3
	s_or_b64 exec, exec, s[90:91]
	v_lshlrev_b32_e32 v25, 16, v25
	v_mul_f32_e32 v49, v8, v25
	v_and_b32_e32 v25, 0x7f800000, v49
	v_cmp_ne_u32_e32 vcc, s97, v25
                                        ; implicit-def: $vgpr25
	s_and_saveexec_b64 s[90:91], vcc
	s_xor_b64 s[90:91], exec, s[90:91]
; %bb.1051:                             ;   in Loop: Header=BB12_1025 Depth=3
	v_bfe_u32 v25, v49, 16, 1
	v_add3_u32 v25, v49, v25, s46
                                        ; implicit-def: $vgpr49
; %bb.1052:                             ;   in Loop: Header=BB12_1025 Depth=3
	s_andn2_saveexec_b64 s[90:91], s[90:91]
	s_cbranch_execz .LBB12_1054
; %bb.1053:                             ;   in Loop: Header=BB12_1025 Depth=3
	buffer_load_dword v50, off, s[0:3], s33 offset:128 ; 4-byte Folded Reload
	buffer_load_dword v51, off, s[0:3], s33 offset:132 ; 4-byte Folded Reload
	v_or_b32_e32 v25, 0x10000, v49
	s_waitcnt vmcnt(0)
	v_cmp_eq_u32_sdwa vcc, v49, v50 src0_sel:WORD_0 src1_sel:DWORD
	v_cndmask_b32_e32 v25, v25, v49, vcc
.LBB12_1054:                            ;   in Loop: Header=BB12_1025 Depth=3
	s_or_b64 exec, exec, s[90:91]
	v_lshlrev_b32_e32 v23, 16, v23
	v_mul_f32_e32 v49, v8, v23
	v_and_b32_e32 v23, 0x7f800000, v49
	v_cmp_ne_u32_e32 vcc, s97, v23
                                        ; implicit-def: $vgpr23
	s_and_saveexec_b64 s[90:91], vcc
	s_xor_b64 s[90:91], exec, s[90:91]
; %bb.1055:                             ;   in Loop: Header=BB12_1025 Depth=3
	v_bfe_u32 v23, v49, 16, 1
	v_add3_u32 v23, v49, v23, s46
                                        ; implicit-def: $vgpr49
; %bb.1056:                             ;   in Loop: Header=BB12_1025 Depth=3
	s_andn2_saveexec_b64 s[90:91], s[90:91]
	s_cbranch_execz .LBB12_1058
; %bb.1057:                             ;   in Loop: Header=BB12_1025 Depth=3
	buffer_load_dword v50, off, s[0:3], s33 offset:128 ; 4-byte Folded Reload
	buffer_load_dword v51, off, s[0:3], s33 offset:132 ; 4-byte Folded Reload
	v_or_b32_e32 v23, 0x10000, v49
	s_waitcnt vmcnt(0)
	v_cmp_eq_u32_sdwa vcc, v49, v50 src0_sel:WORD_0 src1_sel:DWORD
	v_cndmask_b32_e32 v23, v23, v49, vcc
.LBB12_1058:                            ;   in Loop: Header=BB12_1025 Depth=3
	s_or_b64 exec, exec, s[90:91]
	v_lshlrev_b32_e32 v21, 16, v21
	v_mul_f32_e32 v49, v8, v21
	v_and_b32_e32 v21, 0x7f800000, v49
	v_cmp_ne_u32_e32 vcc, s97, v21
                                        ; implicit-def: $vgpr21
	s_and_saveexec_b64 s[90:91], vcc
	s_xor_b64 s[90:91], exec, s[90:91]
; %bb.1059:                             ;   in Loop: Header=BB12_1025 Depth=3
	v_bfe_u32 v21, v49, 16, 1
	v_add3_u32 v21, v49, v21, s46
                                        ; implicit-def: $vgpr49
; %bb.1060:                             ;   in Loop: Header=BB12_1025 Depth=3
	s_andn2_saveexec_b64 s[90:91], s[90:91]
	s_cbranch_execz .LBB12_1062
; %bb.1061:                             ;   in Loop: Header=BB12_1025 Depth=3
	buffer_load_dword v50, off, s[0:3], s33 offset:128 ; 4-byte Folded Reload
	buffer_load_dword v51, off, s[0:3], s33 offset:132 ; 4-byte Folded Reload
	v_or_b32_e32 v21, 0x10000, v49
	s_waitcnt vmcnt(0)
	v_cmp_eq_u32_sdwa vcc, v49, v50 src0_sel:WORD_0 src1_sel:DWORD
	v_cndmask_b32_e32 v21, v21, v49, vcc
.LBB12_1062:                            ;   in Loop: Header=BB12_1025 Depth=3
	s_or_b64 exec, exec, s[90:91]
	v_lshlrev_b32_e32 v19, 16, v19
	v_mul_f32_e32 v49, v8, v19
	v_and_b32_e32 v19, 0x7f800000, v49
	v_cmp_ne_u32_e32 vcc, s97, v19
                                        ; implicit-def: $vgpr19
	s_and_saveexec_b64 s[90:91], vcc
	s_xor_b64 s[90:91], exec, s[90:91]
; %bb.1063:                             ;   in Loop: Header=BB12_1025 Depth=3
	v_bfe_u32 v19, v49, 16, 1
	v_add3_u32 v19, v49, v19, s46
                                        ; implicit-def: $vgpr49
; %bb.1064:                             ;   in Loop: Header=BB12_1025 Depth=3
	s_andn2_saveexec_b64 s[90:91], s[90:91]
	s_cbranch_execz .LBB12_1066
; %bb.1065:                             ;   in Loop: Header=BB12_1025 Depth=3
	buffer_load_dword v50, off, s[0:3], s33 offset:128 ; 4-byte Folded Reload
	buffer_load_dword v51, off, s[0:3], s33 offset:132 ; 4-byte Folded Reload
	v_or_b32_e32 v19, 0x10000, v49
	s_waitcnt vmcnt(0)
	v_cmp_eq_u32_sdwa vcc, v49, v50 src0_sel:WORD_0 src1_sel:DWORD
	v_cndmask_b32_e32 v19, v19, v49, vcc
.LBB12_1066:                            ;   in Loop: Header=BB12_1025 Depth=3
	s_or_b64 exec, exec, s[90:91]
	v_lshlrev_b32_e32 v17, 16, v17
	v_mul_f32_e32 v49, v8, v17
	v_and_b32_e32 v17, 0x7f800000, v49
	v_cmp_ne_u32_e32 vcc, s97, v17
                                        ; implicit-def: $vgpr17
	s_and_saveexec_b64 s[90:91], vcc
	s_xor_b64 s[90:91], exec, s[90:91]
; %bb.1067:                             ;   in Loop: Header=BB12_1025 Depth=3
	v_bfe_u32 v17, v49, 16, 1
	v_add3_u32 v17, v49, v17, s46
                                        ; implicit-def: $vgpr49
; %bb.1068:                             ;   in Loop: Header=BB12_1025 Depth=3
	s_andn2_saveexec_b64 s[90:91], s[90:91]
	s_cbranch_execz .LBB12_1070
; %bb.1069:                             ;   in Loop: Header=BB12_1025 Depth=3
	buffer_load_dword v50, off, s[0:3], s33 offset:128 ; 4-byte Folded Reload
	buffer_load_dword v51, off, s[0:3], s33 offset:132 ; 4-byte Folded Reload
	v_or_b32_e32 v17, 0x10000, v49
	s_waitcnt vmcnt(0)
	v_cmp_eq_u32_sdwa vcc, v49, v50 src0_sel:WORD_0 src1_sel:DWORD
	v_cndmask_b32_e32 v17, v17, v49, vcc
.LBB12_1070:                            ;   in Loop: Header=BB12_1025 Depth=3
	s_or_b64 exec, exec, s[90:91]
	v_lshlrev_b32_e32 v15, 16, v15
	v_mul_f32_e32 v49, v8, v15
	v_and_b32_e32 v15, 0x7f800000, v49
	v_cmp_ne_u32_e32 vcc, s97, v15
                                        ; implicit-def: $vgpr15
	s_and_saveexec_b64 s[90:91], vcc
	s_xor_b64 s[90:91], exec, s[90:91]
; %bb.1071:                             ;   in Loop: Header=BB12_1025 Depth=3
	v_bfe_u32 v15, v49, 16, 1
	v_add3_u32 v15, v49, v15, s46
                                        ; implicit-def: $vgpr49
; %bb.1072:                             ;   in Loop: Header=BB12_1025 Depth=3
	s_andn2_saveexec_b64 s[90:91], s[90:91]
	s_cbranch_execz .LBB12_1074
; %bb.1073:                             ;   in Loop: Header=BB12_1025 Depth=3
	buffer_load_dword v50, off, s[0:3], s33 offset:128 ; 4-byte Folded Reload
	buffer_load_dword v51, off, s[0:3], s33 offset:132 ; 4-byte Folded Reload
	v_or_b32_e32 v15, 0x10000, v49
	s_waitcnt vmcnt(0)
	v_cmp_eq_u32_sdwa vcc, v49, v50 src0_sel:WORD_0 src1_sel:DWORD
	v_cndmask_b32_e32 v15, v15, v49, vcc
.LBB12_1074:                            ;   in Loop: Header=BB12_1025 Depth=3
	s_or_b64 exec, exec, s[90:91]
	v_lshlrev_b32_e32 v13, 16, v13
	v_mul_f32_e32 v49, v8, v13
	v_and_b32_e32 v13, 0x7f800000, v49
	v_cmp_ne_u32_e32 vcc, s97, v13
                                        ; implicit-def: $vgpr13
	s_and_saveexec_b64 s[90:91], vcc
	s_xor_b64 s[90:91], exec, s[90:91]
; %bb.1075:                             ;   in Loop: Header=BB12_1025 Depth=3
	v_bfe_u32 v13, v49, 16, 1
	v_add3_u32 v13, v49, v13, s46
                                        ; implicit-def: $vgpr49
; %bb.1076:                             ;   in Loop: Header=BB12_1025 Depth=3
	s_andn2_saveexec_b64 s[90:91], s[90:91]
	s_cbranch_execz .LBB12_1078
; %bb.1077:                             ;   in Loop: Header=BB12_1025 Depth=3
	buffer_load_dword v50, off, s[0:3], s33 offset:128 ; 4-byte Folded Reload
	buffer_load_dword v51, off, s[0:3], s33 offset:132 ; 4-byte Folded Reload
	v_or_b32_e32 v13, 0x10000, v49
	s_waitcnt vmcnt(0)
	v_cmp_eq_u32_sdwa vcc, v49, v50 src0_sel:WORD_0 src1_sel:DWORD
	v_cndmask_b32_e32 v13, v13, v49, vcc
.LBB12_1078:                            ;   in Loop: Header=BB12_1025 Depth=3
	s_or_b64 exec, exec, s[90:91]
	v_lshlrev_b32_e32 v11, 16, v11
	v_mul_f32_e32 v49, v8, v11
	v_and_b32_e32 v11, 0x7f800000, v49
	v_cmp_ne_u32_e32 vcc, s97, v11
                                        ; implicit-def: $vgpr11
	s_and_saveexec_b64 s[90:91], vcc
	s_xor_b64 s[90:91], exec, s[90:91]
; %bb.1079:                             ;   in Loop: Header=BB12_1025 Depth=3
	v_bfe_u32 v11, v49, 16, 1
	v_add3_u32 v11, v49, v11, s46
                                        ; implicit-def: $vgpr49
; %bb.1080:                             ;   in Loop: Header=BB12_1025 Depth=3
	s_andn2_saveexec_b64 s[90:91], s[90:91]
	s_cbranch_execz .LBB12_1082
; %bb.1081:                             ;   in Loop: Header=BB12_1025 Depth=3
	buffer_load_dword v50, off, s[0:3], s33 offset:128 ; 4-byte Folded Reload
	buffer_load_dword v51, off, s[0:3], s33 offset:132 ; 4-byte Folded Reload
	v_or_b32_e32 v11, 0x10000, v49
	s_waitcnt vmcnt(0)
	v_cmp_eq_u32_sdwa vcc, v49, v50 src0_sel:WORD_0 src1_sel:DWORD
	v_cndmask_b32_e32 v11, v11, v49, vcc
.LBB12_1082:                            ;   in Loop: Header=BB12_1025 Depth=3
	s_or_b64 exec, exec, s[90:91]
	v_lshlrev_b32_e32 v10, 16, v10
	v_mul_f32_e32 v49, v8, v10
	v_and_b32_e32 v10, 0x7f800000, v49
	v_cmp_ne_u32_e32 vcc, s97, v10
                                        ; implicit-def: $vgpr10
	s_and_saveexec_b64 s[90:91], vcc
	s_xor_b64 s[90:91], exec, s[90:91]
; %bb.1083:                             ;   in Loop: Header=BB12_1025 Depth=3
	v_bfe_u32 v10, v49, 16, 1
	v_add3_u32 v10, v49, v10, s46
                                        ; implicit-def: $vgpr49
; %bb.1084:                             ;   in Loop: Header=BB12_1025 Depth=3
	s_andn2_saveexec_b64 s[90:91], s[90:91]
	s_cbranch_execz .LBB12_1086
; %bb.1085:                             ;   in Loop: Header=BB12_1025 Depth=3
	buffer_load_dword v50, off, s[0:3], s33 offset:128 ; 4-byte Folded Reload
	buffer_load_dword v51, off, s[0:3], s33 offset:132 ; 4-byte Folded Reload
	v_or_b32_e32 v10, 0x10000, v49
	s_waitcnt vmcnt(0)
	v_cmp_eq_u32_sdwa vcc, v49, v50 src0_sel:WORD_0 src1_sel:DWORD
	v_cndmask_b32_e32 v10, v10, v49, vcc
.LBB12_1086:                            ;   in Loop: Header=BB12_1025 Depth=3
	s_or_b64 exec, exec, s[90:91]
	v_lshlrev_b32_e32 v9, 16, v9
	v_mul_f32_e32 v49, v8, v9
	v_and_b32_e32 v9, 0x7f800000, v49
	v_cmp_ne_u32_e32 vcc, s97, v9
                                        ; implicit-def: $vgpr9
	s_and_saveexec_b64 s[90:91], vcc
	s_xor_b64 s[90:91], exec, s[90:91]
; %bb.1087:                             ;   in Loop: Header=BB12_1025 Depth=3
	v_bfe_u32 v9, v49, 16, 1
	v_add3_u32 v9, v49, v9, s46
                                        ; implicit-def: $vgpr49
; %bb.1088:                             ;   in Loop: Header=BB12_1025 Depth=3
	s_andn2_saveexec_b64 s[90:91], s[90:91]
	s_cbranch_execz .LBB12_1090
; %bb.1089:                             ;   in Loop: Header=BB12_1025 Depth=3
	buffer_load_dword v50, off, s[0:3], s33 offset:128 ; 4-byte Folded Reload
	buffer_load_dword v51, off, s[0:3], s33 offset:132 ; 4-byte Folded Reload
	v_or_b32_e32 v9, 0x10000, v49
	s_waitcnt vmcnt(0)
	v_cmp_eq_u32_sdwa vcc, v49, v50 src0_sel:WORD_0 src1_sel:DWORD
	v_cndmask_b32_e32 v9, v9, v49, vcc
.LBB12_1090:                            ;   in Loop: Header=BB12_1025 Depth=3
	s_or_b64 exec, exec, s[90:91]
	v_lshrrev_b32_e32 v37, 16, v37
	v_lshrrev_b32_e32 v10, 16, v10
	;; [unrolled: 1-line block ×16, first 2 shown]
	flat_store_short v[0:1], v37 glc slc
	flat_store_short v[0:1], v35 offset:128 glc slc
	flat_store_short v[0:1], v33 offset:256 glc slc
	;; [unrolled: 1-line block ×15, first 2 shown]
	buffer_load_dword v49, off, s[0:3], s33 offset:232 ; 4-byte Folded Reload
	s_waitcnt vmcnt(0)
	v_add_co_u32_e32 v0, vcc, v0, v49
	buffer_load_dword v49, off, s[0:3], s33 offset:236 ; 4-byte Folded Reload
	s_waitcnt vmcnt(0)
	v_addc_co_u32_e32 v1, vcc, v1, v49, vcc
.LBB12_1091:                            ;   in Loop: Header=BB12_1025 Depth=3
	s_or_b64 exec, exec, s[92:93]
	buffer_load_dword v49, off, s[0:3], s33 offset:232 ; 4-byte Folded Reload
	s_waitcnt vmcnt(0)
	v_add_co_u32_e32 v2, vcc, v2, v49
	buffer_load_dword v49, off, s[0:3], s33 offset:236 ; 4-byte Folded Reload
	s_waitcnt vmcnt(0)
	v_addc_co_u32_e32 v3, vcc, v3, v49, vcc
	buffer_load_dword v49, off, s[0:3], s33 offset:152 ; 4-byte Folded Reload
	s_waitcnt vmcnt(0)
	v_sub_u32_e32 v7, v7, v49
	v_cmp_lt_i32_e64 s[90:91], 0, v7
	s_and_saveexec_b64 s[92:93], s[90:91]
	s_cbranch_execz .LBB12_1093
; %bb.1092:                             ;   in Loop: Header=BB12_1025 Depth=3
	flat_load_ushort v37, v[2:3] glc slc
	flat_load_ushort v35, v[2:3] offset:128 glc slc
	flat_load_ushort v33, v[2:3] offset:256 glc slc
	;; [unrolled: 1-line block ×15, first 2 shown]
	v_add_co_u32_e32 v2, vcc, 0x800, v2
	v_addc_co_u32_e32 v3, vcc, 0, v3, vcc
.LBB12_1093:                            ;   in Loop: Header=BB12_1025 Depth=3
	s_or_b64 exec, exec, s[92:93]
	s_waitcnt lgkmcnt(0)
	v_lshlrev_b32_e32 v48, 16, v48
	v_mul_f32_e32 v49, v8, v48
	v_and_b32_e32 v48, 0x7f800000, v49
	v_cmp_ne_u32_e32 vcc, s97, v48
                                        ; implicit-def: $vgpr48
	s_and_saveexec_b64 s[92:93], vcc
	s_xor_b64 s[92:93], exec, s[92:93]
; %bb.1094:                             ;   in Loop: Header=BB12_1025 Depth=3
	v_bfe_u32 v48, v49, 16, 1
	v_add3_u32 v48, v49, v48, s46
                                        ; implicit-def: $vgpr49
; %bb.1095:                             ;   in Loop: Header=BB12_1025 Depth=3
	s_andn2_saveexec_b64 s[92:93], s[92:93]
	s_cbranch_execz .LBB12_1097
; %bb.1096:                             ;   in Loop: Header=BB12_1025 Depth=3
	buffer_load_dword v50, off, s[0:3], s33 offset:128 ; 4-byte Folded Reload
	buffer_load_dword v51, off, s[0:3], s33 offset:132 ; 4-byte Folded Reload
	v_or_b32_e32 v48, 0x10000, v49
	s_waitcnt vmcnt(0)
	v_cmp_eq_u32_sdwa vcc, v49, v50 src0_sel:WORD_0 src1_sel:DWORD
	v_cndmask_b32_e32 v48, v48, v49, vcc
.LBB12_1097:                            ;   in Loop: Header=BB12_1025 Depth=3
	s_or_b64 exec, exec, s[92:93]
	v_lshlrev_b32_e32 v39, 16, v39
	v_mul_f32_e32 v49, v8, v39
	v_and_b32_e32 v39, 0x7f800000, v49
	v_cmp_ne_u32_e32 vcc, s97, v39
                                        ; implicit-def: $vgpr39
	s_and_saveexec_b64 s[92:93], vcc
	s_xor_b64 s[92:93], exec, s[92:93]
; %bb.1098:                             ;   in Loop: Header=BB12_1025 Depth=3
	v_bfe_u32 v39, v49, 16, 1
	v_add3_u32 v39, v49, v39, s46
                                        ; implicit-def: $vgpr49
; %bb.1099:                             ;   in Loop: Header=BB12_1025 Depth=3
	s_andn2_saveexec_b64 s[92:93], s[92:93]
	s_cbranch_execz .LBB12_1101
; %bb.1100:                             ;   in Loop: Header=BB12_1025 Depth=3
	buffer_load_dword v50, off, s[0:3], s33 offset:128 ; 4-byte Folded Reload
	buffer_load_dword v51, off, s[0:3], s33 offset:132 ; 4-byte Folded Reload
	v_or_b32_e32 v39, 0x10000, v49
	s_waitcnt vmcnt(0)
	v_cmp_eq_u32_sdwa vcc, v49, v50 src0_sel:WORD_0 src1_sel:DWORD
	v_cndmask_b32_e32 v39, v39, v49, vcc
.LBB12_1101:                            ;   in Loop: Header=BB12_1025 Depth=3
	s_or_b64 exec, exec, s[92:93]
	v_lshlrev_b32_e32 v38, 16, v38
	v_mul_f32_e32 v49, v8, v38
	v_and_b32_e32 v38, 0x7f800000, v49
	v_cmp_ne_u32_e32 vcc, s97, v38
                                        ; implicit-def: $vgpr38
	s_and_saveexec_b64 s[92:93], vcc
	s_xor_b64 s[92:93], exec, s[92:93]
; %bb.1102:                             ;   in Loop: Header=BB12_1025 Depth=3
	v_bfe_u32 v38, v49, 16, 1
	v_add3_u32 v38, v49, v38, s46
                                        ; implicit-def: $vgpr49
; %bb.1103:                             ;   in Loop: Header=BB12_1025 Depth=3
	s_andn2_saveexec_b64 s[92:93], s[92:93]
	s_cbranch_execz .LBB12_1105
; %bb.1104:                             ;   in Loop: Header=BB12_1025 Depth=3
	buffer_load_dword v50, off, s[0:3], s33 offset:128 ; 4-byte Folded Reload
	buffer_load_dword v51, off, s[0:3], s33 offset:132 ; 4-byte Folded Reload
	v_or_b32_e32 v38, 0x10000, v49
	s_waitcnt vmcnt(0)
	v_cmp_eq_u32_sdwa vcc, v49, v50 src0_sel:WORD_0 src1_sel:DWORD
	v_cndmask_b32_e32 v38, v38, v49, vcc
.LBB12_1105:                            ;   in Loop: Header=BB12_1025 Depth=3
	s_or_b64 exec, exec, s[92:93]
	v_lshlrev_b32_e32 v36, 16, v36
	v_mul_f32_e32 v49, v8, v36
	v_and_b32_e32 v36, 0x7f800000, v49
	v_cmp_ne_u32_e32 vcc, s97, v36
                                        ; implicit-def: $vgpr36
	s_and_saveexec_b64 s[92:93], vcc
	s_xor_b64 s[92:93], exec, s[92:93]
; %bb.1106:                             ;   in Loop: Header=BB12_1025 Depth=3
	v_bfe_u32 v36, v49, 16, 1
	v_add3_u32 v36, v49, v36, s46
                                        ; implicit-def: $vgpr49
; %bb.1107:                             ;   in Loop: Header=BB12_1025 Depth=3
	s_andn2_saveexec_b64 s[92:93], s[92:93]
	s_cbranch_execz .LBB12_1109
; %bb.1108:                             ;   in Loop: Header=BB12_1025 Depth=3
	buffer_load_dword v50, off, s[0:3], s33 offset:128 ; 4-byte Folded Reload
	buffer_load_dword v51, off, s[0:3], s33 offset:132 ; 4-byte Folded Reload
	v_or_b32_e32 v36, 0x10000, v49
	s_waitcnt vmcnt(0)
	v_cmp_eq_u32_sdwa vcc, v49, v50 src0_sel:WORD_0 src1_sel:DWORD
	v_cndmask_b32_e32 v36, v36, v49, vcc
.LBB12_1109:                            ;   in Loop: Header=BB12_1025 Depth=3
	s_or_b64 exec, exec, s[92:93]
	v_lshlrev_b32_e32 v34, 16, v34
	v_mul_f32_e32 v49, v8, v34
	v_and_b32_e32 v34, 0x7f800000, v49
	v_cmp_ne_u32_e32 vcc, s97, v34
                                        ; implicit-def: $vgpr34
	s_and_saveexec_b64 s[92:93], vcc
	s_xor_b64 s[92:93], exec, s[92:93]
; %bb.1110:                             ;   in Loop: Header=BB12_1025 Depth=3
	v_bfe_u32 v34, v49, 16, 1
	v_add3_u32 v34, v49, v34, s46
                                        ; implicit-def: $vgpr49
; %bb.1111:                             ;   in Loop: Header=BB12_1025 Depth=3
	s_andn2_saveexec_b64 s[92:93], s[92:93]
	s_cbranch_execz .LBB12_1113
; %bb.1112:                             ;   in Loop: Header=BB12_1025 Depth=3
	buffer_load_dword v50, off, s[0:3], s33 offset:128 ; 4-byte Folded Reload
	buffer_load_dword v51, off, s[0:3], s33 offset:132 ; 4-byte Folded Reload
	v_or_b32_e32 v34, 0x10000, v49
	s_waitcnt vmcnt(0)
	v_cmp_eq_u32_sdwa vcc, v49, v50 src0_sel:WORD_0 src1_sel:DWORD
	v_cndmask_b32_e32 v34, v34, v49, vcc
.LBB12_1113:                            ;   in Loop: Header=BB12_1025 Depth=3
	s_or_b64 exec, exec, s[92:93]
	v_lshlrev_b32_e32 v32, 16, v32
	v_mul_f32_e32 v49, v8, v32
	v_and_b32_e32 v32, 0x7f800000, v49
	v_cmp_ne_u32_e32 vcc, s97, v32
                                        ; implicit-def: $vgpr32
	s_and_saveexec_b64 s[92:93], vcc
	s_xor_b64 s[92:93], exec, s[92:93]
; %bb.1114:                             ;   in Loop: Header=BB12_1025 Depth=3
	v_bfe_u32 v32, v49, 16, 1
	v_add3_u32 v32, v49, v32, s46
                                        ; implicit-def: $vgpr49
; %bb.1115:                             ;   in Loop: Header=BB12_1025 Depth=3
	s_andn2_saveexec_b64 s[92:93], s[92:93]
	s_cbranch_execz .LBB12_1117
; %bb.1116:                             ;   in Loop: Header=BB12_1025 Depth=3
	buffer_load_dword v50, off, s[0:3], s33 offset:128 ; 4-byte Folded Reload
	buffer_load_dword v51, off, s[0:3], s33 offset:132 ; 4-byte Folded Reload
	v_or_b32_e32 v32, 0x10000, v49
	s_waitcnt vmcnt(0)
	v_cmp_eq_u32_sdwa vcc, v49, v50 src0_sel:WORD_0 src1_sel:DWORD
	v_cndmask_b32_e32 v32, v32, v49, vcc
.LBB12_1117:                            ;   in Loop: Header=BB12_1025 Depth=3
	s_or_b64 exec, exec, s[92:93]
	v_lshlrev_b32_e32 v30, 16, v30
	v_mul_f32_e32 v49, v8, v30
	v_and_b32_e32 v30, 0x7f800000, v49
	v_cmp_ne_u32_e32 vcc, s97, v30
                                        ; implicit-def: $vgpr30
	s_and_saveexec_b64 s[92:93], vcc
	s_xor_b64 s[92:93], exec, s[92:93]
; %bb.1118:                             ;   in Loop: Header=BB12_1025 Depth=3
	v_bfe_u32 v30, v49, 16, 1
	v_add3_u32 v30, v49, v30, s46
                                        ; implicit-def: $vgpr49
; %bb.1119:                             ;   in Loop: Header=BB12_1025 Depth=3
	s_andn2_saveexec_b64 s[92:93], s[92:93]
	s_cbranch_execz .LBB12_1121
; %bb.1120:                             ;   in Loop: Header=BB12_1025 Depth=3
	buffer_load_dword v50, off, s[0:3], s33 offset:128 ; 4-byte Folded Reload
	buffer_load_dword v51, off, s[0:3], s33 offset:132 ; 4-byte Folded Reload
	v_or_b32_e32 v30, 0x10000, v49
	s_waitcnt vmcnt(0)
	v_cmp_eq_u32_sdwa vcc, v49, v50 src0_sel:WORD_0 src1_sel:DWORD
	v_cndmask_b32_e32 v30, v30, v49, vcc
.LBB12_1121:                            ;   in Loop: Header=BB12_1025 Depth=3
	s_or_b64 exec, exec, s[92:93]
	v_lshlrev_b32_e32 v28, 16, v28
	v_mul_f32_e32 v49, v8, v28
	v_and_b32_e32 v28, 0x7f800000, v49
	v_cmp_ne_u32_e32 vcc, s97, v28
                                        ; implicit-def: $vgpr28
	s_and_saveexec_b64 s[92:93], vcc
	s_xor_b64 s[92:93], exec, s[92:93]
; %bb.1122:                             ;   in Loop: Header=BB12_1025 Depth=3
	v_bfe_u32 v28, v49, 16, 1
	v_add3_u32 v28, v49, v28, s46
                                        ; implicit-def: $vgpr49
; %bb.1123:                             ;   in Loop: Header=BB12_1025 Depth=3
	s_andn2_saveexec_b64 s[92:93], s[92:93]
	s_cbranch_execz .LBB12_1125
; %bb.1124:                             ;   in Loop: Header=BB12_1025 Depth=3
	buffer_load_dword v50, off, s[0:3], s33 offset:128 ; 4-byte Folded Reload
	buffer_load_dword v51, off, s[0:3], s33 offset:132 ; 4-byte Folded Reload
	v_or_b32_e32 v28, 0x10000, v49
	s_waitcnt vmcnt(0)
	v_cmp_eq_u32_sdwa vcc, v49, v50 src0_sel:WORD_0 src1_sel:DWORD
	v_cndmask_b32_e32 v28, v28, v49, vcc
.LBB12_1125:                            ;   in Loop: Header=BB12_1025 Depth=3
	s_or_b64 exec, exec, s[92:93]
	v_lshlrev_b32_e32 v26, 16, v26
	v_mul_f32_e32 v49, v8, v26
	v_and_b32_e32 v26, 0x7f800000, v49
	v_cmp_ne_u32_e32 vcc, s97, v26
                                        ; implicit-def: $vgpr26
	s_and_saveexec_b64 s[92:93], vcc
	s_xor_b64 s[92:93], exec, s[92:93]
; %bb.1126:                             ;   in Loop: Header=BB12_1025 Depth=3
	v_bfe_u32 v26, v49, 16, 1
	v_add3_u32 v26, v49, v26, s46
                                        ; implicit-def: $vgpr49
; %bb.1127:                             ;   in Loop: Header=BB12_1025 Depth=3
	s_andn2_saveexec_b64 s[92:93], s[92:93]
	s_cbranch_execz .LBB12_1129
; %bb.1128:                             ;   in Loop: Header=BB12_1025 Depth=3
	buffer_load_dword v50, off, s[0:3], s33 offset:128 ; 4-byte Folded Reload
	buffer_load_dword v51, off, s[0:3], s33 offset:132 ; 4-byte Folded Reload
	v_or_b32_e32 v26, 0x10000, v49
	s_waitcnt vmcnt(0)
	v_cmp_eq_u32_sdwa vcc, v49, v50 src0_sel:WORD_0 src1_sel:DWORD
	v_cndmask_b32_e32 v26, v26, v49, vcc
.LBB12_1129:                            ;   in Loop: Header=BB12_1025 Depth=3
	s_or_b64 exec, exec, s[92:93]
	v_lshlrev_b32_e32 v24, 16, v24
	v_mul_f32_e32 v49, v8, v24
	v_and_b32_e32 v24, 0x7f800000, v49
	v_cmp_ne_u32_e32 vcc, s97, v24
                                        ; implicit-def: $vgpr24
	s_and_saveexec_b64 s[92:93], vcc
	s_xor_b64 s[92:93], exec, s[92:93]
; %bb.1130:                             ;   in Loop: Header=BB12_1025 Depth=3
	v_bfe_u32 v24, v49, 16, 1
	v_add3_u32 v24, v49, v24, s46
                                        ; implicit-def: $vgpr49
; %bb.1131:                             ;   in Loop: Header=BB12_1025 Depth=3
	s_andn2_saveexec_b64 s[92:93], s[92:93]
	s_cbranch_execz .LBB12_1133
; %bb.1132:                             ;   in Loop: Header=BB12_1025 Depth=3
	buffer_load_dword v50, off, s[0:3], s33 offset:128 ; 4-byte Folded Reload
	buffer_load_dword v51, off, s[0:3], s33 offset:132 ; 4-byte Folded Reload
	v_or_b32_e32 v24, 0x10000, v49
	s_waitcnt vmcnt(0)
	v_cmp_eq_u32_sdwa vcc, v49, v50 src0_sel:WORD_0 src1_sel:DWORD
	v_cndmask_b32_e32 v24, v24, v49, vcc
.LBB12_1133:                            ;   in Loop: Header=BB12_1025 Depth=3
	s_or_b64 exec, exec, s[92:93]
	v_lshlrev_b32_e32 v22, 16, v22
	v_mul_f32_e32 v49, v8, v22
	v_and_b32_e32 v22, 0x7f800000, v49
	v_cmp_ne_u32_e32 vcc, s97, v22
                                        ; implicit-def: $vgpr22
	s_and_saveexec_b64 s[92:93], vcc
	s_xor_b64 s[92:93], exec, s[92:93]
; %bb.1134:                             ;   in Loop: Header=BB12_1025 Depth=3
	v_bfe_u32 v22, v49, 16, 1
	v_add3_u32 v22, v49, v22, s46
                                        ; implicit-def: $vgpr49
; %bb.1135:                             ;   in Loop: Header=BB12_1025 Depth=3
	s_andn2_saveexec_b64 s[92:93], s[92:93]
	s_cbranch_execz .LBB12_1137
; %bb.1136:                             ;   in Loop: Header=BB12_1025 Depth=3
	buffer_load_dword v50, off, s[0:3], s33 offset:128 ; 4-byte Folded Reload
	buffer_load_dword v51, off, s[0:3], s33 offset:132 ; 4-byte Folded Reload
	v_or_b32_e32 v22, 0x10000, v49
	s_waitcnt vmcnt(0)
	v_cmp_eq_u32_sdwa vcc, v49, v50 src0_sel:WORD_0 src1_sel:DWORD
	v_cndmask_b32_e32 v22, v22, v49, vcc
.LBB12_1137:                            ;   in Loop: Header=BB12_1025 Depth=3
	s_or_b64 exec, exec, s[92:93]
	v_lshlrev_b32_e32 v20, 16, v20
	v_mul_f32_e32 v49, v8, v20
	v_and_b32_e32 v20, 0x7f800000, v49
	v_cmp_ne_u32_e32 vcc, s97, v20
                                        ; implicit-def: $vgpr20
	s_and_saveexec_b64 s[92:93], vcc
	s_xor_b64 s[92:93], exec, s[92:93]
; %bb.1138:                             ;   in Loop: Header=BB12_1025 Depth=3
	v_bfe_u32 v20, v49, 16, 1
	v_add3_u32 v20, v49, v20, s46
                                        ; implicit-def: $vgpr49
; %bb.1139:                             ;   in Loop: Header=BB12_1025 Depth=3
	s_andn2_saveexec_b64 s[92:93], s[92:93]
	s_cbranch_execz .LBB12_1141
; %bb.1140:                             ;   in Loop: Header=BB12_1025 Depth=3
	buffer_load_dword v50, off, s[0:3], s33 offset:128 ; 4-byte Folded Reload
	buffer_load_dword v51, off, s[0:3], s33 offset:132 ; 4-byte Folded Reload
	v_or_b32_e32 v20, 0x10000, v49
	s_waitcnt vmcnt(0)
	v_cmp_eq_u32_sdwa vcc, v49, v50 src0_sel:WORD_0 src1_sel:DWORD
	v_cndmask_b32_e32 v20, v20, v49, vcc
.LBB12_1141:                            ;   in Loop: Header=BB12_1025 Depth=3
	s_or_b64 exec, exec, s[92:93]
	v_lshlrev_b32_e32 v18, 16, v18
	v_mul_f32_e32 v49, v8, v18
	v_and_b32_e32 v18, 0x7f800000, v49
	v_cmp_ne_u32_e32 vcc, s97, v18
                                        ; implicit-def: $vgpr18
	s_and_saveexec_b64 s[92:93], vcc
	s_xor_b64 s[92:93], exec, s[92:93]
; %bb.1142:                             ;   in Loop: Header=BB12_1025 Depth=3
	v_bfe_u32 v18, v49, 16, 1
	v_add3_u32 v18, v49, v18, s46
                                        ; implicit-def: $vgpr49
; %bb.1143:                             ;   in Loop: Header=BB12_1025 Depth=3
	s_andn2_saveexec_b64 s[92:93], s[92:93]
	s_cbranch_execz .LBB12_1145
; %bb.1144:                             ;   in Loop: Header=BB12_1025 Depth=3
	buffer_load_dword v50, off, s[0:3], s33 offset:128 ; 4-byte Folded Reload
	buffer_load_dword v51, off, s[0:3], s33 offset:132 ; 4-byte Folded Reload
	v_or_b32_e32 v18, 0x10000, v49
	s_waitcnt vmcnt(0)
	v_cmp_eq_u32_sdwa vcc, v49, v50 src0_sel:WORD_0 src1_sel:DWORD
	v_cndmask_b32_e32 v18, v18, v49, vcc
.LBB12_1145:                            ;   in Loop: Header=BB12_1025 Depth=3
	s_or_b64 exec, exec, s[92:93]
	v_lshlrev_b32_e32 v16, 16, v16
	v_mul_f32_e32 v49, v8, v16
	v_and_b32_e32 v16, 0x7f800000, v49
	v_cmp_ne_u32_e32 vcc, s97, v16
                                        ; implicit-def: $vgpr16
	s_and_saveexec_b64 s[92:93], vcc
	s_xor_b64 s[92:93], exec, s[92:93]
; %bb.1146:                             ;   in Loop: Header=BB12_1025 Depth=3
	v_bfe_u32 v16, v49, 16, 1
	v_add3_u32 v16, v49, v16, s46
                                        ; implicit-def: $vgpr49
; %bb.1147:                             ;   in Loop: Header=BB12_1025 Depth=3
	s_andn2_saveexec_b64 s[92:93], s[92:93]
	s_cbranch_execz .LBB12_1149
; %bb.1148:                             ;   in Loop: Header=BB12_1025 Depth=3
	buffer_load_dword v50, off, s[0:3], s33 offset:128 ; 4-byte Folded Reload
	buffer_load_dword v51, off, s[0:3], s33 offset:132 ; 4-byte Folded Reload
	v_or_b32_e32 v16, 0x10000, v49
	s_waitcnt vmcnt(0)
	v_cmp_eq_u32_sdwa vcc, v49, v50 src0_sel:WORD_0 src1_sel:DWORD
	v_cndmask_b32_e32 v16, v16, v49, vcc
.LBB12_1149:                            ;   in Loop: Header=BB12_1025 Depth=3
	s_or_b64 exec, exec, s[92:93]
	v_lshlrev_b32_e32 v14, 16, v14
	v_mul_f32_e32 v49, v8, v14
	v_and_b32_e32 v14, 0x7f800000, v49
	v_cmp_ne_u32_e32 vcc, s97, v14
                                        ; implicit-def: $vgpr14
	s_and_saveexec_b64 s[92:93], vcc
	s_xor_b64 s[92:93], exec, s[92:93]
; %bb.1150:                             ;   in Loop: Header=BB12_1025 Depth=3
	v_bfe_u32 v14, v49, 16, 1
	v_add3_u32 v14, v49, v14, s46
                                        ; implicit-def: $vgpr49
; %bb.1151:                             ;   in Loop: Header=BB12_1025 Depth=3
	s_andn2_saveexec_b64 s[92:93], s[92:93]
	s_cbranch_execz .LBB12_1153
; %bb.1152:                             ;   in Loop: Header=BB12_1025 Depth=3
	buffer_load_dword v50, off, s[0:3], s33 offset:128 ; 4-byte Folded Reload
	buffer_load_dword v51, off, s[0:3], s33 offset:132 ; 4-byte Folded Reload
	v_or_b32_e32 v14, 0x10000, v49
	s_waitcnt vmcnt(0)
	v_cmp_eq_u32_sdwa vcc, v49, v50 src0_sel:WORD_0 src1_sel:DWORD
	v_cndmask_b32_e32 v14, v14, v49, vcc
.LBB12_1153:                            ;   in Loop: Header=BB12_1025 Depth=3
	s_or_b64 exec, exec, s[92:93]
	v_lshlrev_b32_e32 v12, 16, v12
	v_mul_f32_e32 v49, v8, v12
	v_and_b32_e32 v12, 0x7f800000, v49
	v_cmp_ne_u32_e32 vcc, s97, v12
                                        ; implicit-def: $vgpr12
	s_and_saveexec_b64 s[92:93], vcc
	s_xor_b64 s[92:93], exec, s[92:93]
; %bb.1154:                             ;   in Loop: Header=BB12_1025 Depth=3
	v_bfe_u32 v12, v49, 16, 1
	v_add3_u32 v12, v49, v12, s46
                                        ; implicit-def: $vgpr49
; %bb.1155:                             ;   in Loop: Header=BB12_1025 Depth=3
	s_andn2_saveexec_b64 s[92:93], s[92:93]
	s_cbranch_execz .LBB12_1024
; %bb.1156:                             ;   in Loop: Header=BB12_1025 Depth=3
	buffer_load_dword v50, off, s[0:3], s33 offset:128 ; 4-byte Folded Reload
	buffer_load_dword v51, off, s[0:3], s33 offset:132 ; 4-byte Folded Reload
	v_or_b32_e32 v12, 0x10000, v49
	s_waitcnt vmcnt(0)
	v_cmp_eq_u32_sdwa vcc, v49, v50 src0_sel:WORD_0 src1_sel:DWORD
	v_cndmask_b32_e32 v12, v12, v49, vcc
	s_branch .LBB12_1024
.LBB12_1157:                            ;   in Loop: Header=BB12_57 Depth=2
	s_or_b64 exec, exec, s[88:89]
	v_lshlrev_b32_e32 v8, 16, v37
	v_lshlrev_b32_e32 v34, 16, v35
	;; [unrolled: 1-line block ×16, first 2 shown]
	s_and_b64 s[78:79], s[78:79], exec
.LBB12_1158:                            ;   in Loop: Header=BB12_57 Depth=2
	s_or_b64 exec, exec, s[76:77]
	s_and_saveexec_b64 s[76:77], s[78:79]
	s_cbranch_execz .LBB12_1224
; %bb.1159:                             ;   in Loop: Header=BB12_57 Depth=2
	s_trap 2
	ds_read_b32 v9, v0
	s_waitcnt lgkmcnt(0)
	v_lshlrev_b32_e32 v9, 16, v9
	v_mul_f32_e32 v10, v8, v9
	v_and_b32_e32 v8, 0x7f800000, v10
	v_cmp_ne_u32_e32 vcc, s97, v8
                                        ; implicit-def: $vgpr8
	s_and_saveexec_b64 s[78:79], vcc
	s_xor_b64 s[78:79], exec, s[78:79]
; %bb.1160:                             ;   in Loop: Header=BB12_57 Depth=2
	v_bfe_u32 v8, v10, 16, 1
	v_add3_u32 v8, v10, v8, s46
                                        ; implicit-def: $vgpr10
; %bb.1161:                             ;   in Loop: Header=BB12_57 Depth=2
	s_andn2_saveexec_b64 s[78:79], s[78:79]
	s_cbranch_execz .LBB12_1163
; %bb.1162:                             ;   in Loop: Header=BB12_57 Depth=2
	buffer_load_dword v35, off, s[0:3], s33 offset:128 ; 4-byte Folded Reload
	buffer_load_dword v36, off, s[0:3], s33 offset:132 ; 4-byte Folded Reload
	v_or_b32_e32 v8, 0x10000, v10
	s_waitcnt vmcnt(1)
	v_cmp_eq_u32_sdwa vcc, v10, v35 src0_sel:WORD_0 src1_sel:DWORD
	v_cndmask_b32_e32 v8, v8, v10, vcc
.LBB12_1163:                            ;   in Loop: Header=BB12_57 Depth=2
	s_or_b64 exec, exec, s[78:79]
	v_mul_f32_e32 v13, v34, v9
	v_and_b32_e32 v10, 0x7f800000, v13
	v_cmp_ne_u32_e32 vcc, s97, v10
                                        ; implicit-def: $vgpr10
	s_and_saveexec_b64 s[78:79], vcc
	s_xor_b64 s[78:79], exec, s[78:79]
; %bb.1164:                             ;   in Loop: Header=BB12_57 Depth=2
	v_bfe_u32 v10, v13, 16, 1
	v_add3_u32 v10, v13, v10, s46
                                        ; implicit-def: $vgpr13
; %bb.1165:                             ;   in Loop: Header=BB12_57 Depth=2
	s_andn2_saveexec_b64 s[78:79], s[78:79]
	s_cbranch_execz .LBB12_1167
; %bb.1166:                             ;   in Loop: Header=BB12_57 Depth=2
	buffer_load_dword v33, off, s[0:3], s33 offset:128 ; 4-byte Folded Reload
	buffer_load_dword v34, off, s[0:3], s33 offset:132 ; 4-byte Folded Reload
	v_or_b32_e32 v10, 0x10000, v13
	s_waitcnt vmcnt(1)
	v_cmp_eq_u32_sdwa vcc, v13, v33 src0_sel:WORD_0 src1_sel:DWORD
	v_cndmask_b32_e32 v10, v10, v13, vcc
.LBB12_1167:                            ;   in Loop: Header=BB12_57 Depth=2
	s_or_b64 exec, exec, s[78:79]
	v_mul_f32_e32 v15, v32, v9
	v_and_b32_e32 v13, 0x7f800000, v15
	v_cmp_ne_u32_e32 vcc, s97, v13
                                        ; implicit-def: $vgpr13
	s_and_saveexec_b64 s[78:79], vcc
	s_xor_b64 s[78:79], exec, s[78:79]
; %bb.1168:                             ;   in Loop: Header=BB12_57 Depth=2
	v_bfe_u32 v13, v15, 16, 1
	v_add3_u32 v13, v15, v13, s46
                                        ; implicit-def: $vgpr15
; %bb.1169:                             ;   in Loop: Header=BB12_57 Depth=2
	s_andn2_saveexec_b64 s[78:79], s[78:79]
	s_cbranch_execz .LBB12_1171
; %bb.1170:                             ;   in Loop: Header=BB12_57 Depth=2
	buffer_load_dword v31, off, s[0:3], s33 offset:128 ; 4-byte Folded Reload
	buffer_load_dword v32, off, s[0:3], s33 offset:132 ; 4-byte Folded Reload
	v_or_b32_e32 v13, 0x10000, v15
	s_waitcnt vmcnt(1)
	v_cmp_eq_u32_sdwa vcc, v15, v31 src0_sel:WORD_0 src1_sel:DWORD
	v_cndmask_b32_e32 v13, v13, v15, vcc
.LBB12_1171:                            ;   in Loop: Header=BB12_57 Depth=2
	s_or_b64 exec, exec, s[78:79]
	v_mul_f32_e32 v17, v30, v9
	v_and_b32_e32 v15, 0x7f800000, v17
	v_cmp_ne_u32_e32 vcc, s97, v15
                                        ; implicit-def: $vgpr15
	s_and_saveexec_b64 s[78:79], vcc
	s_xor_b64 s[78:79], exec, s[78:79]
; %bb.1172:                             ;   in Loop: Header=BB12_57 Depth=2
	v_bfe_u32 v15, v17, 16, 1
	v_add3_u32 v15, v17, v15, s46
                                        ; implicit-def: $vgpr17
; %bb.1173:                             ;   in Loop: Header=BB12_57 Depth=2
	s_andn2_saveexec_b64 s[78:79], s[78:79]
	s_cbranch_execz .LBB12_1175
; %bb.1174:                             ;   in Loop: Header=BB12_57 Depth=2
	buffer_load_dword v29, off, s[0:3], s33 offset:128 ; 4-byte Folded Reload
	buffer_load_dword v30, off, s[0:3], s33 offset:132 ; 4-byte Folded Reload
	v_or_b32_e32 v15, 0x10000, v17
	s_waitcnt vmcnt(1)
	v_cmp_eq_u32_sdwa vcc, v17, v29 src0_sel:WORD_0 src1_sel:DWORD
	v_cndmask_b32_e32 v15, v15, v17, vcc
.LBB12_1175:                            ;   in Loop: Header=BB12_57 Depth=2
	s_or_b64 exec, exec, s[78:79]
	v_mul_f32_e32 v19, v28, v9
	v_and_b32_e32 v17, 0x7f800000, v19
	v_cmp_ne_u32_e32 vcc, s97, v17
                                        ; implicit-def: $vgpr17
	s_and_saveexec_b64 s[78:79], vcc
	s_xor_b64 s[78:79], exec, s[78:79]
; %bb.1176:                             ;   in Loop: Header=BB12_57 Depth=2
	v_bfe_u32 v17, v19, 16, 1
	v_add3_u32 v17, v19, v17, s46
                                        ; implicit-def: $vgpr19
; %bb.1177:                             ;   in Loop: Header=BB12_57 Depth=2
	s_andn2_saveexec_b64 s[78:79], s[78:79]
	s_cbranch_execz .LBB12_1179
; %bb.1178:                             ;   in Loop: Header=BB12_57 Depth=2
	buffer_load_dword v27, off, s[0:3], s33 offset:128 ; 4-byte Folded Reload
	buffer_load_dword v28, off, s[0:3], s33 offset:132 ; 4-byte Folded Reload
	v_or_b32_e32 v17, 0x10000, v19
	s_waitcnt vmcnt(1)
	v_cmp_eq_u32_sdwa vcc, v19, v27 src0_sel:WORD_0 src1_sel:DWORD
	v_cndmask_b32_e32 v17, v17, v19, vcc
.LBB12_1179:                            ;   in Loop: Header=BB12_57 Depth=2
	s_or_b64 exec, exec, s[78:79]
	v_mul_f32_e32 v21, v26, v9
	v_and_b32_e32 v19, 0x7f800000, v21
	v_cmp_ne_u32_e32 vcc, s97, v19
                                        ; implicit-def: $vgpr19
	s_and_saveexec_b64 s[78:79], vcc
	s_xor_b64 s[78:79], exec, s[78:79]
; %bb.1180:                             ;   in Loop: Header=BB12_57 Depth=2
	v_bfe_u32 v19, v21, 16, 1
	v_add3_u32 v19, v21, v19, s46
                                        ; implicit-def: $vgpr21
; %bb.1181:                             ;   in Loop: Header=BB12_57 Depth=2
	s_andn2_saveexec_b64 s[78:79], s[78:79]
	s_cbranch_execz .LBB12_1183
; %bb.1182:                             ;   in Loop: Header=BB12_57 Depth=2
	buffer_load_dword v25, off, s[0:3], s33 offset:128 ; 4-byte Folded Reload
	buffer_load_dword v26, off, s[0:3], s33 offset:132 ; 4-byte Folded Reload
	v_or_b32_e32 v19, 0x10000, v21
	s_waitcnt vmcnt(1)
	v_cmp_eq_u32_sdwa vcc, v21, v25 src0_sel:WORD_0 src1_sel:DWORD
	v_cndmask_b32_e32 v19, v19, v21, vcc
.LBB12_1183:                            ;   in Loop: Header=BB12_57 Depth=2
	s_or_b64 exec, exec, s[78:79]
	v_mul_f32_e32 v23, v24, v9
	v_and_b32_e32 v21, 0x7f800000, v23
	v_cmp_ne_u32_e32 vcc, s97, v21
                                        ; implicit-def: $vgpr21
	s_and_saveexec_b64 s[78:79], vcc
	s_xor_b64 s[78:79], exec, s[78:79]
; %bb.1184:                             ;   in Loop: Header=BB12_57 Depth=2
	v_bfe_u32 v21, v23, 16, 1
	v_add3_u32 v21, v23, v21, s46
                                        ; implicit-def: $vgpr23
; %bb.1185:                             ;   in Loop: Header=BB12_57 Depth=2
	s_andn2_saveexec_b64 s[78:79], s[78:79]
	s_cbranch_execz .LBB12_1187
; %bb.1186:                             ;   in Loop: Header=BB12_57 Depth=2
	buffer_load_dword v24, off, s[0:3], s33 offset:128 ; 4-byte Folded Reload
	buffer_load_dword v25, off, s[0:3], s33 offset:132 ; 4-byte Folded Reload
	v_or_b32_e32 v21, 0x10000, v23
	s_waitcnt vmcnt(1)
	v_cmp_eq_u32_sdwa vcc, v23, v24 src0_sel:WORD_0 src1_sel:DWORD
	v_cndmask_b32_e32 v21, v21, v23, vcc
.LBB12_1187:                            ;   in Loop: Header=BB12_57 Depth=2
	s_or_b64 exec, exec, s[78:79]
	v_mul_f32_e32 v23, v22, v9
	v_and_b32_e32 v22, 0x7f800000, v23
	v_cmp_ne_u32_e32 vcc, s97, v22
                                        ; implicit-def: $vgpr22
	s_and_saveexec_b64 s[78:79], vcc
	s_xor_b64 s[78:79], exec, s[78:79]
; %bb.1188:                             ;   in Loop: Header=BB12_57 Depth=2
	v_bfe_u32 v22, v23, 16, 1
	v_add3_u32 v22, v23, v22, s46
                                        ; implicit-def: $vgpr23
; %bb.1189:                             ;   in Loop: Header=BB12_57 Depth=2
	s_andn2_saveexec_b64 s[78:79], s[78:79]
	s_cbranch_execz .LBB12_1191
; %bb.1190:                             ;   in Loop: Header=BB12_57 Depth=2
	buffer_load_dword v24, off, s[0:3], s33 offset:128 ; 4-byte Folded Reload
	buffer_load_dword v25, off, s[0:3], s33 offset:132 ; 4-byte Folded Reload
	v_or_b32_e32 v22, 0x10000, v23
	s_waitcnt vmcnt(1)
	v_cmp_eq_u32_sdwa vcc, v23, v24 src0_sel:WORD_0 src1_sel:DWORD
	v_cndmask_b32_e32 v22, v22, v23, vcc
.LBB12_1191:                            ;   in Loop: Header=BB12_57 Depth=2
	s_or_b64 exec, exec, s[78:79]
	v_mul_f32_e32 v23, v20, v9
	v_and_b32_e32 v20, 0x7f800000, v23
	v_cmp_ne_u32_e32 vcc, s97, v20
                                        ; implicit-def: $vgpr20
	s_and_saveexec_b64 s[78:79], vcc
	s_xor_b64 s[78:79], exec, s[78:79]
; %bb.1192:                             ;   in Loop: Header=BB12_57 Depth=2
	v_bfe_u32 v20, v23, 16, 1
	v_add3_u32 v20, v23, v20, s46
                                        ; implicit-def: $vgpr23
; %bb.1193:                             ;   in Loop: Header=BB12_57 Depth=2
	s_andn2_saveexec_b64 s[78:79], s[78:79]
	s_cbranch_execz .LBB12_1195
; %bb.1194:                             ;   in Loop: Header=BB12_57 Depth=2
	buffer_load_dword v24, off, s[0:3], s33 offset:128 ; 4-byte Folded Reload
	buffer_load_dword v25, off, s[0:3], s33 offset:132 ; 4-byte Folded Reload
	v_or_b32_e32 v20, 0x10000, v23
	s_waitcnt vmcnt(1)
	v_cmp_eq_u32_sdwa vcc, v23, v24 src0_sel:WORD_0 src1_sel:DWORD
	v_cndmask_b32_e32 v20, v20, v23, vcc
.LBB12_1195:                            ;   in Loop: Header=BB12_57 Depth=2
	s_or_b64 exec, exec, s[78:79]
	v_mul_f32_e32 v23, v18, v9
	v_and_b32_e32 v18, 0x7f800000, v23
	v_cmp_ne_u32_e32 vcc, s97, v18
                                        ; implicit-def: $vgpr18
	s_and_saveexec_b64 s[78:79], vcc
	s_xor_b64 s[78:79], exec, s[78:79]
; %bb.1196:                             ;   in Loop: Header=BB12_57 Depth=2
	v_bfe_u32 v18, v23, 16, 1
	v_add3_u32 v18, v23, v18, s46
                                        ; implicit-def: $vgpr23
; %bb.1197:                             ;   in Loop: Header=BB12_57 Depth=2
	s_andn2_saveexec_b64 s[78:79], s[78:79]
	s_cbranch_execz .LBB12_1199
; %bb.1198:                             ;   in Loop: Header=BB12_57 Depth=2
	buffer_load_dword v24, off, s[0:3], s33 offset:128 ; 4-byte Folded Reload
	buffer_load_dword v25, off, s[0:3], s33 offset:132 ; 4-byte Folded Reload
	v_or_b32_e32 v18, 0x10000, v23
	s_waitcnt vmcnt(1)
	v_cmp_eq_u32_sdwa vcc, v23, v24 src0_sel:WORD_0 src1_sel:DWORD
	v_cndmask_b32_e32 v18, v18, v23, vcc
.LBB12_1199:                            ;   in Loop: Header=BB12_57 Depth=2
	s_or_b64 exec, exec, s[78:79]
	v_mul_f32_e32 v23, v16, v9
	v_and_b32_e32 v16, 0x7f800000, v23
	v_cmp_ne_u32_e32 vcc, s97, v16
                                        ; implicit-def: $vgpr16
	s_and_saveexec_b64 s[78:79], vcc
	s_xor_b64 s[78:79], exec, s[78:79]
; %bb.1200:                             ;   in Loop: Header=BB12_57 Depth=2
	v_bfe_u32 v16, v23, 16, 1
	v_add3_u32 v16, v23, v16, s46
                                        ; implicit-def: $vgpr23
; %bb.1201:                             ;   in Loop: Header=BB12_57 Depth=2
	s_andn2_saveexec_b64 s[78:79], s[78:79]
	s_cbranch_execz .LBB12_1203
; %bb.1202:                             ;   in Loop: Header=BB12_57 Depth=2
	buffer_load_dword v24, off, s[0:3], s33 offset:128 ; 4-byte Folded Reload
	buffer_load_dword v25, off, s[0:3], s33 offset:132 ; 4-byte Folded Reload
	v_or_b32_e32 v16, 0x10000, v23
	s_waitcnt vmcnt(1)
	v_cmp_eq_u32_sdwa vcc, v23, v24 src0_sel:WORD_0 src1_sel:DWORD
	v_cndmask_b32_e32 v16, v16, v23, vcc
.LBB12_1203:                            ;   in Loop: Header=BB12_57 Depth=2
	s_or_b64 exec, exec, s[78:79]
	v_mul_f32_e32 v23, v14, v9
	v_and_b32_e32 v14, 0x7f800000, v23
	v_cmp_ne_u32_e32 vcc, s97, v14
                                        ; implicit-def: $vgpr14
	s_and_saveexec_b64 s[78:79], vcc
	s_xor_b64 s[78:79], exec, s[78:79]
; %bb.1204:                             ;   in Loop: Header=BB12_57 Depth=2
	v_bfe_u32 v14, v23, 16, 1
	v_add3_u32 v14, v23, v14, s46
                                        ; implicit-def: $vgpr23
; %bb.1205:                             ;   in Loop: Header=BB12_57 Depth=2
	s_andn2_saveexec_b64 s[78:79], s[78:79]
	s_cbranch_execz .LBB12_1207
; %bb.1206:                             ;   in Loop: Header=BB12_57 Depth=2
	buffer_load_dword v24, off, s[0:3], s33 offset:128 ; 4-byte Folded Reload
	buffer_load_dword v25, off, s[0:3], s33 offset:132 ; 4-byte Folded Reload
	v_or_b32_e32 v14, 0x10000, v23
	s_waitcnt vmcnt(1)
	v_cmp_eq_u32_sdwa vcc, v23, v24 src0_sel:WORD_0 src1_sel:DWORD
	v_cndmask_b32_e32 v14, v14, v23, vcc
.LBB12_1207:                            ;   in Loop: Header=BB12_57 Depth=2
	s_or_b64 exec, exec, s[78:79]
	v_mul_f32_e32 v23, v12, v9
	v_and_b32_e32 v12, 0x7f800000, v23
	v_cmp_ne_u32_e32 vcc, s97, v12
                                        ; implicit-def: $vgpr12
	s_and_saveexec_b64 s[78:79], vcc
	s_xor_b64 s[78:79], exec, s[78:79]
; %bb.1208:                             ;   in Loop: Header=BB12_57 Depth=2
	v_bfe_u32 v12, v23, 16, 1
	v_add3_u32 v12, v23, v12, s46
                                        ; implicit-def: $vgpr23
; %bb.1209:                             ;   in Loop: Header=BB12_57 Depth=2
	s_andn2_saveexec_b64 s[78:79], s[78:79]
	s_cbranch_execz .LBB12_1211
; %bb.1210:                             ;   in Loop: Header=BB12_57 Depth=2
	buffer_load_dword v24, off, s[0:3], s33 offset:128 ; 4-byte Folded Reload
	buffer_load_dword v25, off, s[0:3], s33 offset:132 ; 4-byte Folded Reload
	v_or_b32_e32 v12, 0x10000, v23
	s_waitcnt vmcnt(1)
	v_cmp_eq_u32_sdwa vcc, v23, v24 src0_sel:WORD_0 src1_sel:DWORD
	v_cndmask_b32_e32 v12, v12, v23, vcc
.LBB12_1211:                            ;   in Loop: Header=BB12_57 Depth=2
	s_or_b64 exec, exec, s[78:79]
	v_mul_f32_e32 v23, v11, v9
	v_and_b32_e32 v11, 0x7f800000, v23
	v_cmp_ne_u32_e32 vcc, s97, v11
                                        ; implicit-def: $vgpr11
	s_and_saveexec_b64 s[78:79], vcc
	s_xor_b64 s[78:79], exec, s[78:79]
; %bb.1212:                             ;   in Loop: Header=BB12_57 Depth=2
	v_bfe_u32 v11, v23, 16, 1
	v_add3_u32 v11, v23, v11, s46
                                        ; implicit-def: $vgpr23
; %bb.1213:                             ;   in Loop: Header=BB12_57 Depth=2
	s_andn2_saveexec_b64 s[78:79], s[78:79]
	s_cbranch_execz .LBB12_1215
; %bb.1214:                             ;   in Loop: Header=BB12_57 Depth=2
	buffer_load_dword v24, off, s[0:3], s33 offset:128 ; 4-byte Folded Reload
	buffer_load_dword v25, off, s[0:3], s33 offset:132 ; 4-byte Folded Reload
	v_or_b32_e32 v11, 0x10000, v23
	s_waitcnt vmcnt(1)
	v_cmp_eq_u32_sdwa vcc, v23, v24 src0_sel:WORD_0 src1_sel:DWORD
	v_cndmask_b32_e32 v11, v11, v23, vcc
.LBB12_1215:                            ;   in Loop: Header=BB12_57 Depth=2
	s_or_b64 exec, exec, s[78:79]
	v_mul_f32_e32 v23, v3, v9
	v_and_b32_e32 v3, 0x7f800000, v23
	v_cmp_ne_u32_e32 vcc, s97, v3
                                        ; implicit-def: $vgpr3
	s_and_saveexec_b64 s[78:79], vcc
	s_xor_b64 s[78:79], exec, s[78:79]
; %bb.1216:                             ;   in Loop: Header=BB12_57 Depth=2
	v_bfe_u32 v3, v23, 16, 1
	v_add3_u32 v3, v23, v3, s46
                                        ; implicit-def: $vgpr23
; %bb.1217:                             ;   in Loop: Header=BB12_57 Depth=2
	s_andn2_saveexec_b64 s[78:79], s[78:79]
	s_cbranch_execz .LBB12_1219
; %bb.1218:                             ;   in Loop: Header=BB12_57 Depth=2
	buffer_load_dword v24, off, s[0:3], s33 offset:128 ; 4-byte Folded Reload
	buffer_load_dword v25, off, s[0:3], s33 offset:132 ; 4-byte Folded Reload
	v_or_b32_e32 v3, 0x10000, v23
	s_waitcnt vmcnt(1)
	v_cmp_eq_u32_sdwa vcc, v23, v24 src0_sel:WORD_0 src1_sel:DWORD
	v_cndmask_b32_e32 v3, v3, v23, vcc
.LBB12_1219:                            ;   in Loop: Header=BB12_57 Depth=2
	s_or_b64 exec, exec, s[78:79]
	v_mul_f32_e32 v9, v2, v9
	v_and_b32_e32 v2, 0x7f800000, v9
	v_cmp_ne_u32_e32 vcc, s97, v2
                                        ; implicit-def: $vgpr2
	s_and_saveexec_b64 s[78:79], vcc
	s_xor_b64 s[78:79], exec, s[78:79]
; %bb.1220:                             ;   in Loop: Header=BB12_57 Depth=2
	v_bfe_u32 v2, v9, 16, 1
	v_add3_u32 v2, v9, v2, s46
                                        ; implicit-def: $vgpr9
; %bb.1221:                             ;   in Loop: Header=BB12_57 Depth=2
	s_andn2_saveexec_b64 s[78:79], s[78:79]
	s_cbranch_execz .LBB12_1223
; %bb.1222:                             ;   in Loop: Header=BB12_57 Depth=2
	buffer_load_dword v23, off, s[0:3], s33 offset:128 ; 4-byte Folded Reload
	buffer_load_dword v24, off, s[0:3], s33 offset:132 ; 4-byte Folded Reload
	v_or_b32_e32 v2, 0x10000, v9
	s_waitcnt vmcnt(1)
	v_cmp_eq_u32_sdwa vcc, v9, v23 src0_sel:WORD_0 src1_sel:DWORD
	v_cndmask_b32_e32 v2, v2, v9, vcc
.LBB12_1223:                            ;   in Loop: Header=BB12_57 Depth=2
	s_or_b64 exec, exec, s[78:79]
	flat_store_short_d16_hi v[0:1], v8 glc slc
	flat_store_short_d16_hi v[0:1], v10 offset:128 glc slc
	flat_store_short_d16_hi v[0:1], v13 offset:256 glc slc
	;; [unrolled: 1-line block ×15, first 2 shown]
.LBB12_1224:                            ;   in Loop: Header=BB12_57 Depth=2
	s_or_b64 exec, exec, s[76:77]
	buffer_load_dword v1, off, s[0:3], s33 offset:688 ; 4-byte Folded Reload
	v_lshlrev_b32_e32 v0, 11, v6
	s_waitcnt vmcnt(0)
	v_cmp_ne_u32_e32 vcc, v1, v0
	s_and_b64 exec, exec, vcc
	s_cbranch_execz .LBB12_1246
; %bb.1225:                             ;   in Loop: Header=BB12_57 Depth=2
	v_lshlrev_b32_e32 v1, 6, v7
	v_sub_u32_e32 v1, v5, v1
	v_ashrrev_i32_e32 v2, 31, v1
	v_lshrrev_b32_e32 v2, 26, v2
	v_add_u32_e32 v2, v1, v2
	v_and_b32_e32 v3, 0x7fffffc0, v2
	v_sub_u32_e32 v1, v1, v3
	v_lshlrev_b32_e32 v2, 1, v2
	v_and_b32_e32 v2, 0xffffff80, v2
	v_lshlrev_b32_e32 v1, 1, v1
	v_add3_u32 v0, v2, v1, v0
	buffer_load_dword v1, off, s[0:3], s33 offset:688 ; 4-byte Folded Reload
	s_waitcnt vmcnt(0)
	v_sub_u32_e32 v5, v1, v0
	v_cmp_lt_i32_e32 vcc, 1, v5
	s_and_b64 exec, exec, vcc
	s_cbranch_execz .LBB12_1246
; %bb.1226:                             ;   in Loop: Header=BB12_57 Depth=2
	v_add_u32_e32 v4, v0, v4
	buffer_load_dword v0, off, s[0:3], s33 offset:692 ; 4-byte Folded Reload
	buffer_load_dword v1, off, s[0:3], s33 offset:696 ; 4-byte Folded Reload
	s_trap 2
	v_ashrrev_i32_e32 v6, 31, v4
	s_mov_b64 s[88:89], 0
	s_mov_b64 s[76:77], 0
                                        ; implicit-def: $sgpr78_sgpr79
	s_waitcnt vmcnt(0)
	v_add_co_u32_e32 v0, vcc, v0, v4
	ds_read_b64 v[2:3], v0
	v_addc_co_u32_e32 v1, vcc, v1, v6, vcc
	s_waitcnt lgkmcnt(0)
	v_add_co_u32_e32 v2, vcc, v2, v4
	ds_read_b32 v4, v0
	v_addc_co_u32_e32 v3, vcc, v3, v6, vcc
                                        ; implicit-def: $vgpr6
	s_waitcnt lgkmcnt(0)
	v_lshlrev_b32_e32 v4, 16, v4
	s_branch .LBB12_1228
.LBB12_1227:                            ;   in Loop: Header=BB12_1228 Depth=3
	s_or_b64 exec, exec, s[90:91]
	flat_store_short_d16_hi v[0:1], v8 glc slc
	buffer_load_dword v8, off, s[0:3], s33 offset:388 ; 4-byte Folded Reload
	s_nop 0
	buffer_load_dword v9, off, s[0:3], s33 offset:392 ; 4-byte Folded Reload
	s_waitcnt vmcnt(0)
	v_cndmask_b32_e64 v8, 0, v8, s[88:89]
	v_cndmask_b32_e64 v7, 0, v9, s[88:89]
	v_add_co_u32_e32 v2, vcc, v2, v8
	v_addc_co_u32_e32 v3, vcc, v3, v7, vcc
	buffer_load_dword v7, off, s[0:3], s33 offset:400 ; 4-byte Folded Reload
	buffer_load_dword v8, off, s[0:3], s33 offset:396 ; 4-byte Folded Reload
	v_mov_b32_e32 v9, 0x80
	s_waitcnt vmcnt(0)
	v_cndmask_b32_e64 v7, 0, v7, s[88:89]
	v_cndmask_b32_e64 v8, v9, v8, s[88:89]
	v_add_co_u32_e32 v0, vcc, v0, v8
	v_addc_co_u32_e32 v1, vcc, v1, v7, vcc
	buffer_load_dword v7, off, s[0:3], s33 offset:280 ; 4-byte Folded Reload
	s_waitcnt vmcnt(0)
	v_cndmask_b32_e64 v7, 0, v7, s[88:89]
	v_sub_u32_e32 v5, v5, v7
	v_cmp_gt_i32_e32 vcc, 2, v5
	s_or_b64 s[76:77], vcc, s[76:77]
	s_andn2_b64 s[78:79], s[78:79], exec
	s_and_b64 s[90:91], s[88:89], exec
	s_or_b64 s[78:79], s[78:79], s[90:91]
	s_andn2_b64 exec, exec, s[76:77]
	s_cbranch_execz .LBB12_1240
.LBB12_1228:                            ;   Parent Loop BB12_47 Depth=1
                                        ;     Parent Loop BB12_57 Depth=2
                                        ; =>    This Inner Loop Header: Depth=3
	flat_load_ushort v7, v[2:3] glc slc
	s_and_saveexec_b64 s[90:91], s[88:89]
	s_cbranch_execz .LBB12_1234
; %bb.1229:                             ;   in Loop: Header=BB12_1228 Depth=3
	v_lshlrev_b32_e32 v6, 16, v6
	v_mul_f32_e32 v6, v4, v6
	v_and_b32_e32 v8, 0x7f800000, v6
	v_cmp_ne_u32_e32 vcc, s97, v8
                                        ; implicit-def: $vgpr8
	s_and_saveexec_b64 s[88:89], vcc
	s_xor_b64 s[88:89], exec, s[88:89]
; %bb.1230:                             ;   in Loop: Header=BB12_1228 Depth=3
	v_bfe_u32 v8, v6, 16, 1
	v_add3_u32 v8, v6, v8, s46
                                        ; implicit-def: $vgpr6
; %bb.1231:                             ;   in Loop: Header=BB12_1228 Depth=3
	s_andn2_saveexec_b64 s[88:89], s[88:89]
	s_cbranch_execz .LBB12_1233
; %bb.1232:                             ;   in Loop: Header=BB12_1228 Depth=3
	buffer_load_dword v9, off, s[0:3], s33 offset:128 ; 4-byte Folded Reload
	buffer_load_dword v10, off, s[0:3], s33 offset:132 ; 4-byte Folded Reload
	v_or_b32_e32 v8, 0x10000, v6
	s_waitcnt vmcnt(0)
	v_cmp_eq_u32_sdwa vcc, v6, v9 src0_sel:WORD_0 src1_sel:DWORD
	v_cndmask_b32_e32 v8, v8, v6, vcc
.LBB12_1233:                            ;   in Loop: Header=BB12_1228 Depth=3
	s_or_b64 exec, exec, s[88:89]
	v_lshrrev_b32_e32 v6, 16, v8
	buffer_load_dword v8, off, s[0:3], s33 offset:396 ; 4-byte Folded Reload
	s_nop 0
	flat_store_short v[0:1], v6 glc slc
	s_waitcnt vmcnt(0)
	v_add_co_u32_e32 v0, vcc, v0, v8
	buffer_load_dword v8, off, s[0:3], s33 offset:400 ; 4-byte Folded Reload
	s_waitcnt vmcnt(0)
	v_addc_co_u32_e32 v1, vcc, v1, v8, vcc
.LBB12_1234:                            ;   in Loop: Header=BB12_1228 Depth=3
	s_or_b64 exec, exec, s[90:91]
	buffer_load_dword v8, off, s[0:3], s33 offset:396 ; 4-byte Folded Reload
	s_waitcnt vmcnt(0)
	v_add_co_u32_e32 v2, vcc, v2, v8
	buffer_load_dword v8, off, s[0:3], s33 offset:400 ; 4-byte Folded Reload
	s_waitcnt vmcnt(0)
	v_addc_co_u32_e32 v3, vcc, v3, v8, vcc
	buffer_load_dword v8, off, s[0:3], s33 offset:280 ; 4-byte Folded Reload
	s_waitcnt vmcnt(0)
	v_sub_u32_e32 v5, v5, v8
	v_cmp_lt_i32_e64 s[88:89], 1, v5
	s_and_saveexec_b64 s[90:91], s[88:89]
	s_cbranch_execz .LBB12_1236
; %bb.1235:                             ;   in Loop: Header=BB12_1228 Depth=3
	flat_load_ushort v6, v[2:3] glc slc
	v_add_co_u32_e32 v2, vcc, 0x80, v2
	v_addc_co_u32_e32 v3, vcc, 0, v3, vcc
.LBB12_1236:                            ;   in Loop: Header=BB12_1228 Depth=3
	s_or_b64 exec, exec, s[90:91]
	s_waitcnt lgkmcnt(0)
	v_lshlrev_b32_e32 v7, 16, v7
	v_mul_f32_e32 v7, v4, v7
	v_and_b32_e32 v8, 0x7f800000, v7
	v_cmp_ne_u32_e32 vcc, s97, v8
                                        ; implicit-def: $vgpr8
	s_and_saveexec_b64 s[90:91], vcc
	s_xor_b64 s[90:91], exec, s[90:91]
; %bb.1237:                             ;   in Loop: Header=BB12_1228 Depth=3
	v_bfe_u32 v8, v7, 16, 1
	v_add3_u32 v8, v7, v8, s46
                                        ; implicit-def: $vgpr7
; %bb.1238:                             ;   in Loop: Header=BB12_1228 Depth=3
	s_andn2_saveexec_b64 s[90:91], s[90:91]
	s_cbranch_execz .LBB12_1227
; %bb.1239:                             ;   in Loop: Header=BB12_1228 Depth=3
	buffer_load_dword v9, off, s[0:3], s33 offset:128 ; 4-byte Folded Reload
	buffer_load_dword v10, off, s[0:3], s33 offset:132 ; 4-byte Folded Reload
	v_or_b32_e32 v8, 0x10000, v7
	s_waitcnt vmcnt(0)
	v_cmp_eq_u32_sdwa vcc, v7, v9 src0_sel:WORD_0 src1_sel:DWORD
	v_cndmask_b32_e32 v8, v8, v7, vcc
	s_branch .LBB12_1227
.LBB12_1240:                            ;   in Loop: Header=BB12_57 Depth=2
	s_or_b64 exec, exec, s[76:77]
	s_and_b64 exec, exec, s[78:79]
	s_cbranch_execz .LBB12_1246
; %bb.1241:                             ;   in Loop: Header=BB12_57 Depth=2
	v_lshlrev_b32_e32 v2, 16, v6
	v_mul_f32_e32 v2, v4, v2
	v_and_b32_e32 v3, 0x7f800000, v2
	v_cmp_ne_u32_e32 vcc, s97, v3
                                        ; implicit-def: $vgpr3
	s_and_saveexec_b64 s[76:77], vcc
	s_xor_b64 s[76:77], exec, s[76:77]
; %bb.1242:                             ;   in Loop: Header=BB12_57 Depth=2
	v_bfe_u32 v3, v2, 16, 1
	v_add3_u32 v3, v2, v3, s46
                                        ; implicit-def: $vgpr2
; %bb.1243:                             ;   in Loop: Header=BB12_57 Depth=2
	s_andn2_saveexec_b64 s[76:77], s[76:77]
	s_cbranch_execz .LBB12_1245
; %bb.1244:                             ;   in Loop: Header=BB12_57 Depth=2
	buffer_load_dword v4, off, s[0:3], s33 offset:128 ; 4-byte Folded Reload
	buffer_load_dword v5, off, s[0:3], s33 offset:132 ; 4-byte Folded Reload
	v_or_b32_e32 v3, 0x10000, v2
	s_waitcnt vmcnt(0)
	v_cmp_eq_u32_sdwa vcc, v2, v4 src0_sel:WORD_0 src1_sel:DWORD
	v_cndmask_b32_e32 v3, v3, v2, vcc
.LBB12_1245:                            ;   in Loop: Header=BB12_57 Depth=2
	s_or_b64 exec, exec, s[76:77]
	flat_store_short_d16_hi v[0:1], v3 glc slc
.LBB12_1246:                            ;   in Loop: Header=BB12_57 Depth=2
	s_or_b64 exec, exec, s[26:27]
	buffer_load_dword v0, off, s[0:3], s33 offset:708 ; 4-byte Folded Reload
	s_waitcnt vmcnt(0)
	v_cmp_lt_i32_e64 s[26:27], 0, v0
	s_and_saveexec_b64 s[76:77], s[10:11]
	s_cbranch_execz .LBB12_1265
.LBB12_1247:                            ;   in Loop: Header=BB12_57 Depth=2
	s_and_saveexec_b64 s[78:79], s[56:57]
	s_xor_b64 s[78:79], exec, s[78:79]
	s_cbranch_execz .LBB12_1262
; %bb.1248:                             ;   in Loop: Header=BB12_57 Depth=2
	s_and_saveexec_b64 s[88:89], s[16:17]
	s_cbranch_execz .LBB12_1261
; %bb.1249:                             ;   in Loop: Header=BB12_57 Depth=2
	s_mov_b64 s[92:93], exec
	v_mbcnt_lo_u32_b32 v0, s92, 0
	v_mbcnt_hi_u32_b32 v0, s93, v0
	v_cmp_eq_u32_e32 vcc, 0, v0
	s_waitcnt vmcnt(0) lgkmcnt(0)
	buffer_wbinvl1_vol
	s_and_saveexec_b64 s[90:91], vcc
	s_cbranch_execz .LBB12_1251
; %bb.1250:                             ;   in Loop: Header=BB12_57 Depth=2
	buffer_load_dword v1, off, s[0:3], s33 offset:128 ; 4-byte Folded Reload
	buffer_load_dword v2, off, s[0:3], s33 offset:132 ; 4-byte Folded Reload
	s_bcnt1_i32_b64 s9, s[92:93]
	v_mov_b32_e32 v0, s9
	s_waitcnt vmcnt(1)
	ds_add_u64 v0, v[0:1]
	s_trap 2
.LBB12_1251:                            ;   in Loop: Header=BB12_57 Depth=2
	s_or_b64 exec, exec, s[90:91]
	s_trap 2
	ds_read_b64 v[0:1], v0
	s_waitcnt lgkmcnt(0)
	buffer_load_dword v2, off, s[0:3], s33 offset:152 ; 4-byte Folded Reload
	buffer_load_dword v3, off, s[0:3], s33 offset:160 ; 4-byte Folded Reload
	;; [unrolled: 1-line block ×3, first 2 shown]
	s_waitcnt vmcnt(1)
	v_add_co_u32_e32 v3, vcc, v3, v2
	s_waitcnt vmcnt(0)
	v_addc_co_u32_e32 v4, vcc, 0, v4, vcc
	buffer_store_dword v3, off, s[0:3], s33 offset:160 ; 4-byte Folded Spill
	s_nop 0
	buffer_store_dword v4, off, s[0:3], s33 offset:164 ; 4-byte Folded Spill
	v_cmp_lt_u64_e32 vcc, v[0:1], v[3:4]
	s_and_saveexec_b64 s[90:91], vcc
	s_cbranch_execz .LBB12_1260
; %bb.1252:                             ;   in Loop: Header=BB12_57 Depth=2
	s_mov_b32 s9, 0
	s_mov_b64 s[92:93], 0
                                        ; implicit-def: $sgpr94_sgpr95
                                        ; implicit-def: $sgpr30_sgpr31
	s_branch .LBB12_1254
.LBB12_1253:                            ;   in Loop: Header=BB12_1254 Depth=3
	s_or_b64 exec, exec, s[36:37]
	s_and_b64 vcc, exec, vcc
	s_or_b64 s[92:93], vcc, s[92:93]
	s_andn2_b64 s[94:95], s[94:95], exec
	s_and_b64 vcc, s[30:31], exec
	s_or_b64 s[94:95], s[94:95], vcc
	s_andn2_b64 exec, exec, s[92:93]
	s_cbranch_execz .LBB12_1258
.LBB12_1254:                            ;   Parent Loop BB12_47 Depth=1
                                        ;     Parent Loop BB12_57 Depth=2
                                        ; =>    This Inner Loop Header: Depth=3
	s_add_i32 s9, s9, 1
	s_cmpk_lg_i32 s9, 0x2710
	s_cselect_b64 s[34:35], -1, 0
	s_and_b64 vcc, exec, s[34:35]
	s_cbranch_vccz .LBB12_1256
; %bb.1255:                             ;   in Loop: Header=BB12_1254 Depth=3
	s_mov_b64 vcc, -1
	s_or_b64 s[30:31], s[30:31], exec
	s_and_saveexec_b64 s[36:37], s[34:35]
	s_cbranch_execz .LBB12_1253
	s_branch .LBB12_1257
.LBB12_1256:                            ;   in Loop: Header=BB12_1254 Depth=3
	s_trap 2
	ds_read_b64 v[0:1], v0
	s_andn2_b64 s[34:35], s[34:35], exec
	s_mov_b32 s9, 0
	s_waitcnt vmcnt(0) lgkmcnt(0)
	flat_load_dword v0, v[0:1] glc
	s_waitcnt vmcnt(0) lgkmcnt(0)
	buffer_wbinvl1_vol
	v_cmp_eq_u32_e32 vcc, 0, v0
	s_and_b64 vcc, vcc, exec
	s_or_b64 s[34:35], s[34:35], vcc
	s_mov_b64 vcc, -1
	s_or_b64 s[30:31], s[30:31], exec
	s_and_saveexec_b64 s[36:37], s[34:35]
	s_cbranch_execz .LBB12_1253
.LBB12_1257:                            ;   in Loop: Header=BB12_1254 Depth=3
	s_sleep 1
	s_trap 2
	ds_read_b64 v[0:1], v0
	s_waitcnt lgkmcnt(0)
	buffer_load_dword v2, off, s[0:3], s33 offset:160 ; 4-byte Folded Reload
	buffer_load_dword v3, off, s[0:3], s33 offset:164 ; 4-byte Folded Reload
	s_andn2_b64 s[30:31], s[30:31], exec
	s_waitcnt vmcnt(0)
	v_cmp_ge_u64_e32 vcc, v[0:1], v[2:3]
	s_orn2_b64 vcc, vcc, exec
	s_branch .LBB12_1253
.LBB12_1258:                            ;   in Loop: Header=BB12_57 Depth=2
	s_or_b64 exec, exec, s[92:93]
	s_and_saveexec_b64 s[92:93], s[94:95]
	s_xor_b64 s[92:93], exec, s[92:93]
	s_cbranch_execz .LBB12_1260
; %bb.1259:                             ;   in Loop: Header=BB12_57 Depth=2
	v_mov_b32_e32 v0, 1
	ds_write_b32 v0, v0
	s_trap 2
.LBB12_1260:                            ;   in Loop: Header=BB12_57 Depth=2
	s_or_b64 exec, exec, s[90:91]
	;;#ASMSTART
	s_wakeup
	;;#ASMEND
.LBB12_1261:                            ;   in Loop: Header=BB12_57 Depth=2
	s_or_b64 exec, exec, s[88:89]
.LBB12_1262:                            ;   in Loop: Header=BB12_57 Depth=2
	s_andn2_saveexec_b64 s[78:79], s[78:79]
	s_cbranch_execz .LBB12_1264
; %bb.1263:                             ;   in Loop: Header=BB12_57 Depth=2
	s_waitcnt vmcnt(0) lgkmcnt(0)
	buffer_wbinvl1_vol
	s_barrier
.LBB12_1264:                            ;   in Loop: Header=BB12_57 Depth=2
	s_or_b64 exec, exec, s[78:79]
.LBB12_1265:                            ;   in Loop: Header=BB12_57 Depth=2
	s_or_b64 exec, exec, s[76:77]
	buffer_load_dword v0, off, s[0:3], s33 offset:156 ; 4-byte Folded Reload
	s_waitcnt vmcnt(0)
	v_and_b32_e32 v0, 16, v0
	s_and_saveexec_b64 s[76:77], s[24:25]
	s_xor_b64 s[76:77], exec, s[76:77]
	s_cbranch_execz .LBB12_1270
; %bb.1266:                             ;   in Loop: Header=BB12_57 Depth=2
	buffer_load_dword v1, off, s[0:3], s33 offset:156 ; 4-byte Folded Reload
	s_waitcnt vmcnt(0)
	v_and_b32_e32 v0, 16, v1
	v_and_b32_e32 v1, 16, v1
	v_cmp_ne_u32_e32 vcc, 0, v1
	s_and_b64 s[78:79], vcc, s[26:27]
	s_and_saveexec_b64 s[26:27], s[78:79]
	s_cbranch_execz .LBB12_1268
; %bb.1267:                             ;   in Loop: Header=BB12_57 Depth=2
	v_mov_b32_e32 v0, 1
	s_waitcnt lgkmcnt(0)
	buffer_wbinvl1_vol
.LBB12_1268:                            ;   in Loop: Header=BB12_57 Depth=2
	s_or_b64 exec, exec, s[26:27]
	s_andn2_saveexec_b64 s[26:27], s[76:77]
	s_cbranch_execnz .LBB12_1271
.LBB12_1269:                            ;   in Loop: Header=BB12_57 Depth=2
	s_or_b64 exec, exec, s[26:27]
	v_cmp_ne_u32_e32 vcc, 0, v0
	s_and_saveexec_b64 s[26:27], vcc
	s_cbranch_execz .LBB12_56
	s_branch .LBB12_1289
.LBB12_1270:                            ;   in Loop: Header=BB12_57 Depth=2
	s_andn2_saveexec_b64 s[26:27], s[76:77]
	s_cbranch_execz .LBB12_1269
.LBB12_1271:                            ;   in Loop: Header=BB12_57 Depth=2
	s_and_saveexec_b64 s[76:77], s[56:57]
	s_xor_b64 s[76:77], exec, s[76:77]
	s_cbranch_execz .LBB12_1286
; %bb.1272:                             ;   in Loop: Header=BB12_57 Depth=2
	s_and_saveexec_b64 s[78:79], s[16:17]
	s_cbranch_execz .LBB12_1285
; %bb.1273:                             ;   in Loop: Header=BB12_57 Depth=2
	s_mov_b64 s[90:91], exec
	v_mbcnt_lo_u32_b32 v1, s90, 0
	v_mbcnt_hi_u32_b32 v1, s91, v1
	v_cmp_eq_u32_e32 vcc, 0, v1
	;;#ASMSTART
	s_waitcnt lgkmcnt(0) vmcnt(0)
	;;#ASMEND
	s_and_saveexec_b64 s[88:89], vcc
	s_cbranch_execz .LBB12_1275
; %bb.1274:                             ;   in Loop: Header=BB12_57 Depth=2
	buffer_load_dword v2, off, s[0:3], s33 offset:128 ; 4-byte Folded Reload
	buffer_load_dword v3, off, s[0:3], s33 offset:132 ; 4-byte Folded Reload
	s_bcnt1_i32_b64 s9, s[90:91]
	v_mov_b32_e32 v1, s9
	s_waitcnt vmcnt(0) lgkmcnt(0)
	ds_add_u64 v0, v[1:2]
	s_trap 2
.LBB12_1275:                            ;   in Loop: Header=BB12_57 Depth=2
	s_or_b64 exec, exec, s[88:89]
	s_trap 2
	ds_read_b64 v[1:2], v0
	s_waitcnt lgkmcnt(0)
	buffer_load_dword v3, off, s[0:3], s33 offset:152 ; 4-byte Folded Reload
	buffer_load_dword v4, off, s[0:3], s33 offset:160 ; 4-byte Folded Reload
	buffer_load_dword v5, off, s[0:3], s33 offset:164 ; 4-byte Folded Reload
	s_waitcnt vmcnt(1)
	v_add_co_u32_e32 v4, vcc, v4, v3
	s_waitcnt vmcnt(0)
	v_addc_co_u32_e32 v5, vcc, 0, v5, vcc
	buffer_store_dword v4, off, s[0:3], s33 offset:160 ; 4-byte Folded Spill
	s_nop 0
	buffer_store_dword v5, off, s[0:3], s33 offset:164 ; 4-byte Folded Spill
	v_cmp_lt_u64_e32 vcc, v[1:2], v[4:5]
	s_and_saveexec_b64 s[88:89], vcc
	s_cbranch_execz .LBB12_1284
; %bb.1276:                             ;   in Loop: Header=BB12_57 Depth=2
	s_mov_b32 s9, 0
	s_mov_b64 s[90:91], 0
                                        ; implicit-def: $sgpr92_sgpr93
                                        ; implicit-def: $sgpr94_sgpr95
	s_branch .LBB12_1278
.LBB12_1277:                            ;   in Loop: Header=BB12_1278 Depth=3
	s_or_b64 exec, exec, s[34:35]
	s_and_b64 vcc, exec, vcc
	s_or_b64 s[90:91], vcc, s[90:91]
	s_andn2_b64 s[92:93], s[92:93], exec
	s_and_b64 vcc, s[94:95], exec
	s_or_b64 s[92:93], s[92:93], vcc
	s_andn2_b64 exec, exec, s[90:91]
	s_cbranch_execz .LBB12_1282
.LBB12_1278:                            ;   Parent Loop BB12_47 Depth=1
                                        ;     Parent Loop BB12_57 Depth=2
                                        ; =>    This Inner Loop Header: Depth=3
	s_add_i32 s9, s9, 1
	s_cmpk_lg_i32 s9, 0x2710
	s_cselect_b64 s[30:31], -1, 0
	s_and_b64 vcc, exec, s[30:31]
	s_cbranch_vccz .LBB12_1280
; %bb.1279:                             ;   in Loop: Header=BB12_1278 Depth=3
	s_mov_b64 vcc, -1
	s_or_b64 s[94:95], s[94:95], exec
	s_and_saveexec_b64 s[34:35], s[30:31]
	s_cbranch_execz .LBB12_1277
	s_branch .LBB12_1281
.LBB12_1280:                            ;   in Loop: Header=BB12_1278 Depth=3
	s_trap 2
	ds_read_b64 v[1:2], v0
	s_andn2_b64 s[30:31], s[30:31], exec
	s_mov_b32 s9, 0
	s_waitcnt vmcnt(0) lgkmcnt(0)
	flat_load_dword v1, v[1:2] glc
	s_waitcnt vmcnt(0) lgkmcnt(0)
	buffer_wbinvl1_vol
	v_cmp_eq_u32_e32 vcc, 0, v1
	s_and_b64 vcc, vcc, exec
	s_or_b64 s[30:31], s[30:31], vcc
	s_mov_b64 vcc, -1
	s_or_b64 s[94:95], s[94:95], exec
	s_and_saveexec_b64 s[34:35], s[30:31]
	s_cbranch_execz .LBB12_1277
.LBB12_1281:                            ;   in Loop: Header=BB12_1278 Depth=3
	s_sleep 1
	s_trap 2
	ds_read_b64 v[1:2], v0
	s_waitcnt lgkmcnt(0)
	buffer_load_dword v3, off, s[0:3], s33 offset:160 ; 4-byte Folded Reload
	buffer_load_dword v4, off, s[0:3], s33 offset:164 ; 4-byte Folded Reload
	s_andn2_b64 s[94:95], s[94:95], exec
	s_waitcnt vmcnt(0)
	v_cmp_ge_u64_e32 vcc, v[1:2], v[3:4]
	s_orn2_b64 vcc, vcc, exec
	s_branch .LBB12_1277
.LBB12_1282:                            ;   in Loop: Header=BB12_57 Depth=2
	s_or_b64 exec, exec, s[90:91]
	s_and_saveexec_b64 s[90:91], s[92:93]
	s_xor_b64 s[90:91], exec, s[90:91]
	s_cbranch_execz .LBB12_1284
; %bb.1283:                             ;   in Loop: Header=BB12_57 Depth=2
	v_mov_b32_e32 v1, 1
	ds_write_b32 v0, v1
	s_trap 2
.LBB12_1284:                            ;   in Loop: Header=BB12_57 Depth=2
	s_or_b64 exec, exec, s[88:89]
	;;#ASMSTART
	s_wakeup
	;;#ASMEND
.LBB12_1285:                            ;   in Loop: Header=BB12_57 Depth=2
	s_or_b64 exec, exec, s[78:79]
.LBB12_1286:                            ;   in Loop: Header=BB12_57 Depth=2
	s_andn2_saveexec_b64 s[76:77], s[76:77]
	s_cbranch_execz .LBB12_1288
; %bb.1287:                             ;   in Loop: Header=BB12_57 Depth=2
	;;#ASMSTART
	s_waitcnt lgkmcnt(0) vmcnt(0)
	;;#ASMEND
	s_waitcnt vmcnt(0) lgkmcnt(0)
	s_barrier
.LBB12_1288:                            ;   in Loop: Header=BB12_57 Depth=2
	s_or_b64 exec, exec, s[76:77]
	s_or_b64 exec, exec, s[26:27]
	v_cmp_ne_u32_e32 vcc, 0, v0
	s_and_saveexec_b64 s[26:27], vcc
	s_cbranch_execz .LBB12_56
.LBB12_1289:                            ;   in Loop: Header=BB12_57 Depth=2
	s_and_saveexec_b64 s[76:77], s[14:15]
	s_cbranch_execz .LBB12_55
; %bb.1290:                             ;   in Loop: Header=BB12_57 Depth=2
	buffer_load_dword v0, off, s[0:3], s33 offset:548 ; 4-byte Folded Reload
	buffer_load_dword v1, off, s[0:3], s33 offset:552 ; 4-byte Folded Reload
	v_mov_b32_e32 v2, 1
	s_waitcnt vmcnt(0)
	flat_store_dword v[0:1], v2
	s_branch .LBB12_55
.LBB12_1291:                            ;   in Loop: Header=BB12_47 Depth=1
	s_or_b64 exec, exec, s[40:41]
.LBB12_1292:                            ;   in Loop: Header=BB12_47 Depth=1
	s_or_b64 exec, exec, s[28:29]
	v_cmp_gt_i32_e32 vcc, 2, v2
	s_and_saveexec_b64 s[28:29], vcc
	s_cbranch_execz .LBB12_1364
; %bb.1293:                             ;   in Loop: Header=BB12_47 Depth=1
	v_cmp_eq_u32_e64 s[42:43], 0, v2
	buffer_load_dword v7, off, s[0:3], s33 offset:516 ; 4-byte Folded Reload
	buffer_load_dword v8, off, s[0:3], s33 offset:520 ; 4-byte Folded Reload
	;; [unrolled: 1-line block ×4, first 2 shown]
	s_mov_b64 s[40:41], 0
	s_branch .LBB12_1296
.LBB12_1294:                            ;   in Loop: Header=BB12_1296 Depth=2
	s_or_b64 exec, exec, s[42:43]
	buffer_load_dword v2, off, s[0:3], s33 offset:256 ; 4-byte Folded Reload
	buffer_load_dword v3, off, s[0:3], s33 offset:260 ; 4-byte Folded Reload
	;; [unrolled: 1-line block ×4, first 2 shown]
	s_waitcnt vmcnt(0)
	v_add_co_u32_e32 v2, vcc, 2, v2
	v_addc_co_u32_e32 v3, vcc, 0, v3, vcc
	buffer_store_dword v2, off, s[0:3], s33 offset:256 ; 4-byte Folded Spill
	s_nop 0
	buffer_store_dword v3, off, s[0:3], s33 offset:260 ; 4-byte Folded Spill
	flat_store_dwordx2 v[0:1], v[2:3]
.LBB12_1295:                            ;   in Loop: Header=BB12_1296 Depth=2
	s_or_b64 exec, exec, s[26:27]
	v_mov_b32_e32 v1, v8
	v_add_u32_e32 v1, v7, v1
	s_mov_b64 s[42:43], 0
	s_andn2_b64 exec, exec, s[40:41]
	s_cbranch_execz .LBB12_1363
.LBB12_1296:                            ;   Parent Loop BB12_47 Depth=1
                                        ; =>  This Loop Header: Depth=2
                                        ;       Child Loop BB12_1302 Depth 3
                                        ;       Child Loop BB12_1326 Depth 3
                                        ;       Child Loop BB12_1350 Depth 3
	buffer_load_dword v0, off, s[0:3], s33 offset:664 ; 4-byte Folded Reload
	s_waitcnt vmcnt(0)
	v_mov_b32_e32 v8, v1
	v_sub_u32_e32 v0, v0, v1
	v_min_i32_e32 v7, v7, v0
	buffer_load_dword v0, off, s[0:3], s33 offset:156 ; 4-byte Folded Reload
	s_waitcnt vmcnt(0)
	v_and_b32_e32 v0, 8, v0
	v_cmp_ne_u32_e32 vcc, 0, v0
	s_and_saveexec_b64 s[76:77], vcc
	s_cbranch_execz .LBB12_1318
; %bb.1297:                             ;   in Loop: Header=BB12_1296 Depth=2
	buffer_load_dword v0, off, s[0:3], s33 offset:136 ; 4-byte Folded Reload
	buffer_load_dword v1, off, s[0:3], s33 offset:140 ; 4-byte Folded Reload
	s_waitcnt vmcnt(0)
	v_add_co_u32_e32 v2, vcc, 8, v0
	v_addc_co_u32_e32 v3, vcc, 0, v1, vcc
	buffer_load_dword v0, off, s[0:3], s33 offset:256 ; 4-byte Folded Reload
	buffer_load_dword v1, off, s[0:3], s33 offset:260 ; 4-byte Folded Reload
	s_waitcnt vmcnt(0)
	v_add_co_u32_e32 v0, vcc, 2, v0
	v_addc_co_u32_e32 v1, vcc, 0, v1, vcc
	v_cmp_lt_u64_e32 vcc, v[2:3], v[0:1]
	s_and_saveexec_b64 s[78:79], vcc
	s_cbranch_execz .LBB12_1309
; %bb.1298:                             ;   in Loop: Header=BB12_1296 Depth=2
	buffer_load_dword v2, off, s[0:3], s33 offset:156 ; 4-byte Folded Reload
	s_mov_b32 s45, 0
	s_mov_b64 s[88:89], 0
                                        ; implicit-def: $sgpr90_sgpr91
                                        ; implicit-def: $sgpr92_sgpr93
                                        ; implicit-def: $sgpr94_sgpr95
	s_waitcnt vmcnt(0)
	v_and_b32_e32 v2, 64, v2
	v_cmp_eq_u32_e32 vcc, 0, v2
	s_branch .LBB12_1302
.LBB12_1299:                            ;   in Loop: Header=BB12_1302 Depth=3
	buffer_load_dword v3, off, s[0:3], s33 offset:136 ; 4-byte Folded Reload
	buffer_load_dword v4, off, s[0:3], s33 offset:140 ; 4-byte Folded Reload
	s_or_b64 s[36:37], s[36:37], exec
	s_waitcnt vmcnt(1)
	v_add_co_u32_e64 v3, s[26:27], 8, v3
	s_waitcnt vmcnt(0)
	v_addc_co_u32_e64 v4, s[26:27], 0, v4, s[26:27]
	v_cmp_ge_u64_e64 s[26:27], v[3:4], v[0:1]
	s_orn2_b64 s[34:35], s[26:27], exec
.LBB12_1300:                            ;   in Loop: Header=BB12_1302 Depth=3
	s_or_b64 exec, exec, s[48:49]
	s_andn2_b64 s[26:27], s[94:95], exec
	s_and_b64 s[94:95], s[36:37], exec
	s_or_b64 s[94:95], s[26:27], s[94:95]
	s_andn2_b64 s[26:27], s[92:93], exec
	s_and_b64 s[92:93], s[34:35], exec
	s_or_b64 s[92:93], s[26:27], s[92:93]
.LBB12_1301:                            ;   in Loop: Header=BB12_1302 Depth=3
	s_or_b64 exec, exec, s[30:31]
	s_and_b64 s[26:27], exec, s[92:93]
	s_or_b64 s[88:89], s[26:27], s[88:89]
	s_andn2_b64 s[26:27], s[90:91], exec
	s_and_b64 s[90:91], s[94:95], exec
	s_or_b64 s[90:91], s[26:27], s[90:91]
	s_andn2_b64 exec, exec, s[88:89]
	s_cbranch_execz .LBB12_1306
.LBB12_1302:                            ;   Parent Loop BB12_47 Depth=1
                                        ;     Parent Loop BB12_1296 Depth=2
                                        ; =>    This Inner Loop Header: Depth=3
	s_sleep 1
	buffer_load_dword v2, off, s[0:3], s33 offset:144 ; 4-byte Folded Reload
	buffer_load_dword v3, off, s[0:3], s33 offset:148 ; 4-byte Folded Reload
	s_or_b64 s[94:95], s[94:95], exec
	s_or_b64 s[92:93], s[92:93], exec
	s_waitcnt vmcnt(0)
	flat_load_dwordx2 v[2:3], v[2:3] glc
	s_waitcnt vmcnt(0) lgkmcnt(0)
	buffer_store_dword v2, off, s[0:3], s33 offset:136 ; 4-byte Folded Spill
	s_nop 0
	buffer_store_dword v3, off, s[0:3], s33 offset:140 ; 4-byte Folded Spill
                                        ; implicit-def: $vgpr2
	s_and_saveexec_b64 s[30:31], vcc
	s_cbranch_execz .LBB12_1301
; %bb.1303:                             ;   in Loop: Header=BB12_1302 Depth=3
	s_cmpk_lt_i32 s45, 0x270f
	s_cselect_b64 s[38:39], -1, 0
	s_cmpk_gt_i32 s45, 0x270e
	s_mov_b64 s[34:35], -1
	s_cbranch_scc0 .LBB12_1305
; %bb.1304:                             ;   in Loop: Header=BB12_1302 Depth=3
	s_trap 2
	ds_read_b64 v[2:3], v0
	s_andn2_b64 s[38:39], s[38:39], exec
	s_mov_b32 s45, 0
	s_mov_b64 s[36:37], 0
	s_waitcnt vmcnt(0) lgkmcnt(0)
	flat_load_dword v2, v[2:3] glc
	s_waitcnt vmcnt(0) lgkmcnt(0)
	buffer_wbinvl1_vol
	v_cmp_eq_u32_e64 s[26:27], 0, v2
	s_and_b64 s[26:27], s[26:27], exec
	s_or_b64 s[38:39], s[38:39], s[26:27]
	s_and_saveexec_b64 s[48:49], s[38:39]
	s_cbranch_execz .LBB12_1300
	s_branch .LBB12_1299
.LBB12_1305:                            ;   in Loop: Header=BB12_1302 Depth=3
	s_add_i32 s45, s45, 1
	s_mov_b64 s[36:37], -1
                                        ; implicit-def: $vgpr2
	s_and_saveexec_b64 s[48:49], s[38:39]
	s_cbranch_execz .LBB12_1300
	s_branch .LBB12_1299
.LBB12_1306:                            ;   in Loop: Header=BB12_1296 Depth=2
	s_or_b64 exec, exec, s[88:89]
	s_xor_b64 s[26:27], s[90:91], -1
	s_and_saveexec_b64 s[88:89], s[26:27]
	s_xor_b64 s[26:27], exec, s[88:89]
	s_cbranch_execz .LBB12_1308
; %bb.1307:                             ;   in Loop: Header=BB12_1296 Depth=2
	ds_write_b32 v0, v2
	s_trap 2
	buffer_load_dword v2, off, s[0:3], s33 offset:156 ; 4-byte Folded Reload
	s_waitcnt vmcnt(0)
	v_or_b32_e32 v2, 64, v2
	buffer_store_dword v2, off, s[0:3], s33 offset:156 ; 4-byte Folded Spill
.LBB12_1308:                            ;   in Loop: Header=BB12_1296 Depth=2
	s_or_b64 exec, exec, s[26:27]
.LBB12_1309:                            ;   in Loop: Header=BB12_1296 Depth=2
	s_or_b64 exec, exec, s[78:79]
	;;#ASMSTART
	s_wakeup
	;;#ASMEND
	buffer_load_dword v2, off, s[0:3], s33 offset:156 ; 4-byte Folded Reload
	s_mov_b64 s[26:27], -1
                                        ; implicit-def: $vgpr4_vgpr5
	s_waitcnt vmcnt(0)
	v_and_b32_e32 v2, 0x100, v2
	v_cmp_ne_u32_e32 vcc, 0, v2
	buffer_load_dword v2, off, s[0:3], s33 offset:256 ; 4-byte Folded Reload
	buffer_load_dword v3, off, s[0:3], s33 offset:260 ; 4-byte Folded Reload
	s_waitcnt vmcnt(0)
	v_and_b32_e32 v6, 7, v2
	s_and_saveexec_b64 s[78:79], vcc
	s_cbranch_execz .LBB12_1313
; %bb.1310:                             ;   in Loop: Header=BB12_1296 Depth=2
	buffer_load_dword v2, off, s[0:3], s33 offset:532 ; 4-byte Folded Reload
	buffer_load_dword v3, off, s[0:3], s33 offset:536 ; 4-byte Folded Reload
	buffer_load_dword v4, off, s[0:3], s33 offset:540 ; 4-byte Folded Reload
	buffer_load_dword v5, off, s[0:3], s33 offset:544 ; 4-byte Folded Reload
	s_waitcnt vmcnt(0)
	v_mov_b32_e32 v4, v7
	v_ashrrev_i32_e32 v5, 31, v4
	v_lshlrev_b64 v[4:5], 1, v[4:5]
	v_mad_u64_u32 v[2:3], s[26:27], v6, 24, v[2:3]
	flat_store_dwordx2 v[2:3], v[4:5] offset:8
	flat_load_dword v4, v[2:3]
	s_waitcnt vmcnt(0) lgkmcnt(0)
	v_cmp_ne_u32_e32 vcc, 1, v4
	v_cmp_eq_u32_e64 s[26:27], 1, v4
                                        ; implicit-def: $vgpr4_vgpr5
	s_and_saveexec_b64 s[88:89], s[26:27]
	s_cbranch_execz .LBB12_1312
; %bb.1311:                             ;   in Loop: Header=BB12_1296 Depth=2
	flat_load_dword v2, v[2:3] offset:4 glc
	s_waitcnt vmcnt(0) lgkmcnt(0)
	v_ashrrev_i32_e32 v3, 31, v2
	v_lshrrev_b64 v[4:5], 1, v[2:3]
.LBB12_1312:                            ;   in Loop: Header=BB12_1296 Depth=2
	s_or_b64 exec, exec, s[88:89]
	s_orn2_b64 s[26:27], vcc, exec
.LBB12_1313:                            ;   in Loop: Header=BB12_1296 Depth=2
	s_or_b64 exec, exec, s[78:79]
	s_and_saveexec_b64 s[78:79], s[26:27]
	s_cbranch_execz .LBB12_1315
; %bb.1314:                             ;   in Loop: Header=BB12_1296 Depth=2
	buffer_load_dword v2, off, s[0:3], s33 offset:564 ; 4-byte Folded Reload
	s_waitcnt vmcnt(0)
	v_mad_i64_i32 v[4:5], s[26:27], v6, v2, 0
.LBB12_1315:                            ;   in Loop: Header=BB12_1296 Depth=2
	s_or_b64 exec, exec, s[78:79]
	v_lshlrev_b64 v[2:3], 1, v[4:5]
	buffer_load_dword v4, off, s[0:3], s33 offset:524 ; 4-byte Folded Reload
	buffer_load_dword v5, off, s[0:3], s33 offset:528 ; 4-byte Folded Reload
	s_waitcnt vmcnt(0)
	v_add_co_u32_e32 v2, vcc, v4, v2
	v_addc_co_u32_e32 v3, vcc, v5, v3, vcc
	ds_write_b64 v0, v[2:3] offset:784
	buffer_load_dword v2, off, s[0:3], s33 offset:156 ; 4-byte Folded Reload
	s_waitcnt vmcnt(0)
	v_and_b32_e32 v2, 0x2000, v2
	v_cmp_ne_u32_e32 vcc, 0, v2
	s_and_saveexec_b64 s[26:27], vcc
	s_cbranch_execz .LBB12_1317
; %bb.1316:                             ;   in Loop: Header=BB12_1296 Depth=2
	ds_read_b64 v[2:3], v0 offset:872
	s_waitcnt lgkmcnt(0)
	v_add_co_u32_e32 v2, vcc, 1, v2
	v_addc_co_u32_e32 v3, vcc, 0, v3, vcc
	ds_write_b64 v0, v[2:3] offset:872
.LBB12_1317:                            ;   in Loop: Header=BB12_1296 Depth=2
	s_or_b64 exec, exec, s[26:27]
	buffer_store_dword v0, off, s[0:3], s33 offset:256 ; 4-byte Folded Spill
	s_nop 0
	buffer_store_dword v1, off, s[0:3], s33 offset:260 ; 4-byte Folded Spill
.LBB12_1318:                            ;   in Loop: Header=BB12_1296 Depth=2
	s_or_b64 exec, exec, s[76:77]
	s_xor_b64 s[26:27], s[42:43], -1
	s_and_b64 s[26:27], exec, s[26:27]
	s_or_b64 s[40:41], s[26:27], s[40:41]
	s_and_saveexec_b64 s[26:27], s[10:11]
	s_cbranch_execz .LBB12_1337
; %bb.1319:                             ;   in Loop: Header=BB12_1296 Depth=2
	s_and_saveexec_b64 s[42:43], s[56:57]
	s_xor_b64 s[42:43], exec, s[42:43]
	s_cbranch_execz .LBB12_1334
; %bb.1320:                             ;   in Loop: Header=BB12_1296 Depth=2
	s_and_saveexec_b64 s[76:77], s[16:17]
	s_cbranch_execz .LBB12_1333
; %bb.1321:                             ;   in Loop: Header=BB12_1296 Depth=2
	s_mov_b64 s[88:89], exec
	v_mbcnt_lo_u32_b32 v0, s88, 0
	v_mbcnt_hi_u32_b32 v0, s89, v0
	v_cmp_eq_u32_e32 vcc, 0, v0
	s_waitcnt vmcnt(0) lgkmcnt(0)
	buffer_wbinvl1_vol
	s_and_saveexec_b64 s[78:79], vcc
	s_cbranch_execz .LBB12_1323
; %bb.1322:                             ;   in Loop: Header=BB12_1296 Depth=2
	buffer_load_dword v1, off, s[0:3], s33 offset:128 ; 4-byte Folded Reload
	buffer_load_dword v2, off, s[0:3], s33 offset:132 ; 4-byte Folded Reload
	s_bcnt1_i32_b64 s9, s[88:89]
	v_mov_b32_e32 v0, s9
	s_waitcnt vmcnt(1)
	ds_add_u64 v0, v[0:1]
	s_trap 2
.LBB12_1323:                            ;   in Loop: Header=BB12_1296 Depth=2
	s_or_b64 exec, exec, s[78:79]
	s_trap 2
	ds_read_b64 v[0:1], v0
	s_waitcnt lgkmcnt(0)
	buffer_load_dword v2, off, s[0:3], s33 offset:152 ; 4-byte Folded Reload
	buffer_load_dword v3, off, s[0:3], s33 offset:160 ; 4-byte Folded Reload
	buffer_load_dword v4, off, s[0:3], s33 offset:164 ; 4-byte Folded Reload
	s_waitcnt vmcnt(1)
	v_add_co_u32_e32 v3, vcc, v3, v2
	s_waitcnt vmcnt(0)
	v_addc_co_u32_e32 v4, vcc, 0, v4, vcc
	buffer_store_dword v3, off, s[0:3], s33 offset:160 ; 4-byte Folded Spill
	s_nop 0
	buffer_store_dword v4, off, s[0:3], s33 offset:164 ; 4-byte Folded Spill
	v_cmp_lt_u64_e32 vcc, v[0:1], v[3:4]
	s_and_saveexec_b64 s[78:79], vcc
	s_cbranch_execz .LBB12_1332
; %bb.1324:                             ;   in Loop: Header=BB12_1296 Depth=2
	s_mov_b32 s9, 0
	s_mov_b64 s[88:89], 0
                                        ; implicit-def: $sgpr90_sgpr91
                                        ; implicit-def: $sgpr92_sgpr93
	s_branch .LBB12_1326
.LBB12_1325:                            ;   in Loop: Header=BB12_1326 Depth=3
	s_or_b64 exec, exec, s[30:31]
	s_and_b64 s[94:95], exec, vcc
	s_or_b64 s[88:89], s[94:95], s[88:89]
	s_andn2_b64 s[90:91], s[90:91], exec
	s_and_b64 s[94:95], s[92:93], exec
	s_or_b64 s[90:91], s[90:91], s[94:95]
	s_andn2_b64 exec, exec, s[88:89]
	s_cbranch_execz .LBB12_1330
.LBB12_1326:                            ;   Parent Loop BB12_47 Depth=1
                                        ;     Parent Loop BB12_1296 Depth=2
                                        ; =>    This Inner Loop Header: Depth=3
	s_add_i32 s9, s9, 1
	s_cmpk_lg_i32 s9, 0x2710
	s_cselect_b64 s[94:95], -1, 0
	s_and_b64 vcc, exec, s[94:95]
	s_cbranch_vccz .LBB12_1328
; %bb.1327:                             ;   in Loop: Header=BB12_1326 Depth=3
	s_mov_b64 vcc, -1
	s_or_b64 s[92:93], s[92:93], exec
	s_and_saveexec_b64 s[30:31], s[94:95]
	s_cbranch_execz .LBB12_1325
	s_branch .LBB12_1329
.LBB12_1328:                            ;   in Loop: Header=BB12_1326 Depth=3
	s_trap 2
	ds_read_b64 v[0:1], v0
	s_andn2_b64 s[94:95], s[94:95], exec
	s_mov_b32 s9, 0
	s_waitcnt vmcnt(0) lgkmcnt(0)
	flat_load_dword v0, v[0:1] glc
	s_waitcnt vmcnt(0) lgkmcnt(0)
	buffer_wbinvl1_vol
	v_cmp_eq_u32_e32 vcc, 0, v0
	s_and_b64 vcc, vcc, exec
	s_or_b64 s[94:95], s[94:95], vcc
	s_mov_b64 vcc, -1
	s_or_b64 s[92:93], s[92:93], exec
	s_and_saveexec_b64 s[30:31], s[94:95]
	s_cbranch_execz .LBB12_1325
.LBB12_1329:                            ;   in Loop: Header=BB12_1326 Depth=3
	s_sleep 1
	s_trap 2
	ds_read_b64 v[0:1], v0
	s_waitcnt lgkmcnt(0)
	buffer_load_dword v2, off, s[0:3], s33 offset:160 ; 4-byte Folded Reload
	buffer_load_dword v3, off, s[0:3], s33 offset:164 ; 4-byte Folded Reload
	s_andn2_b64 s[92:93], s[92:93], exec
	s_waitcnt vmcnt(0)
	v_cmp_ge_u64_e32 vcc, v[0:1], v[2:3]
	s_orn2_b64 vcc, vcc, exec
	s_branch .LBB12_1325
.LBB12_1330:                            ;   in Loop: Header=BB12_1296 Depth=2
	s_or_b64 exec, exec, s[88:89]
	s_and_saveexec_b64 s[88:89], s[90:91]
	s_xor_b64 s[88:89], exec, s[88:89]
	s_cbranch_execz .LBB12_1332
; %bb.1331:                             ;   in Loop: Header=BB12_1296 Depth=2
	v_mov_b32_e32 v0, 1
	ds_write_b32 v0, v0
	s_trap 2
.LBB12_1332:                            ;   in Loop: Header=BB12_1296 Depth=2
	s_or_b64 exec, exec, s[78:79]
	;;#ASMSTART
	s_wakeup
	;;#ASMEND
.LBB12_1333:                            ;   in Loop: Header=BB12_1296 Depth=2
	s_or_b64 exec, exec, s[76:77]
.LBB12_1334:                            ;   in Loop: Header=BB12_1296 Depth=2
	s_andn2_saveexec_b64 s[42:43], s[42:43]
	s_cbranch_execz .LBB12_1336
; %bb.1335:                             ;   in Loop: Header=BB12_1296 Depth=2
	s_waitcnt vmcnt(0) lgkmcnt(0)
	buffer_wbinvl1_vol
	s_barrier
.LBB12_1336:                            ;   in Loop: Header=BB12_1296 Depth=2
	s_or_b64 exec, exec, s[42:43]
.LBB12_1337:                            ;   in Loop: Header=BB12_1296 Depth=2
	s_or_b64 exec, exec, s[26:27]
	buffer_load_dword v0, off, s[0:3], s33 offset:156 ; 4-byte Folded Reload
	s_waitcnt vmcnt(0)
	v_and_b32_e32 v0, 16, v0
	s_and_saveexec_b64 s[26:27], s[24:25]
	s_xor_b64 s[26:27], exec, s[26:27]
	s_cbranch_execz .LBB12_1342
; %bb.1338:                             ;   in Loop: Header=BB12_1296 Depth=2
	s_trap 2
	buffer_load_dword v1, off, s[0:3], s33 offset:156 ; 4-byte Folded Reload
	ds_read_b32 v0, v0
	v_cmp_lt_i32_e32 vcc, 0, v7
	s_waitcnt lgkmcnt(0)
	v_readfirstlane_b32 s9, v0
	s_cmp_eq_u32 s9, 0
	s_cselect_b64 s[42:43], -1, 0
	s_and_b64 s[42:43], vcc, s[42:43]
	s_waitcnt vmcnt(0)
	v_and_b32_e32 v0, 16, v1
	v_and_b32_e32 v1, 16, v1
	v_cmp_ne_u32_e32 vcc, 0, v1
	s_and_b64 s[76:77], vcc, s[42:43]
	s_and_saveexec_b64 s[42:43], s[76:77]
	s_cbranch_execz .LBB12_1340
; %bb.1339:                             ;   in Loop: Header=BB12_1296 Depth=2
	v_mov_b32_e32 v0, 1
	buffer_wbinvl1_vol
.LBB12_1340:                            ;   in Loop: Header=BB12_1296 Depth=2
	s_or_b64 exec, exec, s[42:43]
	s_andn2_saveexec_b64 s[26:27], s[26:27]
	s_cbranch_execnz .LBB12_1343
.LBB12_1341:                            ;   in Loop: Header=BB12_1296 Depth=2
	s_or_b64 exec, exec, s[26:27]
	v_cmp_ne_u32_e32 vcc, 0, v0
	s_and_saveexec_b64 s[26:27], vcc
	s_cbranch_execz .LBB12_1295
	s_branch .LBB12_1361
.LBB12_1342:                            ;   in Loop: Header=BB12_1296 Depth=2
	s_andn2_saveexec_b64 s[26:27], s[26:27]
	s_cbranch_execz .LBB12_1341
.LBB12_1343:                            ;   in Loop: Header=BB12_1296 Depth=2
	s_and_saveexec_b64 s[42:43], s[56:57]
	s_xor_b64 s[42:43], exec, s[42:43]
	s_cbranch_execz .LBB12_1358
; %bb.1344:                             ;   in Loop: Header=BB12_1296 Depth=2
	s_and_saveexec_b64 s[76:77], s[16:17]
	s_cbranch_execz .LBB12_1357
; %bb.1345:                             ;   in Loop: Header=BB12_1296 Depth=2
	s_mov_b64 s[88:89], exec
	v_mbcnt_lo_u32_b32 v1, s88, 0
	v_mbcnt_hi_u32_b32 v1, s89, v1
	v_cmp_eq_u32_e32 vcc, 0, v1
	;;#ASMSTART
	s_waitcnt lgkmcnt(0) vmcnt(0)
	;;#ASMEND
	s_and_saveexec_b64 s[78:79], vcc
	s_cbranch_execz .LBB12_1347
; %bb.1346:                             ;   in Loop: Header=BB12_1296 Depth=2
	buffer_load_dword v2, off, s[0:3], s33 offset:128 ; 4-byte Folded Reload
	buffer_load_dword v3, off, s[0:3], s33 offset:132 ; 4-byte Folded Reload
	s_bcnt1_i32_b64 s9, s[88:89]
	v_mov_b32_e32 v1, s9
	s_waitcnt vmcnt(0) lgkmcnt(0)
	ds_add_u64 v0, v[1:2]
	s_trap 2
.LBB12_1347:                            ;   in Loop: Header=BB12_1296 Depth=2
	s_or_b64 exec, exec, s[78:79]
	s_trap 2
	ds_read_b64 v[1:2], v0
	s_waitcnt lgkmcnt(0)
	buffer_load_dword v3, off, s[0:3], s33 offset:152 ; 4-byte Folded Reload
	buffer_load_dword v4, off, s[0:3], s33 offset:160 ; 4-byte Folded Reload
	;; [unrolled: 1-line block ×3, first 2 shown]
	s_waitcnt vmcnt(1)
	v_add_co_u32_e32 v4, vcc, v4, v3
	s_waitcnt vmcnt(0)
	v_addc_co_u32_e32 v5, vcc, 0, v5, vcc
	buffer_store_dword v4, off, s[0:3], s33 offset:160 ; 4-byte Folded Spill
	s_nop 0
	buffer_store_dword v5, off, s[0:3], s33 offset:164 ; 4-byte Folded Spill
	v_cmp_lt_u64_e32 vcc, v[1:2], v[4:5]
	s_and_saveexec_b64 s[78:79], vcc
	s_cbranch_execz .LBB12_1356
; %bb.1348:                             ;   in Loop: Header=BB12_1296 Depth=2
	s_mov_b32 s9, 0
	s_mov_b64 s[88:89], 0
                                        ; implicit-def: $sgpr90_sgpr91
                                        ; implicit-def: $sgpr92_sgpr93
	s_branch .LBB12_1350
.LBB12_1349:                            ;   in Loop: Header=BB12_1350 Depth=3
	s_or_b64 exec, exec, s[30:31]
	s_and_b64 s[94:95], exec, vcc
	s_or_b64 s[88:89], s[94:95], s[88:89]
	s_andn2_b64 s[90:91], s[90:91], exec
	s_and_b64 s[94:95], s[92:93], exec
	s_or_b64 s[90:91], s[90:91], s[94:95]
	s_andn2_b64 exec, exec, s[88:89]
	s_cbranch_execz .LBB12_1354
.LBB12_1350:                            ;   Parent Loop BB12_47 Depth=1
                                        ;     Parent Loop BB12_1296 Depth=2
                                        ; =>    This Inner Loop Header: Depth=3
	s_add_i32 s9, s9, 1
	s_cmpk_lg_i32 s9, 0x2710
	s_cselect_b64 s[94:95], -1, 0
	s_and_b64 vcc, exec, s[94:95]
	s_cbranch_vccz .LBB12_1352
; %bb.1351:                             ;   in Loop: Header=BB12_1350 Depth=3
	s_mov_b64 vcc, -1
	s_or_b64 s[92:93], s[92:93], exec
	s_and_saveexec_b64 s[30:31], s[94:95]
	s_cbranch_execz .LBB12_1349
	s_branch .LBB12_1353
.LBB12_1352:                            ;   in Loop: Header=BB12_1350 Depth=3
	s_trap 2
	ds_read_b64 v[1:2], v0
	s_andn2_b64 s[94:95], s[94:95], exec
	s_mov_b32 s9, 0
	s_waitcnt vmcnt(0) lgkmcnt(0)
	flat_load_dword v1, v[1:2] glc
	s_waitcnt vmcnt(0) lgkmcnt(0)
	buffer_wbinvl1_vol
	v_cmp_eq_u32_e32 vcc, 0, v1
	s_and_b64 vcc, vcc, exec
	s_or_b64 s[94:95], s[94:95], vcc
	s_mov_b64 vcc, -1
	s_or_b64 s[92:93], s[92:93], exec
	s_and_saveexec_b64 s[30:31], s[94:95]
	s_cbranch_execz .LBB12_1349
.LBB12_1353:                            ;   in Loop: Header=BB12_1350 Depth=3
	s_sleep 1
	s_trap 2
	ds_read_b64 v[1:2], v0
	s_waitcnt lgkmcnt(0)
	buffer_load_dword v3, off, s[0:3], s33 offset:160 ; 4-byte Folded Reload
	buffer_load_dword v4, off, s[0:3], s33 offset:164 ; 4-byte Folded Reload
	s_andn2_b64 s[92:93], s[92:93], exec
	s_waitcnt vmcnt(0)
	v_cmp_ge_u64_e32 vcc, v[1:2], v[3:4]
	s_orn2_b64 vcc, vcc, exec
	s_branch .LBB12_1349
.LBB12_1354:                            ;   in Loop: Header=BB12_1296 Depth=2
	s_or_b64 exec, exec, s[88:89]
	s_and_saveexec_b64 s[88:89], s[90:91]
	s_xor_b64 s[88:89], exec, s[88:89]
	s_cbranch_execz .LBB12_1356
; %bb.1355:                             ;   in Loop: Header=BB12_1296 Depth=2
	v_mov_b32_e32 v1, 1
	ds_write_b32 v0, v1
	s_trap 2
.LBB12_1356:                            ;   in Loop: Header=BB12_1296 Depth=2
	s_or_b64 exec, exec, s[78:79]
	;;#ASMSTART
	s_wakeup
	;;#ASMEND
.LBB12_1357:                            ;   in Loop: Header=BB12_1296 Depth=2
	s_or_b64 exec, exec, s[76:77]
.LBB12_1358:                            ;   in Loop: Header=BB12_1296 Depth=2
	s_andn2_saveexec_b64 s[42:43], s[42:43]
	s_cbranch_execz .LBB12_1360
; %bb.1359:                             ;   in Loop: Header=BB12_1296 Depth=2
	;;#ASMSTART
	s_waitcnt lgkmcnt(0) vmcnt(0)
	;;#ASMEND
	s_waitcnt vmcnt(0) lgkmcnt(0)
	s_barrier
.LBB12_1360:                            ;   in Loop: Header=BB12_1296 Depth=2
	s_or_b64 exec, exec, s[42:43]
	s_or_b64 exec, exec, s[26:27]
	v_cmp_ne_u32_e32 vcc, 0, v0
	s_and_saveexec_b64 s[26:27], vcc
	s_cbranch_execz .LBB12_1295
.LBB12_1361:                            ;   in Loop: Header=BB12_1296 Depth=2
	s_and_saveexec_b64 s[42:43], s[14:15]
	s_cbranch_execz .LBB12_1294
; %bb.1362:                             ;   in Loop: Header=BB12_1296 Depth=2
	buffer_load_dword v0, off, s[0:3], s33 offset:548 ; 4-byte Folded Reload
	buffer_load_dword v1, off, s[0:3], s33 offset:552 ; 4-byte Folded Reload
	v_mov_b32_e32 v2, 1
	s_waitcnt vmcnt(0)
	flat_store_dword v[0:1], v2
	s_branch .LBB12_1294
.LBB12_1363:                            ;   in Loop: Header=BB12_47 Depth=1
	s_or_b64 exec, exec, s[40:41]
.LBB12_1364:                            ;   in Loop: Header=BB12_47 Depth=1
	s_or_b64 exec, exec, s[28:29]
	v_cndmask_b32_e64 v0, 0, 1, s[60:61]
	v_cmp_ne_u32_e64 s[26:27], 1, v0
	s_andn2_b64 vcc, exec, s[60:61]
	s_cbranch_vccnz .LBB12_2994
; %bb.1365:                             ;   in Loop: Header=BB12_47 Depth=1
	s_mov_b32 s45, 2
	s_branch .LBB12_1368
.LBB12_1366:                            ;   in Loop: Header=BB12_1368 Depth=2
	s_or_b64 exec, exec, s[42:43]
.LBB12_1367:                            ;   in Loop: Header=BB12_1368 Depth=2
	s_or_b64 exec, exec, s[40:41]
	s_add_i32 s45, s45, 1
	s_cmp_eq_u32 s45, s52
	s_cbranch_scc1 .LBB12_2994
.LBB12_1368:                            ;   Parent Loop BB12_47 Depth=1
                                        ; =>  This Loop Header: Depth=2
                                        ;       Child Loop BB12_1371 Depth 3
                                        ;         Child Loop BB12_1379 Depth 4
                                        ;         Child Loop BB12_1407 Depth 4
	;; [unrolled: 1-line block ×5, first 2 shown]
                                        ;           Child Loop BB12_2238 Depth 5
                                        ;           Child Loop BB12_2307 Depth 5
                                        ;         Child Loop BB12_2448 Depth 4
                                        ;         Child Loop BB12_2843 Depth 4
                                        ;           Child Loop BB12_2844 Depth 5
                                        ;           Child Loop BB12_2857 Depth 5
                                        ;         Child Loop BB12_2884 Depth 4
                                        ;         Child Loop BB12_2903 Depth 4
                                        ;       Child Loop BB12_2922 Depth 3
                                        ;         Child Loop BB12_2928 Depth 4
                                        ;         Child Loop BB12_2956 Depth 4
	;; [unrolled: 1-line block ×3, first 2 shown]
	buffer_load_dword v4, off, s[0:3], s33 offset:680 ; 4-byte Folded Reload
	buffer_load_dword v5, off, s[0:3], s33 offset:684 ; 4-byte Folded Reload
	s_sub_i32 s9, s67, s45
	s_cmp_ge_i32 s9, s52
	s_cselect_b32 s28, s52, 0
	s_sub_i32 s9, s9, s28
	s_ashr_i32 s40, s9, 31
	v_mov_b32_e32 v54, 0
	s_waitcnt vmcnt(0)
	v_mad_u64_u32 v[0:1], s[28:29], v4, s9, 0
	v_mul_lo_u32 v2, v5, s9
	v_mul_lo_u32 v3, v4, s40
	v_add3_u32 v1, v1, v3, v2
	buffer_load_dword v2, off, s[0:3], s33 offset:672 ; 4-byte Folded Reload
	buffer_load_dword v3, off, s[0:3], s33 offset:676 ; 4-byte Folded Reload
	s_waitcnt vmcnt(0)
	v_sub_co_u32_e32 v2, vcc, v2, v0
	v_subb_co_u32_e32 v3, vcc, v3, v1, vcc
	v_cmp_lt_i64_e32 vcc, v[4:5], v[2:3]
	v_cndmask_b32_e32 v2, v2, v4, vcc
	v_max_i32_e32 v39, 0, v2
	v_add_u32_e32 v3, 31, v39
	v_lshrrev_b32_e32 v3, 1, v3
	v_and_b32_e32 v3, 0x3ffffff0, v3
	v_cmp_lt_i32_e32 vcc, 0, v2
	v_max_i32_e32 v52, s70, v3
	s_and_b64 s[28:29], s[72:73], vcc
	v_mov_b32_e32 v2, 0
	s_and_saveexec_b64 s[42:43], s[28:29]
	s_cbranch_execz .LBB12_2919
; %bb.1369:                             ;   in Loop: Header=BB12_1368 Depth=2
	s_mov_b32 s75, 1
	s_mov_b64 s[78:79], -1
	v_mov_b32_e32 v54, 0
	v_lshlrev_b64 v[40:41], 1, v[0:1]
	s_mov_b64 s[76:77], 0
	buffer_store_dword v39, off, s[0:3], s33 offset:644 ; 4-byte Folded Spill
	buffer_store_dword v40, off, s[0:3], s33 offset:652 ; 4-byte Folded Spill
	s_nop 0
	buffer_store_dword v41, off, s[0:3], s33 offset:656 ; 4-byte Folded Spill
	s_branch .LBB12_1371
.LBB12_1370:                            ;   in Loop: Header=BB12_1371 Depth=3
	s_or_b64 exec, exec, s[28:29]
	v_add_u32_e32 v54, v52, v54
	v_cmp_ge_i32_e32 vcc, v54, v39
	s_xor_b64 s[28:29], s[78:79], -1
	s_or_b64 s[28:29], s[28:29], vcc
	s_and_b64 s[28:29], exec, s[28:29]
	s_or_b64 s[76:77], s[28:29], s[76:77]
	s_mov_b64 s[78:79], 0
	v_mov_b32_e32 v2, s75
	s_mov_b32 s75, 2
	s_andn2_b64 exec, exec, s[76:77]
	s_cbranch_execz .LBB12_2918
.LBB12_1371:                            ;   Parent Loop BB12_47 Depth=1
                                        ;     Parent Loop BB12_1368 Depth=2
                                        ; =>    This Loop Header: Depth=3
                                        ;         Child Loop BB12_1379 Depth 4
                                        ;         Child Loop BB12_1407 Depth 4
	;; [unrolled: 1-line block ×5, first 2 shown]
                                        ;           Child Loop BB12_2238 Depth 5
                                        ;           Child Loop BB12_2307 Depth 5
                                        ;         Child Loop BB12_2448 Depth 4
                                        ;         Child Loop BB12_2843 Depth 4
                                        ;           Child Loop BB12_2844 Depth 5
                                        ;           Child Loop BB12_2857 Depth 5
                                        ;         Child Loop BB12_2884 Depth 4
                                        ;         Child Loop BB12_2903 Depth 4
	s_and_saveexec_b64 s[28:29], s[4:5]
	s_cbranch_execz .LBB12_1373
; %bb.1372:                             ;   in Loop: Header=BB12_1371 Depth=3
	s_trap 2
	ds_read_b64 v[0:1], v0
	buffer_load_dword v2, off, s[0:3], s33 offset:584 ; 4-byte Folded Reload
	buffer_load_dword v3, off, s[0:3], s33 offset:588 ; 4-byte Folded Reload
	v_ashrrev_i32_e32 v55, 31, v54
	s_waitcnt vmcnt(0)
	v_lshlrev_b64 v[2:3], 1, v[2:3]
	s_waitcnt lgkmcnt(0)
	v_add_co_u32_e32 v0, vcc, v0, v2
	v_addc_co_u32_e32 v1, vcc, v1, v3, vcc
	v_add_co_u32_e32 v2, vcc, v0, v40
	v_addc_co_u32_e32 v3, vcc, v1, v41, vcc
	v_lshlrev_b64 v[0:1], 1, v[54:55]
	v_add_co_u32_e32 v0, vcc, v2, v0
	v_addc_co_u32_e32 v1, vcc, v3, v1, vcc
	ds_write_b64 v0, v[0:1]
	buffer_load_dword v0, off, s[0:3], s33 offset:128 ; 4-byte Folded Reload
	buffer_load_dword v1, off, s[0:3], s33 offset:132 ; 4-byte Folded Reload
	s_waitcnt vmcnt(0)
	v_mov_b32_e32 v1, v0
	v_mov_b32_e32 v2, v0
	buffer_store_dword v0, off, s[0:3], s33 offset:128 ; 4-byte Folded Spill
	s_nop 0
	buffer_store_dword v1, off, s[0:3], s33 offset:132 ; 4-byte Folded Spill
	ds_write_b64 v0, v[1:2]
.LBB12_1373:                            ;   in Loop: Header=BB12_1371 Depth=3
	s_or_b64 exec, exec, s[28:29]
	v_sub_u32_e32 v0, v39, v54
	v_min_i32_e32 v52, v52, v0
	buffer_load_dword v0, off, s[0:3], s33 offset:156 ; 4-byte Folded Reload
	s_waitcnt vmcnt(0)
	v_and_b32_e32 v0, 12, v0
	v_cmp_ne_u32_e32 vcc, 0, v0
	s_and_saveexec_b64 s[40:41], vcc
	s_cbranch_execz .LBB12_1399
; %bb.1374:                             ;   in Loop: Header=BB12_1371 Depth=3
	buffer_load_dword v0, off, s[0:3], s33 offset:156 ; 4-byte Folded Reload
	s_waitcnt vmcnt(0)
	v_and_b32_e32 v8, 8, v0
	buffer_load_dword v0, off, s[0:3], s33 offset:136 ; 4-byte Folded Reload
	buffer_load_dword v1, off, s[0:3], s33 offset:140 ; 4-byte Folded Reload
	s_waitcnt vmcnt(0)
	v_add_co_u32_e32 v2, vcc, v0, v8
	v_addc_co_u32_e32 v3, vcc, 0, v1, vcc
	buffer_load_dword v0, off, s[0:3], s33 offset:256 ; 4-byte Folded Reload
	buffer_load_dword v1, off, s[0:3], s33 offset:260 ; 4-byte Folded Reload
	s_waitcnt vmcnt(0)
	v_add_co_u32_e32 v0, vcc, 2, v0
	v_addc_co_u32_e32 v1, vcc, 0, v1, vcc
	v_cmp_lt_u64_e32 vcc, v[2:3], v[0:1]
	s_and_saveexec_b64 s[88:89], vcc
	s_cbranch_execz .LBB12_1386
; %bb.1375:                             ;   in Loop: Header=BB12_1371 Depth=3
	buffer_load_dword v2, off, s[0:3], s33 offset:156 ; 4-byte Folded Reload
	s_mov_b32 s65, 0
	s_mov_b64 s[90:91], 0
                                        ; implicit-def: $sgpr92_sgpr93
                                        ; implicit-def: $sgpr94_sgpr95
                                        ; implicit-def: $sgpr30_sgpr31
	s_waitcnt vmcnt(0)
	v_and_b32_e32 v2, 64, v2
	v_cmp_eq_u32_e32 vcc, 0, v2
	s_branch .LBB12_1379
.LBB12_1376:                            ;   in Loop: Header=BB12_1379 Depth=4
	buffer_load_dword v3, off, s[0:3], s33 offset:136 ; 4-byte Folded Reload
	buffer_load_dword v4, off, s[0:3], s33 offset:140 ; 4-byte Folded Reload
	s_or_b64 s[38:39], s[38:39], exec
	s_waitcnt vmcnt(1)
	v_add_co_u32_e64 v3, s[28:29], v3, v8
	s_waitcnt vmcnt(0)
	v_addc_co_u32_e64 v4, s[28:29], 0, v4, s[28:29]
	v_cmp_ge_u64_e64 s[28:29], v[3:4], v[0:1]
	s_orn2_b64 s[36:37], s[28:29], exec
.LBB12_1377:                            ;   in Loop: Header=BB12_1379 Depth=4
	s_or_b64 exec, exec, s[50:51]
	s_andn2_b64 s[28:29], s[30:31], exec
	s_and_b64 s[30:31], s[38:39], exec
	s_or_b64 s[30:31], s[28:29], s[30:31]
	s_andn2_b64 s[28:29], s[94:95], exec
	s_and_b64 s[94:95], s[36:37], exec
	s_or_b64 s[94:95], s[28:29], s[94:95]
.LBB12_1378:                            ;   in Loop: Header=BB12_1379 Depth=4
	s_or_b64 exec, exec, s[34:35]
	s_and_b64 s[28:29], exec, s[94:95]
	s_or_b64 s[90:91], s[28:29], s[90:91]
	s_andn2_b64 s[28:29], s[92:93], exec
	s_and_b64 s[92:93], s[30:31], exec
	s_or_b64 s[92:93], s[28:29], s[92:93]
	s_andn2_b64 exec, exec, s[90:91]
	s_cbranch_execz .LBB12_1383
.LBB12_1379:                            ;   Parent Loop BB12_47 Depth=1
                                        ;     Parent Loop BB12_1368 Depth=2
                                        ;       Parent Loop BB12_1371 Depth=3
                                        ; =>      This Inner Loop Header: Depth=4
	s_sleep 1
	buffer_load_dword v2, off, s[0:3], s33 offset:144 ; 4-byte Folded Reload
	buffer_load_dword v3, off, s[0:3], s33 offset:148 ; 4-byte Folded Reload
	s_or_b64 s[30:31], s[30:31], exec
	s_or_b64 s[94:95], s[94:95], exec
	s_waitcnt vmcnt(0)
	flat_load_dwordx2 v[2:3], v[2:3] glc
	s_waitcnt vmcnt(0) lgkmcnt(0)
	buffer_store_dword v2, off, s[0:3], s33 offset:136 ; 4-byte Folded Spill
	s_nop 0
	buffer_store_dword v3, off, s[0:3], s33 offset:140 ; 4-byte Folded Spill
                                        ; implicit-def: $vgpr2
	s_and_saveexec_b64 s[34:35], vcc
	s_cbranch_execz .LBB12_1378
; %bb.1380:                             ;   in Loop: Header=BB12_1379 Depth=4
	s_cmpk_lt_i32 s65, 0x270f
	s_cselect_b64 s[48:49], -1, 0
	s_cmpk_gt_i32 s65, 0x270e
	s_mov_b64 s[36:37], -1
	s_cbranch_scc0 .LBB12_1382
; %bb.1381:                             ;   in Loop: Header=BB12_1379 Depth=4
	s_trap 2
	ds_read_b64 v[2:3], v0
	s_andn2_b64 s[48:49], s[48:49], exec
	s_mov_b32 s65, 0
	s_mov_b64 s[38:39], 0
	s_waitcnt vmcnt(0) lgkmcnt(0)
	flat_load_dword v2, v[2:3] glc
	s_waitcnt vmcnt(0) lgkmcnt(0)
	buffer_wbinvl1_vol
	v_cmp_eq_u32_e64 s[28:29], 0, v2
	s_and_b64 s[28:29], s[28:29], exec
	s_or_b64 s[48:49], s[48:49], s[28:29]
	s_and_saveexec_b64 s[50:51], s[48:49]
	s_cbranch_execz .LBB12_1377
	s_branch .LBB12_1376
.LBB12_1382:                            ;   in Loop: Header=BB12_1379 Depth=4
	s_add_i32 s65, s65, 1
	s_mov_b64 s[38:39], -1
                                        ; implicit-def: $vgpr2
	s_and_saveexec_b64 s[50:51], s[48:49]
	s_cbranch_execz .LBB12_1377
	s_branch .LBB12_1376
.LBB12_1383:                            ;   in Loop: Header=BB12_1371 Depth=3
	s_or_b64 exec, exec, s[90:91]
	s_xor_b64 s[28:29], s[92:93], -1
	s_and_saveexec_b64 s[90:91], s[28:29]
	s_xor_b64 s[28:29], exec, s[90:91]
	s_cbranch_execz .LBB12_1385
; %bb.1384:                             ;   in Loop: Header=BB12_1371 Depth=3
	ds_write_b32 v0, v2
	s_trap 2
	buffer_load_dword v2, off, s[0:3], s33 offset:156 ; 4-byte Folded Reload
	s_waitcnt vmcnt(0)
	v_or_b32_e32 v2, 64, v2
	buffer_store_dword v2, off, s[0:3], s33 offset:156 ; 4-byte Folded Spill
.LBB12_1385:                            ;   in Loop: Header=BB12_1371 Depth=3
	s_or_b64 exec, exec, s[28:29]
.LBB12_1386:                            ;   in Loop: Header=BB12_1371 Depth=3
	s_or_b64 exec, exec, s[88:89]
	;;#ASMSTART
	s_wakeup
	;;#ASMEND
	buffer_load_dword v2, off, s[0:3], s33 offset:156 ; 4-byte Folded Reload
	s_waitcnt vmcnt(0)
	v_and_b32_e32 v2, 0x108, v2
	v_cmp_ne_u32_e32 vcc, s44, v2
                                        ; implicit-def: $vgpr2_vgpr3
	s_and_saveexec_b64 s[28:29], vcc
	s_xor_b64 s[28:29], exec, s[28:29]
	s_cbranch_execz .LBB12_1388
; %bb.1387:                             ;   in Loop: Header=BB12_1371 Depth=3
	buffer_load_dword v2, off, s[0:3], s33 offset:256 ; 4-byte Folded Reload
	buffer_load_dword v3, off, s[0:3], s33 offset:260 ; 4-byte Folded Reload
	;; [unrolled: 1-line block ×4, first 2 shown]
                                        ; implicit-def: $vgpr4_vgpr5
                                        ; kill: killed $vgpr4_vgpr5
	s_waitcnt vmcnt(0)
	v_and_b32_e32 v2, 7, v2
.LBB12_1388:                            ;   in Loop: Header=BB12_1371 Depth=3
	s_andn2_saveexec_b64 s[28:29], s[28:29]
	s_cbranch_execz .LBB12_1390
; %bb.1389:                             ;   in Loop: Header=BB12_1371 Depth=3
	buffer_load_dword v2, off, s[0:3], s33 offset:256 ; 4-byte Folded Reload
	buffer_load_dword v3, off, s[0:3], s33 offset:260 ; 4-byte Folded Reload
	;; [unrolled: 1-line block ×8, first 2 shown]
	v_ashrrev_i32_e32 v53, 31, v52
	s_waitcnt vmcnt(0)
	v_lshlrev_b64 v[6:7], 1, v[52:53]
	v_and_b32_e32 v2, 7, v2
	v_mad_u64_u32 v[4:5], s[88:89], v2, 24, v[3:4]
	v_mov_b32_e32 v3, v9
	flat_store_dwordx2 v[4:5], v[6:7] offset:8
.LBB12_1390:                            ;   in Loop: Header=BB12_1371 Depth=3
	s_or_b64 exec, exec, s[28:29]
	buffer_load_dword v4, off, s[0:3], s33 offset:156 ; 4-byte Folded Reload
	s_mov_b64 s[28:29], -1
	s_waitcnt vmcnt(0)
	v_and_b32_e32 v4, 0x100, v4
	v_cmp_ne_u32_e32 vcc, 0, v4
                                        ; implicit-def: $vgpr4_vgpr5
	s_and_saveexec_b64 s[88:89], vcc
	s_cbranch_execz .LBB12_1394
; %bb.1391:                             ;   in Loop: Header=BB12_1371 Depth=3
	buffer_load_dword v4, off, s[0:3], s33 offset:532 ; 4-byte Folded Reload
	buffer_load_dword v5, off, s[0:3], s33 offset:536 ; 4-byte Folded Reload
	;; [unrolled: 1-line block ×4, first 2 shown]
	s_waitcnt vmcnt(0)
	v_mad_u64_u32 v[6:7], s[28:29], v2, 24, v[4:5]
	v_mov_b32_e32 v4, v7
	v_mad_u64_u32 v[4:5], s[28:29], v3, 24, v[4:5]
	v_mov_b32_e32 v7, v4
	flat_load_dword v4, v[6:7]
	s_waitcnt vmcnt(0) lgkmcnt(0)
	v_cmp_ne_u32_e32 vcc, 1, v4
	v_cmp_eq_u32_e64 s[28:29], 1, v4
                                        ; implicit-def: $vgpr4_vgpr5
	s_and_saveexec_b64 s[90:91], s[28:29]
	s_cbranch_execz .LBB12_1393
; %bb.1392:                             ;   in Loop: Header=BB12_1371 Depth=3
	flat_load_dword v4, v[6:7] offset:4 glc
	s_waitcnt vmcnt(0) lgkmcnt(0)
	v_ashrrev_i32_e32 v5, 31, v4
	v_lshrrev_b64 v[4:5], 1, v[4:5]
.LBB12_1393:                            ;   in Loop: Header=BB12_1371 Depth=3
	s_or_b64 exec, exec, s[90:91]
	s_orn2_b64 s[28:29], vcc, exec
.LBB12_1394:                            ;   in Loop: Header=BB12_1371 Depth=3
	s_or_b64 exec, exec, s[88:89]
	s_and_saveexec_b64 s[88:89], s[28:29]
	s_cbranch_execz .LBB12_1396
; %bb.1395:                             ;   in Loop: Header=BB12_1371 Depth=3
	buffer_load_dword v4, off, s[0:3], s33 offset:564 ; 4-byte Folded Reload
	buffer_load_dword v5, off, s[0:3], s33 offset:576 ; 4-byte Folded Reload
	s_waitcnt vmcnt(0)
	v_mul_lo_u32 v3, v3, v4
	v_mul_lo_u32 v6, v2, v5
	v_mad_u64_u32 v[4:5], s[28:29], v2, v4, 0
	v_add3_u32 v5, v5, v6, v3
.LBB12_1396:                            ;   in Loop: Header=BB12_1371 Depth=3
	s_or_b64 exec, exec, s[88:89]
	v_cmp_eq_u32_e32 vcc, 0, v8
	v_mov_b32_e32 v2, 0xc8
	v_mov_b32_e32 v3, 0x90
	v_cndmask_b32_e32 v6, v2, v3, vcc
	v_lshlrev_b64 v[2:3], 1, v[4:5]
	buffer_load_dword v4, off, s[0:3], s33 offset:524 ; 4-byte Folded Reload
	buffer_load_dword v5, off, s[0:3], s33 offset:528 ; 4-byte Folded Reload
	s_waitcnt vmcnt(0)
	v_add_co_u32_e32 v2, vcc, v4, v2
	v_addc_co_u32_e32 v3, vcc, v5, v3, vcc
	v_add_u32_e32 v4, v0, v6
	ds_write_b64 v4, v[2:3] offset:584
	buffer_load_dword v2, off, s[0:3], s33 offset:156 ; 4-byte Folded Reload
	s_waitcnt vmcnt(0)
	v_and_b32_e32 v2, 0x2000, v2
	v_cmp_ne_u32_e32 vcc, 0, v2
	s_and_saveexec_b64 s[28:29], vcc
	s_cbranch_execz .LBB12_1398
; %bb.1397:                             ;   in Loop: Header=BB12_1371 Depth=3
	ds_read_b64 v[2:3], v0 offset:872
	s_waitcnt lgkmcnt(0)
	v_add_co_u32_e32 v2, vcc, 1, v2
	v_addc_co_u32_e32 v3, vcc, 0, v3, vcc
	ds_write_b64 v0, v[2:3] offset:872
.LBB12_1398:                            ;   in Loop: Header=BB12_1371 Depth=3
	s_or_b64 exec, exec, s[28:29]
	buffer_store_dword v0, off, s[0:3], s33 offset:256 ; 4-byte Folded Spill
	s_nop 0
	buffer_store_dword v1, off, s[0:3], s33 offset:260 ; 4-byte Folded Spill
.LBB12_1399:                            ;   in Loop: Header=BB12_1371 Depth=3
	s_or_b64 exec, exec, s[40:41]
	s_and_saveexec_b64 s[28:29], s[10:11]
	s_cbranch_execz .LBB12_1418
; %bb.1400:                             ;   in Loop: Header=BB12_1371 Depth=3
	s_and_saveexec_b64 s[40:41], s[56:57]
	s_xor_b64 s[40:41], exec, s[40:41]
	s_cbranch_execz .LBB12_1415
; %bb.1401:                             ;   in Loop: Header=BB12_1371 Depth=3
	s_and_saveexec_b64 s[88:89], s[16:17]
	s_cbranch_execz .LBB12_1414
; %bb.1402:                             ;   in Loop: Header=BB12_1371 Depth=3
	s_mov_b64 s[92:93], exec
	v_mbcnt_lo_u32_b32 v0, s92, 0
	v_mbcnt_hi_u32_b32 v0, s93, v0
	v_cmp_eq_u32_e32 vcc, 0, v0
	s_waitcnt vmcnt(0) lgkmcnt(0)
	buffer_wbinvl1_vol
	s_and_saveexec_b64 s[90:91], vcc
	s_cbranch_execz .LBB12_1404
; %bb.1403:                             ;   in Loop: Header=BB12_1371 Depth=3
	buffer_load_dword v1, off, s[0:3], s33 offset:128 ; 4-byte Folded Reload
	buffer_load_dword v2, off, s[0:3], s33 offset:132 ; 4-byte Folded Reload
	s_bcnt1_i32_b64 s9, s[92:93]
	v_mov_b32_e32 v0, s9
	s_waitcnt vmcnt(1)
	ds_add_u64 v0, v[0:1]
	s_trap 2
.LBB12_1404:                            ;   in Loop: Header=BB12_1371 Depth=3
	s_or_b64 exec, exec, s[90:91]
	s_trap 2
	ds_read_b64 v[0:1], v0
	s_waitcnt lgkmcnt(0)
	buffer_load_dword v2, off, s[0:3], s33 offset:152 ; 4-byte Folded Reload
	buffer_load_dword v3, off, s[0:3], s33 offset:160 ; 4-byte Folded Reload
	buffer_load_dword v4, off, s[0:3], s33 offset:164 ; 4-byte Folded Reload
	s_waitcnt vmcnt(1)
	v_add_co_u32_e32 v3, vcc, v3, v2
	s_waitcnt vmcnt(0)
	v_addc_co_u32_e32 v4, vcc, 0, v4, vcc
	buffer_store_dword v3, off, s[0:3], s33 offset:160 ; 4-byte Folded Spill
	s_nop 0
	buffer_store_dword v4, off, s[0:3], s33 offset:164 ; 4-byte Folded Spill
	v_cmp_lt_u64_e32 vcc, v[0:1], v[3:4]
	s_and_saveexec_b64 s[90:91], vcc
	s_cbranch_execz .LBB12_1413
; %bb.1405:                             ;   in Loop: Header=BB12_1371 Depth=3
	s_mov_b32 s9, 0
	s_mov_b64 s[92:93], 0
                                        ; implicit-def: $sgpr94_sgpr95
                                        ; implicit-def: $sgpr30_sgpr31
	s_branch .LBB12_1407
.LBB12_1406:                            ;   in Loop: Header=BB12_1407 Depth=4
	s_or_b64 exec, exec, s[36:37]
	s_and_b64 vcc, exec, vcc
	s_or_b64 s[92:93], vcc, s[92:93]
	s_andn2_b64 s[94:95], s[94:95], exec
	s_and_b64 vcc, s[30:31], exec
	s_or_b64 s[94:95], s[94:95], vcc
	s_andn2_b64 exec, exec, s[92:93]
	s_cbranch_execz .LBB12_1411
.LBB12_1407:                            ;   Parent Loop BB12_47 Depth=1
                                        ;     Parent Loop BB12_1368 Depth=2
                                        ;       Parent Loop BB12_1371 Depth=3
                                        ; =>      This Inner Loop Header: Depth=4
	s_add_i32 s9, s9, 1
	s_cmpk_lg_i32 s9, 0x2710
	s_cselect_b64 s[34:35], -1, 0
	s_and_b64 vcc, exec, s[34:35]
	s_cbranch_vccz .LBB12_1409
; %bb.1408:                             ;   in Loop: Header=BB12_1407 Depth=4
	s_mov_b64 vcc, -1
	s_or_b64 s[30:31], s[30:31], exec
	s_and_saveexec_b64 s[36:37], s[34:35]
	s_cbranch_execz .LBB12_1406
	s_branch .LBB12_1410
.LBB12_1409:                            ;   in Loop: Header=BB12_1407 Depth=4
	s_trap 2
	ds_read_b64 v[0:1], v0
	s_andn2_b64 s[34:35], s[34:35], exec
	s_mov_b32 s9, 0
	s_waitcnt vmcnt(0) lgkmcnt(0)
	flat_load_dword v0, v[0:1] glc
	s_waitcnt vmcnt(0) lgkmcnt(0)
	buffer_wbinvl1_vol
	v_cmp_eq_u32_e32 vcc, 0, v0
	s_and_b64 vcc, vcc, exec
	s_or_b64 s[34:35], s[34:35], vcc
	s_mov_b64 vcc, -1
	s_or_b64 s[30:31], s[30:31], exec
	s_and_saveexec_b64 s[36:37], s[34:35]
	s_cbranch_execz .LBB12_1406
.LBB12_1410:                            ;   in Loop: Header=BB12_1407 Depth=4
	s_sleep 1
	s_trap 2
	ds_read_b64 v[0:1], v0
	s_waitcnt lgkmcnt(0)
	buffer_load_dword v2, off, s[0:3], s33 offset:160 ; 4-byte Folded Reload
	buffer_load_dword v3, off, s[0:3], s33 offset:164 ; 4-byte Folded Reload
	s_andn2_b64 s[30:31], s[30:31], exec
	s_waitcnt vmcnt(0)
	v_cmp_ge_u64_e32 vcc, v[0:1], v[2:3]
	s_orn2_b64 vcc, vcc, exec
	s_branch .LBB12_1406
.LBB12_1411:                            ;   in Loop: Header=BB12_1371 Depth=3
	s_or_b64 exec, exec, s[92:93]
	s_and_saveexec_b64 s[92:93], s[94:95]
	s_xor_b64 s[92:93], exec, s[92:93]
	s_cbranch_execz .LBB12_1413
; %bb.1412:                             ;   in Loop: Header=BB12_1371 Depth=3
	v_mov_b32_e32 v0, 1
	ds_write_b32 v0, v0
	s_trap 2
.LBB12_1413:                            ;   in Loop: Header=BB12_1371 Depth=3
	s_or_b64 exec, exec, s[90:91]
	;;#ASMSTART
	s_wakeup
	;;#ASMEND
.LBB12_1414:                            ;   in Loop: Header=BB12_1371 Depth=3
	s_or_b64 exec, exec, s[88:89]
.LBB12_1415:                            ;   in Loop: Header=BB12_1371 Depth=3
	s_andn2_saveexec_b64 s[40:41], s[40:41]
	s_cbranch_execz .LBB12_1417
; %bb.1416:                             ;   in Loop: Header=BB12_1371 Depth=3
	s_waitcnt vmcnt(0) lgkmcnt(0)
	buffer_wbinvl1_vol
	s_barrier
.LBB12_1417:                            ;   in Loop: Header=BB12_1371 Depth=3
	s_or_b64 exec, exec, s[40:41]
.LBB12_1418:                            ;   in Loop: Header=BB12_1371 Depth=3
	s_or_b64 exec, exec, s[28:29]
	s_trap 2
	buffer_load_dword v1, off, s[0:3], s33 offset:156 ; 4-byte Folded Reload
	ds_read_b32 v0, v0
	s_xor_b64 s[28:29], s[6:7], -1
	s_waitcnt vmcnt(0)
	v_and_b32_e32 v1, 0x4000, v1
	v_cmp_ne_u32_e32 vcc, 0, v1
	s_and_b64 s[40:41], s[28:29], vcc
	s_and_saveexec_b64 s[28:29], s[40:41]
	s_cbranch_execz .LBB12_1437
; %bb.1419:                             ;   in Loop: Header=BB12_1371 Depth=3
	s_and_saveexec_b64 s[40:41], s[56:57]
	s_xor_b64 s[40:41], exec, s[40:41]
	s_cbranch_execz .LBB12_1434
; %bb.1420:                             ;   in Loop: Header=BB12_1371 Depth=3
	s_and_saveexec_b64 s[88:89], s[16:17]
	s_cbranch_execz .LBB12_1433
; %bb.1421:                             ;   in Loop: Header=BB12_1371 Depth=3
	s_mov_b64 s[92:93], exec
	v_mbcnt_lo_u32_b32 v1, s92, 0
	v_mbcnt_hi_u32_b32 v1, s93, v1
	v_cmp_eq_u32_e32 vcc, 0, v1
	s_waitcnt lgkmcnt(0)
	buffer_wbinvl1_vol
	s_and_saveexec_b64 s[90:91], vcc
	s_cbranch_execz .LBB12_1423
; %bb.1422:                             ;   in Loop: Header=BB12_1371 Depth=3
	buffer_load_dword v2, off, s[0:3], s33 offset:128 ; 4-byte Folded Reload
	buffer_load_dword v3, off, s[0:3], s33 offset:132 ; 4-byte Folded Reload
	s_bcnt1_i32_b64 s9, s[92:93]
	v_mov_b32_e32 v1, s9
	s_waitcnt vmcnt(1)
	ds_add_u64 v0, v[1:2]
	s_trap 2
.LBB12_1423:                            ;   in Loop: Header=BB12_1371 Depth=3
	s_or_b64 exec, exec, s[90:91]
	s_trap 2
	ds_read_b64 v[1:2], v0
	s_waitcnt lgkmcnt(0)
	buffer_load_dword v3, off, s[0:3], s33 offset:152 ; 4-byte Folded Reload
	buffer_load_dword v4, off, s[0:3], s33 offset:160 ; 4-byte Folded Reload
	;; [unrolled: 1-line block ×3, first 2 shown]
	s_waitcnt vmcnt(1)
	v_add_co_u32_e32 v4, vcc, v4, v3
	s_waitcnt vmcnt(0)
	v_addc_co_u32_e32 v5, vcc, 0, v5, vcc
	buffer_store_dword v4, off, s[0:3], s33 offset:160 ; 4-byte Folded Spill
	s_nop 0
	buffer_store_dword v5, off, s[0:3], s33 offset:164 ; 4-byte Folded Spill
	v_cmp_lt_u64_e32 vcc, v[1:2], v[4:5]
	s_and_saveexec_b64 s[90:91], vcc
	s_cbranch_execz .LBB12_1432
; %bb.1424:                             ;   in Loop: Header=BB12_1371 Depth=3
	s_mov_b32 s9, 0
	s_mov_b64 s[92:93], 0
                                        ; implicit-def: $sgpr94_sgpr95
                                        ; implicit-def: $sgpr30_sgpr31
	s_branch .LBB12_1426
.LBB12_1425:                            ;   in Loop: Header=BB12_1426 Depth=4
	s_or_b64 exec, exec, s[36:37]
	s_and_b64 vcc, exec, vcc
	s_or_b64 s[92:93], vcc, s[92:93]
	s_andn2_b64 s[94:95], s[94:95], exec
	s_and_b64 vcc, s[30:31], exec
	s_or_b64 s[94:95], s[94:95], vcc
	s_andn2_b64 exec, exec, s[92:93]
	s_cbranch_execz .LBB12_1430
.LBB12_1426:                            ;   Parent Loop BB12_47 Depth=1
                                        ;     Parent Loop BB12_1368 Depth=2
                                        ;       Parent Loop BB12_1371 Depth=3
                                        ; =>      This Inner Loop Header: Depth=4
	s_add_i32 s9, s9, 1
	s_cmpk_lg_i32 s9, 0x2710
	s_cselect_b64 s[34:35], -1, 0
	s_and_b64 vcc, exec, s[34:35]
	s_cbranch_vccz .LBB12_1428
; %bb.1427:                             ;   in Loop: Header=BB12_1426 Depth=4
	s_mov_b64 vcc, -1
	s_or_b64 s[30:31], s[30:31], exec
	s_and_saveexec_b64 s[36:37], s[34:35]
	s_cbranch_execz .LBB12_1425
	s_branch .LBB12_1429
.LBB12_1428:                            ;   in Loop: Header=BB12_1426 Depth=4
	s_trap 2
	ds_read_b64 v[1:2], v0
	s_andn2_b64 s[34:35], s[34:35], exec
	s_mov_b32 s9, 0
	s_waitcnt vmcnt(0) lgkmcnt(0)
	flat_load_dword v1, v[1:2] glc
	s_waitcnt vmcnt(0) lgkmcnt(0)
	buffer_wbinvl1_vol
	v_cmp_eq_u32_e32 vcc, 0, v1
	s_and_b64 vcc, vcc, exec
	s_or_b64 s[34:35], s[34:35], vcc
	s_mov_b64 vcc, -1
	s_or_b64 s[30:31], s[30:31], exec
	s_and_saveexec_b64 s[36:37], s[34:35]
	s_cbranch_execz .LBB12_1425
.LBB12_1429:                            ;   in Loop: Header=BB12_1426 Depth=4
	s_sleep 1
	s_trap 2
	ds_read_b64 v[1:2], v0
	s_waitcnt lgkmcnt(0)
	buffer_load_dword v3, off, s[0:3], s33 offset:160 ; 4-byte Folded Reload
	buffer_load_dword v4, off, s[0:3], s33 offset:164 ; 4-byte Folded Reload
	s_andn2_b64 s[30:31], s[30:31], exec
	s_waitcnt vmcnt(0)
	v_cmp_ge_u64_e32 vcc, v[1:2], v[3:4]
	s_orn2_b64 vcc, vcc, exec
	s_branch .LBB12_1425
.LBB12_1430:                            ;   in Loop: Header=BB12_1371 Depth=3
	s_or_b64 exec, exec, s[92:93]
	s_and_saveexec_b64 s[92:93], s[94:95]
	s_xor_b64 s[92:93], exec, s[92:93]
	s_cbranch_execz .LBB12_1432
; %bb.1431:                             ;   in Loop: Header=BB12_1371 Depth=3
	v_mov_b32_e32 v1, 1
	ds_write_b32 v0, v1
	s_trap 2
.LBB12_1432:                            ;   in Loop: Header=BB12_1371 Depth=3
	s_or_b64 exec, exec, s[90:91]
	;;#ASMSTART
	s_wakeup
	;;#ASMEND
.LBB12_1433:                            ;   in Loop: Header=BB12_1371 Depth=3
	s_or_b64 exec, exec, s[88:89]
.LBB12_1434:                            ;   in Loop: Header=BB12_1371 Depth=3
	s_andn2_saveexec_b64 s[40:41], s[40:41]
	s_cbranch_execz .LBB12_1436
; %bb.1435:                             ;   in Loop: Header=BB12_1371 Depth=3
	s_waitcnt vmcnt(0) lgkmcnt(0)
	buffer_wbinvl1_vol
	s_barrier
.LBB12_1436:                            ;   in Loop: Header=BB12_1371 Depth=3
	s_or_b64 exec, exec, s[40:41]
.LBB12_1437:                            ;   in Loop: Header=BB12_1371 Depth=3
	s_or_b64 exec, exec, s[28:29]
	s_trap 2
	s_waitcnt lgkmcnt(0)
	ds_read_b64 v[1:2], v0
	s_waitcnt lgkmcnt(0)
	buffer_store_dword v1, off, s[0:3], s33 offset:556 ; 4-byte Folded Spill
	s_nop 0
	buffer_store_dword v2, off, s[0:3], s33 offset:560 ; 4-byte Folded Spill
	v_cmp_eq_u64_e32 vcc, 0, v[1:2]
	s_cbranch_vccnz .LBB12_1445
; %bb.1438:                             ;   in Loop: Header=BB12_1371 Depth=3
	s_trap 2
	ds_read_b64 v[42:43], v0
	s_waitcnt lgkmcnt(0)
	v_cmp_eq_u64_e32 vcc, 0, v[42:43]
	s_cbranch_vccnz .LBB12_1445
; %bb.1439:                             ;   in Loop: Header=BB12_1371 Depth=3
	s_mov_b64 s[40:41], -1
	s_and_saveexec_b64 s[28:29], s[22:23]
	s_cbranch_execz .LBB12_1441
; %bb.1440:                             ;   in Loop: Header=BB12_1371 Depth=3
	ds_read_b32 v1, v0 offset:720
	s_waitcnt lgkmcnt(0)
	v_and_b32_e32 v1, 15, v1
	v_cmp_eq_u32_e32 vcc, 0, v1
	s_orn2_b64 s[40:41], vcc, exec
.LBB12_1441:                            ;   in Loop: Header=BB12_1371 Depth=3
	s_or_b64 exec, exec, s[28:29]
	s_and_saveexec_b64 s[28:29], s[20:21]
	s_cbranch_execz .LBB12_1443
; %bb.1442:                             ;   in Loop: Header=BB12_1371 Depth=3
	ds_read_b32 v1, v0 offset:784
	s_waitcnt lgkmcnt(0)
	v_and_b32_e32 v1, 15, v1
	v_cmp_eq_u32_e32 vcc, 0, v1
	s_and_b64 s[88:89], s[40:41], vcc
	s_andn2_b64 s[40:41], s[40:41], exec
	s_and_b64 s[88:89], s[88:89], exec
	s_or_b64 s[40:41], s[40:41], s[88:89]
.LBB12_1443:                            ;   in Loop: Header=BB12_1371 Depth=3
	s_or_b64 exec, exec, s[28:29]
	s_xor_b64 s[40:41], s[40:41], -1
	v_cmp_eq_u32_e64 s[28:29], 0, v0
	v_cndmask_b32_e64 v0, 0, 1, s[40:41]
	s_mov_b64 s[90:91], -1
	v_cmp_ne_u32_e32 vcc, 0, v0
	s_cbranch_vccz .LBB12_1450
; %bb.1444:                             ;   in Loop: Header=BB12_1371 Depth=3
	s_mov_b64 s[90:91], 0
	s_mov_b64 s[88:89], -1
	s_branch .LBB12_1451
.LBB12_1445:                            ;   in Loop: Header=BB12_1371 Depth=3
	s_mov_b64 s[28:29], 0
	s_and_saveexec_b64 s[40:41], s[10:11]
	s_cbranch_execnz .LBB12_2877
.LBB12_1446:                            ;   in Loop: Header=BB12_1371 Depth=3
	s_or_b64 exec, exec, s[40:41]
                                        ; implicit-def: $vgpr0
	s_and_saveexec_b64 s[40:41], s[24:25]
	s_xor_b64 s[40:41], exec, s[40:41]
	s_cbranch_execz .LBB12_2895
.LBB12_1447:                            ;   in Loop: Header=BB12_1371 Depth=3
	buffer_load_dword v1, off, s[0:3], s33 offset:156 ; 4-byte Folded Reload
	s_waitcnt vmcnt(0)
	v_and_b32_e32 v0, 16, v1
	v_and_b32_e32 v1, 16, v1
	v_cmp_ne_u32_e32 vcc, 0, v1
	s_and_b64 s[88:89], vcc, s[28:29]
	s_and_saveexec_b64 s[28:29], s[88:89]
	s_cbranch_execz .LBB12_1449
; %bb.1448:                             ;   in Loop: Header=BB12_1371 Depth=3
	v_mov_b32_e32 v0, 1
	s_waitcnt lgkmcnt(0)
	buffer_wbinvl1_vol
.LBB12_1449:                            ;   in Loop: Header=BB12_1371 Depth=3
	s_or_b64 exec, exec, s[28:29]
	s_andn2_saveexec_b64 s[28:29], s[40:41]
	s_cbranch_execz .LBB12_2914
	s_branch .LBB12_2896
.LBB12_1450:                            ;   in Loop: Header=BB12_1371 Depth=3
	s_mov_b64 s[88:89], 0
.LBB12_1451:                            ;   in Loop: Header=BB12_1371 Depth=3
	v_cndmask_b32_e64 v53, 0, v52, s[28:29]
	v_lshlrev_b32_e32 v55, 1, v53
	s_andn2_b64 vcc, exec, s[90:91]
	v_mov_b32_e32 v6, 0
	s_cbranch_vccnz .LBB12_1973
; %bb.1452:                             ;   in Loop: Header=BB12_1371 Depth=3
	v_ashrrev_i32_e32 v0, 31, v55
	v_lshrrev_b32_e32 v0, 20, v0
	v_add_u32_e32 v0, v55, v0
	v_ashrrev_i32_e32 v56, 12, v0
	buffer_load_dword v0, off, s[0:3], s33 offset:600 ; 4-byte Folded Reload
	s_mov_b64 s[40:41], 0
                                        ; implicit-def: $vgpr28_vgpr29
                                        ; implicit-def: $vgpr44_vgpr45
                                        ; implicit-def: $vgpr48_vgpr49
                                        ; implicit-def: $vgpr24_vgpr25
	s_waitcnt vmcnt(0)
	v_sub_u32_e32 v2, v56, v0
	buffer_load_dword v0, off, s[0:3], s33 offset:592 ; 4-byte Folded Reload
	s_waitcnt vmcnt(0)
	v_add_co_u32_e32 v0, vcc, v42, v0
	v_addc_co_u32_e32 v1, vcc, 0, v43, vcc
	buffer_store_dword v2, off, s[0:3], s33 offset:240 ; 4-byte Folded Spill
	v_cmp_lt_i32_e32 vcc, 0, v2
                                        ; implicit-def: $vgpr2_vgpr3
	buffer_store_dword v2, off, s[0:3], s33 offset:216 ; 4-byte Folded Spill
	s_nop 0
	buffer_store_dword v3, off, s[0:3], s33 offset:220 ; 4-byte Folded Spill
	buffer_store_dword v4, off, s[0:3], s33 offset:224 ; 4-byte Folded Spill
	buffer_store_dword v5, off, s[0:3], s33 offset:228 ; 4-byte Folded Spill
                                        ; implicit-def: $vgpr2_vgpr3
	buffer_store_dword v2, off, s[0:3], s33 offset:200 ; 4-byte Folded Spill
	s_nop 0
	buffer_store_dword v3, off, s[0:3], s33 offset:204 ; 4-byte Folded Spill
	buffer_store_dword v4, off, s[0:3], s33 offset:208 ; 4-byte Folded Spill
	buffer_store_dword v5, off, s[0:3], s33 offset:212 ; 4-byte Folded Spill
	;; [unrolled: 6-line block ×4, first 2 shown]
	s_and_saveexec_b64 s[28:29], vcc
	s_cbranch_execz .LBB12_1975
; %bb.1453:                             ;   in Loop: Header=BB12_1371 Depth=3
	buffer_store_dword v56, off, s[0:3], s33 offset:660 ; 4-byte Folded Spill
	buffer_store_dword v55, off, s[0:3], s33 offset:636 ; 4-byte Folded Spill
	;; [unrolled: 1-line block ×3, first 2 shown]
	s_nop 0
	buffer_store_dword v43, off, s[0:3], s33 offset:632 ; 4-byte Folded Spill
	buffer_store_dword v53, off, s[0:3], s33 offset:620 ; 4-byte Folded Spill
	;; [unrolled: 1-line block ×3, first 2 shown]
	s_nop 0
	buffer_store_dword v55, off, s[0:3], s33 offset:616 ; 4-byte Folded Spill
	buffer_store_dword v52, off, s[0:3], s33 offset:604 ; 4-byte Folded Spill
	s_nop 0
	buffer_store_dword v53, off, s[0:3], s33 offset:608 ; 4-byte Folded Spill
	s_trap 2
	ds_read_b64 v[2:3], v0
	ds_read_b32 v4, v0
	buffer_load_dword v5, off, s[0:3], s33 offset:592 ; 4-byte Folded Reload
	s_mov_b64 s[92:93], 0
                                        ; implicit-def: $sgpr90_sgpr91
                                        ; implicit-def: $vgpr28_vgpr29
                                        ; implicit-def: $vgpr44_vgpr45
                                        ; implicit-def: $vgpr48_vgpr49
                                        ; implicit-def: $vgpr24_vgpr25
	s_waitcnt lgkmcnt(0)
	v_lshlrev_b32_e32 v61, 16, v4
	s_waitcnt vmcnt(0)
	v_add_co_u32_e32 v14, vcc, v2, v5
	v_addc_co_u32_e32 v15, vcc, 0, v3, vcc
	buffer_load_dword v2, off, s[0:3], s33 offset:556 ; 4-byte Folded Reload
	buffer_load_dword v3, off, s[0:3], s33 offset:560 ; 4-byte Folded Reload
	s_waitcnt vmcnt(1)
	v_add_co_u32_e32 v16, vcc, v2, v5
	s_waitcnt vmcnt(0)
	v_addc_co_u32_e32 v17, vcc, 0, v3, vcc
                                        ; implicit-def: $vgpr2_vgpr3
	buffer_store_dword v2, off, s[0:3], s33 offset:216 ; 4-byte Folded Spill
	s_nop 0
	buffer_store_dword v3, off, s[0:3], s33 offset:220 ; 4-byte Folded Spill
	buffer_store_dword v4, off, s[0:3], s33 offset:224 ; 4-byte Folded Spill
	buffer_store_dword v5, off, s[0:3], s33 offset:228 ; 4-byte Folded Spill
                                        ; implicit-def: $vgpr2_vgpr3
	buffer_store_dword v2, off, s[0:3], s33 offset:200 ; 4-byte Folded Spill
	s_nop 0
	buffer_store_dword v3, off, s[0:3], s33 offset:204 ; 4-byte Folded Spill
	buffer_store_dword v4, off, s[0:3], s33 offset:208 ; 4-byte Folded Spill
	buffer_store_dword v5, off, s[0:3], s33 offset:212 ; 4-byte Folded Spill
	;; [unrolled: 6-line block ×4, first 2 shown]
	s_branch .LBB12_1455
.LBB12_1454:                            ;   in Loop: Header=BB12_1455 Depth=4
	s_or_b64 exec, exec, s[94:95]
	buffer_load_dword v2, off, s[0:3], s33 offset:240 ; 4-byte Folded Reload
	s_waitcnt vmcnt(0)
	v_cmp_gt_i32_e32 vcc, 1, v2
	s_or_b64 s[40:41], vcc, s[40:41]
	s_andn2_b64 s[90:91], s[90:91], exec
	s_and_b64 s[94:95], s[92:93], exec
	s_or_b64 s[90:91], s[90:91], s[94:95]
	s_andn2_b64 exec, exec, s[40:41]
	s_cbranch_execz .LBB12_1974
.LBB12_1455:                            ;   Parent Loop BB12_47 Depth=1
                                        ;     Parent Loop BB12_1368 Depth=2
                                        ;       Parent Loop BB12_1371 Depth=3
                                        ; =>      This Inner Loop Header: Depth=4
	global_load_dwordx4 v[10:13], v[16:17], off glc slc
	global_load_dwordx4 v[6:9], v[16:17], off offset:1024 glc slc
	global_load_dwordx4 v[2:5], v[16:17], off offset:2048 glc slc
	;; [unrolled: 1-line block ×3, first 2 shown]
	global_load_dwordx4 v[40:43], v[14:15], off glc slc
	global_load_dwordx4 v[52:55], v[14:15], off offset:1024 glc slc
	global_load_dwordx4 v[36:39], v[14:15], off offset:2048 glc slc
	;; [unrolled: 1-line block ×3, first 2 shown]
	s_and_saveexec_b64 s[94:95], s[92:93]
	s_cbranch_execz .LBB12_1713
; %bb.1456:                             ;   in Loop: Header=BB12_1455 Depth=4
	v_lshlrev_b32_e32 v18, 16, v28
	v_mul_f32_e32 v18, v61, v18
	v_and_b32_e32 v19, 0x7f800000, v18
	v_cmp_ne_u32_e32 vcc, s97, v19
                                        ; implicit-def: $vgpr60
	s_and_saveexec_b64 s[92:93], vcc
	s_xor_b64 s[92:93], exec, s[92:93]
; %bb.1457:                             ;   in Loop: Header=BB12_1455 Depth=4
	v_bfe_u32 v19, v18, 16, 1
	v_add3_u32 v60, v18, v19, s46
                                        ; implicit-def: $vgpr18
; %bb.1458:                             ;   in Loop: Header=BB12_1455 Depth=4
	s_andn2_saveexec_b64 s[92:93], s[92:93]
	s_cbranch_execz .LBB12_1460
; %bb.1459:                             ;   in Loop: Header=BB12_1455 Depth=4
	buffer_load_dword v20, off, s[0:3], s33 offset:128 ; 4-byte Folded Reload
	buffer_load_dword v21, off, s[0:3], s33 offset:132 ; 4-byte Folded Reload
	v_or_b32_e32 v19, 0x10000, v18
	s_waitcnt vmcnt(1)
	v_cmp_eq_u32_sdwa vcc, v18, v20 src0_sel:WORD_0 src1_sel:DWORD
	v_cndmask_b32_e32 v60, v19, v18, vcc
.LBB12_1460:                            ;   in Loop: Header=BB12_1455 Depth=4
	s_or_b64 exec, exec, s[92:93]
	v_and_b32_e32 v18, 0xffff0000, v28
	v_mul_f32_e32 v18, v61, v18
	v_and_b32_e32 v19, 0x7f800000, v18
	v_cmp_ne_u32_e32 vcc, s97, v19
                                        ; implicit-def: $vgpr23
	s_and_saveexec_b64 s[92:93], vcc
	s_xor_b64 s[92:93], exec, s[92:93]
; %bb.1461:                             ;   in Loop: Header=BB12_1455 Depth=4
	v_bfe_u32 v19, v18, 16, 1
	v_add3_u32 v23, v18, v19, s46
                                        ; implicit-def: $vgpr18
; %bb.1462:                             ;   in Loop: Header=BB12_1455 Depth=4
	s_andn2_saveexec_b64 s[92:93], s[92:93]
	s_cbranch_execz .LBB12_1464
; %bb.1463:                             ;   in Loop: Header=BB12_1455 Depth=4
	buffer_load_dword v20, off, s[0:3], s33 offset:128 ; 4-byte Folded Reload
	buffer_load_dword v21, off, s[0:3], s33 offset:132 ; 4-byte Folded Reload
	v_or_b32_e32 v19, 0x10000, v18
	s_waitcnt vmcnt(1)
	v_cmp_eq_u32_sdwa vcc, v18, v20 src0_sel:WORD_0 src1_sel:DWORD
	v_cndmask_b32_e32 v23, v19, v18, vcc
.LBB12_1464:                            ;   in Loop: Header=BB12_1455 Depth=4
	s_or_b64 exec, exec, s[92:93]
	v_lshlrev_b32_e32 v18, 16, v29
	v_mul_f32_e32 v19, v61, v18
	v_and_b32_e32 v18, 0x7f800000, v19
	v_cmp_ne_u32_e32 vcc, s97, v18
                                        ; implicit-def: $vgpr18
	s_and_saveexec_b64 s[92:93], vcc
	s_xor_b64 s[92:93], exec, s[92:93]
; %bb.1465:                             ;   in Loop: Header=BB12_1455 Depth=4
	v_bfe_u32 v18, v19, 16, 1
	v_add3_u32 v18, v19, v18, s46
                                        ; implicit-def: $vgpr19
; %bb.1466:                             ;   in Loop: Header=BB12_1455 Depth=4
	s_andn2_saveexec_b64 s[92:93], s[92:93]
	s_cbranch_execz .LBB12_1468
; %bb.1467:                             ;   in Loop: Header=BB12_1455 Depth=4
	buffer_load_dword v20, off, s[0:3], s33 offset:128 ; 4-byte Folded Reload
	buffer_load_dword v21, off, s[0:3], s33 offset:132 ; 4-byte Folded Reload
	v_or_b32_e32 v18, 0x10000, v19
	s_waitcnt vmcnt(1)
	v_cmp_eq_u32_sdwa vcc, v19, v20 src0_sel:WORD_0 src1_sel:DWORD
	v_cndmask_b32_e32 v18, v18, v19, vcc
.LBB12_1468:                            ;   in Loop: Header=BB12_1455 Depth=4
	s_or_b64 exec, exec, s[92:93]
	v_and_b32_e32 v19, 0xffff0000, v29
	v_mul_f32_e32 v19, v61, v19
	v_and_b32_e32 v20, 0x7f800000, v19
	v_cmp_ne_u32_e32 vcc, s97, v20
                                        ; implicit-def: $vgpr21
	s_and_saveexec_b64 s[92:93], vcc
	s_xor_b64 s[92:93], exec, s[92:93]
	s_cbranch_execz .LBB12_1470
; %bb.1469:                             ;   in Loop: Header=BB12_1455 Depth=4
	v_bfe_u32 v20, v19, 16, 1
	s_waitcnt vmcnt(0)
	v_add3_u32 v21, v19, v20, s46
                                        ; implicit-def: $vgpr19
.LBB12_1470:                            ;   in Loop: Header=BB12_1455 Depth=4
	s_andn2_saveexec_b64 s[92:93], s[92:93]
	s_cbranch_execz .LBB12_1472
; %bb.1471:                             ;   in Loop: Header=BB12_1455 Depth=4
	buffer_load_dword v21, off, s[0:3], s33 offset:128 ; 4-byte Folded Reload
	buffer_load_dword v22, off, s[0:3], s33 offset:132 ; 4-byte Folded Reload
	v_or_b32_e32 v20, 0x10000, v19
	s_waitcnt vmcnt(1)
	v_cmp_eq_u32_sdwa vcc, v19, v21 src0_sel:WORD_0 src1_sel:DWORD
	v_cndmask_b32_e32 v21, v20, v19, vcc
.LBB12_1472:                            ;   in Loop: Header=BB12_1455 Depth=4
	s_or_b64 exec, exec, s[92:93]
	v_lshlrev_b32_e32 v19, 16, v30
	v_mul_f32_e32 v19, v61, v19
	v_and_b32_e32 v20, 0x7f800000, v19
	v_cmp_ne_u32_e32 vcc, s97, v20
                                        ; implicit-def: $vgpr22
	s_and_saveexec_b64 s[92:93], vcc
	s_xor_b64 s[92:93], exec, s[92:93]
	s_cbranch_execz .LBB12_1474
; %bb.1473:                             ;   in Loop: Header=BB12_1455 Depth=4
	v_bfe_u32 v20, v19, 16, 1
	s_waitcnt vmcnt(0)
	v_add3_u32 v22, v19, v20, s46
                                        ; implicit-def: $vgpr19
.LBB12_1474:                            ;   in Loop: Header=BB12_1455 Depth=4
	s_andn2_saveexec_b64 s[92:93], s[92:93]
	s_cbranch_execz .LBB12_1476
; %bb.1475:                             ;   in Loop: Header=BB12_1455 Depth=4
	buffer_load_dword v28, off, s[0:3], s33 offset:128 ; 4-byte Folded Reload
	buffer_load_dword v29, off, s[0:3], s33 offset:132 ; 4-byte Folded Reload
	v_or_b32_e32 v20, 0x10000, v19
	s_waitcnt vmcnt(1)
	v_cmp_eq_u32_sdwa vcc, v19, v28 src0_sel:WORD_0 src1_sel:DWORD
	v_cndmask_b32_e32 v22, v20, v19, vcc
.LBB12_1476:                            ;   in Loop: Header=BB12_1455 Depth=4
	s_or_b64 exec, exec, s[92:93]
	v_and_b32_e32 v19, 0xffff0000, v30
	v_mul_f32_e32 v20, v61, v19
	v_and_b32_e32 v19, 0x7f800000, v20
	v_cmp_ne_u32_e32 vcc, s97, v19
                                        ; implicit-def: $vgpr19
	s_and_saveexec_b64 s[92:93], vcc
	s_xor_b64 s[92:93], exec, s[92:93]
; %bb.1477:                             ;   in Loop: Header=BB12_1455 Depth=4
	v_bfe_u32 v19, v20, 16, 1
	v_add3_u32 v19, v20, v19, s46
                                        ; implicit-def: $vgpr20
; %bb.1478:                             ;   in Loop: Header=BB12_1455 Depth=4
	s_andn2_saveexec_b64 s[92:93], s[92:93]
	s_cbranch_execz .LBB12_1480
; %bb.1479:                             ;   in Loop: Header=BB12_1455 Depth=4
	buffer_load_dword v28, off, s[0:3], s33 offset:128 ; 4-byte Folded Reload
	buffer_load_dword v29, off, s[0:3], s33 offset:132 ; 4-byte Folded Reload
	v_or_b32_e32 v19, 0x10000, v20
	s_waitcnt vmcnt(1)
	v_cmp_eq_u32_sdwa vcc, v20, v28 src0_sel:WORD_0 src1_sel:DWORD
	v_cndmask_b32_e32 v19, v19, v20, vcc
.LBB12_1480:                            ;   in Loop: Header=BB12_1455 Depth=4
	s_or_b64 exec, exec, s[92:93]
	v_lshlrev_b32_e32 v20, 16, v31
	v_mul_f32_e32 v28, v61, v20
	v_and_b32_e32 v20, 0x7f800000, v28
	v_cmp_ne_u32_e32 vcc, s97, v20
                                        ; implicit-def: $vgpr20
	s_and_saveexec_b64 s[92:93], vcc
	s_xor_b64 s[92:93], exec, s[92:93]
; %bb.1481:                             ;   in Loop: Header=BB12_1455 Depth=4
	v_bfe_u32 v20, v28, 16, 1
	v_add3_u32 v20, v28, v20, s46
                                        ; implicit-def: $vgpr28
; %bb.1482:                             ;   in Loop: Header=BB12_1455 Depth=4
	s_andn2_saveexec_b64 s[92:93], s[92:93]
	s_cbranch_execz .LBB12_1484
; %bb.1483:                             ;   in Loop: Header=BB12_1455 Depth=4
	buffer_load_dword v29, off, s[0:3], s33 offset:128 ; 4-byte Folded Reload
	buffer_load_dword v30, off, s[0:3], s33 offset:132 ; 4-byte Folded Reload
	v_or_b32_e32 v20, 0x10000, v28
	s_waitcnt vmcnt(1)
	v_cmp_eq_u32_sdwa vcc, v28, v29 src0_sel:WORD_0 src1_sel:DWORD
	v_cndmask_b32_e32 v20, v20, v28, vcc
.LBB12_1484:                            ;   in Loop: Header=BB12_1455 Depth=4
	s_or_b64 exec, exec, s[92:93]
	v_and_b32_e32 v28, 0xffff0000, v31
	v_mul_f32_e32 v28, v61, v28
	s_waitcnt vmcnt(0)
	v_and_b32_e32 v29, 0x7f800000, v28
	v_cmp_ne_u32_e32 vcc, s97, v29
                                        ; implicit-def: $vgpr29
                                        ; kill: killed $vgpr29
	s_and_saveexec_b64 s[92:93], vcc
	s_xor_b64 s[92:93], exec, s[92:93]
	s_cbranch_execz .LBB12_1486
; %bb.1485:                             ;   in Loop: Header=BB12_1455 Depth=4
	v_bfe_u32 v29, v28, 16, 1
	v_add3_u32 v28, v28, v29, s46
	buffer_store_dword v28, off, s[0:3], s33 offset:460 ; 4-byte Folded Spill
                                        ; implicit-def: $vgpr28
.LBB12_1486:                            ;   in Loop: Header=BB12_1455 Depth=4
	s_andn2_saveexec_b64 s[92:93], s[92:93]
	s_cbranch_execz .LBB12_1488
; %bb.1487:                             ;   in Loop: Header=BB12_1455 Depth=4
	buffer_load_dword v30, off, s[0:3], s33 offset:128 ; 4-byte Folded Reload
	buffer_load_dword v31, off, s[0:3], s33 offset:132 ; 4-byte Folded Reload
	v_or_b32_e32 v29, 0x10000, v28
	s_waitcnt vmcnt(1)
	v_cmp_eq_u32_sdwa vcc, v28, v30 src0_sel:WORD_0 src1_sel:DWORD
	v_cndmask_b32_e32 v28, v29, v28, vcc
	buffer_store_dword v28, off, s[0:3], s33 offset:460 ; 4-byte Folded Spill
.LBB12_1488:                            ;   in Loop: Header=BB12_1455 Depth=4
	s_or_b64 exec, exec, s[92:93]
	v_lshlrev_b32_e32 v28, 16, v44
	v_mul_f32_e32 v28, v61, v28
	v_and_b32_e32 v29, 0x7f800000, v28
	v_cmp_ne_u32_e32 vcc, s97, v29
                                        ; implicit-def: $vgpr29
                                        ; kill: killed $vgpr29
	s_and_saveexec_b64 s[92:93], vcc
	s_xor_b64 s[92:93], exec, s[92:93]
	s_cbranch_execz .LBB12_1490
; %bb.1489:                             ;   in Loop: Header=BB12_1455 Depth=4
	v_bfe_u32 v29, v28, 16, 1
	v_add3_u32 v28, v28, v29, s46
	buffer_store_dword v28, off, s[0:3], s33 offset:464 ; 4-byte Folded Spill
                                        ; implicit-def: $vgpr28
.LBB12_1490:                            ;   in Loop: Header=BB12_1455 Depth=4
	s_andn2_saveexec_b64 s[92:93], s[92:93]
	s_cbranch_execz .LBB12_1492
; %bb.1491:                             ;   in Loop: Header=BB12_1455 Depth=4
	buffer_load_dword v30, off, s[0:3], s33 offset:128 ; 4-byte Folded Reload
	buffer_load_dword v31, off, s[0:3], s33 offset:132 ; 4-byte Folded Reload
	v_or_b32_e32 v29, 0x10000, v28
	s_waitcnt vmcnt(1)
	v_cmp_eq_u32_sdwa vcc, v28, v30 src0_sel:WORD_0 src1_sel:DWORD
	v_cndmask_b32_e32 v28, v29, v28, vcc
	buffer_store_dword v28, off, s[0:3], s33 offset:464 ; 4-byte Folded Spill
.LBB12_1492:                            ;   in Loop: Header=BB12_1455 Depth=4
	s_or_b64 exec, exec, s[92:93]
	v_and_b32_e32 v28, 0xffff0000, v44
	v_mul_f32_e32 v29, v61, v28
	v_and_b32_e32 v28, 0x7f800000, v29
	v_cmp_ne_u32_e32 vcc, s97, v28
                                        ; implicit-def: $vgpr28
	s_and_saveexec_b64 s[92:93], vcc
	s_xor_b64 s[92:93], exec, s[92:93]
; %bb.1493:                             ;   in Loop: Header=BB12_1455 Depth=4
	v_bfe_u32 v28, v29, 16, 1
	v_add3_u32 v28, v29, v28, s46
                                        ; implicit-def: $vgpr29
; %bb.1494:                             ;   in Loop: Header=BB12_1455 Depth=4
	s_andn2_saveexec_b64 s[92:93], s[92:93]
	s_cbranch_execz .LBB12_1496
; %bb.1495:                             ;   in Loop: Header=BB12_1455 Depth=4
	buffer_load_dword v30, off, s[0:3], s33 offset:128 ; 4-byte Folded Reload
	buffer_load_dword v31, off, s[0:3], s33 offset:132 ; 4-byte Folded Reload
	v_or_b32_e32 v28, 0x10000, v29
	s_waitcnt vmcnt(1)
	v_cmp_eq_u32_sdwa vcc, v29, v30 src0_sel:WORD_0 src1_sel:DWORD
	v_cndmask_b32_e32 v28, v28, v29, vcc
.LBB12_1496:                            ;   in Loop: Header=BB12_1455 Depth=4
	s_or_b64 exec, exec, s[92:93]
	v_lshlrev_b32_e32 v29, 16, v45
	v_mul_f32_e32 v44, v61, v29
	v_and_b32_e32 v29, 0x7f800000, v44
	v_cmp_ne_u32_e32 vcc, s97, v29
                                        ; implicit-def: $vgpr29
	s_and_saveexec_b64 s[92:93], vcc
	s_xor_b64 s[92:93], exec, s[92:93]
; %bb.1497:                             ;   in Loop: Header=BB12_1455 Depth=4
	v_bfe_u32 v29, v44, 16, 1
	v_add3_u32 v29, v44, v29, s46
                                        ; implicit-def: $vgpr44
; %bb.1498:                             ;   in Loop: Header=BB12_1455 Depth=4
	s_andn2_saveexec_b64 s[92:93], s[92:93]
	s_cbranch_execz .LBB12_1500
; %bb.1499:                             ;   in Loop: Header=BB12_1455 Depth=4
	buffer_load_dword v30, off, s[0:3], s33 offset:128 ; 4-byte Folded Reload
	buffer_load_dword v31, off, s[0:3], s33 offset:132 ; 4-byte Folded Reload
	v_or_b32_e32 v29, 0x10000, v44
	s_waitcnt vmcnt(1)
	v_cmp_eq_u32_sdwa vcc, v44, v30 src0_sel:WORD_0 src1_sel:DWORD
	v_cndmask_b32_e32 v29, v29, v44, vcc
.LBB12_1500:                            ;   in Loop: Header=BB12_1455 Depth=4
	s_or_b64 exec, exec, s[92:93]
	v_and_b32_e32 v44, 0xffff0000, v45
	v_mul_f32_e32 v45, v61, v44
	v_and_b32_e32 v44, 0x7f800000, v45
	v_cmp_ne_u32_e32 vcc, s97, v44
                                        ; implicit-def: $vgpr30
                                        ; kill: killed $vgpr30
	s_and_saveexec_b64 s[92:93], vcc
	s_xor_b64 s[92:93], exec, s[92:93]
	s_cbranch_execz .LBB12_1502
; %bb.1501:                             ;   in Loop: Header=BB12_1455 Depth=4
	v_bfe_u32 v44, v45, 16, 1
	v_add3_u32 v30, v45, v44, s46
	buffer_store_dword v30, off, s[0:3], s33 offset:456 ; 4-byte Folded Spill
                                        ; implicit-def: $vgpr45
.LBB12_1502:                            ;   in Loop: Header=BB12_1455 Depth=4
	s_andn2_saveexec_b64 s[92:93], s[92:93]
	s_cbranch_execz .LBB12_1504
; %bb.1503:                             ;   in Loop: Header=BB12_1455 Depth=4
	buffer_load_dword v30, off, s[0:3], s33 offset:128 ; 4-byte Folded Reload
	buffer_load_dword v31, off, s[0:3], s33 offset:132 ; 4-byte Folded Reload
	v_or_b32_e32 v44, 0x10000, v45
	s_waitcnt vmcnt(1)
	v_cmp_eq_u32_sdwa vcc, v45, v30 src0_sel:WORD_0 src1_sel:DWORD
	v_cndmask_b32_e32 v30, v44, v45, vcc
	buffer_store_dword v30, off, s[0:3], s33 offset:456 ; 4-byte Folded Spill
.LBB12_1504:                            ;   in Loop: Header=BB12_1455 Depth=4
	s_or_b64 exec, exec, s[92:93]
	v_lshlrev_b32_e32 v44, 16, v46
	v_mul_f32_e32 v44, v61, v44
	v_and_b32_e32 v45, 0x7f800000, v44
	v_cmp_ne_u32_e32 vcc, s97, v45
                                        ; implicit-def: $vgpr45
	s_and_saveexec_b64 s[92:93], vcc
	s_xor_b64 s[92:93], exec, s[92:93]
; %bb.1505:                             ;   in Loop: Header=BB12_1455 Depth=4
	v_bfe_u32 v45, v44, 16, 1
	v_add3_u32 v45, v44, v45, s46
                                        ; implicit-def: $vgpr44
; %bb.1506:                             ;   in Loop: Header=BB12_1455 Depth=4
	s_andn2_saveexec_b64 s[92:93], s[92:93]
	s_cbranch_execz .LBB12_1508
; %bb.1507:                             ;   in Loop: Header=BB12_1455 Depth=4
	buffer_load_dword v30, off, s[0:3], s33 offset:128 ; 4-byte Folded Reload
	buffer_load_dword v31, off, s[0:3], s33 offset:132 ; 4-byte Folded Reload
	v_or_b32_e32 v45, 0x10000, v44
	s_waitcnt vmcnt(1)
	v_cmp_eq_u32_sdwa vcc, v44, v30 src0_sel:WORD_0 src1_sel:DWORD
	v_cndmask_b32_e32 v45, v45, v44, vcc
.LBB12_1508:                            ;   in Loop: Header=BB12_1455 Depth=4
	s_or_b64 exec, exec, s[92:93]
	v_and_b32_e32 v44, 0xffff0000, v46
	v_mul_f32_e32 v44, v61, v44
	v_and_b32_e32 v46, 0x7f800000, v44
	v_cmp_ne_u32_e32 vcc, s97, v46
                                        ; implicit-def: $vgpr30
                                        ; kill: killed $vgpr30
	s_and_saveexec_b64 s[92:93], vcc
	s_xor_b64 s[92:93], exec, s[92:93]
	s_cbranch_execz .LBB12_1510
; %bb.1509:                             ;   in Loop: Header=BB12_1455 Depth=4
	v_bfe_u32 v46, v44, 16, 1
	v_add3_u32 v30, v44, v46, s46
	buffer_store_dword v30, off, s[0:3], s33 offset:448 ; 4-byte Folded Spill
                                        ; implicit-def: $vgpr44
.LBB12_1510:                            ;   in Loop: Header=BB12_1455 Depth=4
	s_andn2_saveexec_b64 s[92:93], s[92:93]
	s_cbranch_execz .LBB12_1512
; %bb.1511:                             ;   in Loop: Header=BB12_1455 Depth=4
	buffer_load_dword v30, off, s[0:3], s33 offset:128 ; 4-byte Folded Reload
	buffer_load_dword v31, off, s[0:3], s33 offset:132 ; 4-byte Folded Reload
	v_or_b32_e32 v46, 0x10000, v44
	s_waitcnt vmcnt(1)
	v_cmp_eq_u32_sdwa vcc, v44, v30 src0_sel:WORD_0 src1_sel:DWORD
	v_cndmask_b32_e32 v30, v46, v44, vcc
	buffer_store_dword v30, off, s[0:3], s33 offset:448 ; 4-byte Folded Spill
.LBB12_1512:                            ;   in Loop: Header=BB12_1455 Depth=4
	s_or_b64 exec, exec, s[92:93]
	v_lshlrev_b32_e32 v44, 16, v47
	v_mul_f32_e32 v44, v61, v44
	v_and_b32_e32 v46, 0x7f800000, v44
	v_cmp_ne_u32_e32 vcc, s97, v46
                                        ; implicit-def: $vgpr30
                                        ; kill: killed $vgpr30
	s_and_saveexec_b64 s[92:93], vcc
	s_xor_b64 s[92:93], exec, s[92:93]
	s_cbranch_execz .LBB12_1514
; %bb.1513:                             ;   in Loop: Header=BB12_1455 Depth=4
	v_bfe_u32 v46, v44, 16, 1
	v_add3_u32 v30, v44, v46, s46
	buffer_store_dword v30, off, s[0:3], s33 offset:452 ; 4-byte Folded Spill
                                        ; implicit-def: $vgpr44
.LBB12_1514:                            ;   in Loop: Header=BB12_1455 Depth=4
	s_andn2_saveexec_b64 s[92:93], s[92:93]
	s_cbranch_execz .LBB12_1516
; %bb.1515:                             ;   in Loop: Header=BB12_1455 Depth=4
	buffer_load_dword v30, off, s[0:3], s33 offset:128 ; 4-byte Folded Reload
	buffer_load_dword v31, off, s[0:3], s33 offset:132 ; 4-byte Folded Reload
	v_or_b32_e32 v46, 0x10000, v44
	s_waitcnt vmcnt(1)
	v_cmp_eq_u32_sdwa vcc, v44, v30 src0_sel:WORD_0 src1_sel:DWORD
	v_cndmask_b32_e32 v30, v46, v44, vcc
	buffer_store_dword v30, off, s[0:3], s33 offset:452 ; 4-byte Folded Spill
.LBB12_1516:                            ;   in Loop: Header=BB12_1455 Depth=4
	s_or_b64 exec, exec, s[92:93]
	v_and_b32_e32 v44, 0xffff0000, v47
	v_mul_f32_e32 v44, v61, v44
	v_and_b32_e32 v46, 0x7f800000, v44
	v_cmp_ne_u32_e32 vcc, s97, v46
                                        ; implicit-def: $vgpr47
	s_and_saveexec_b64 s[92:93], vcc
	s_xor_b64 s[92:93], exec, s[92:93]
; %bb.1517:                             ;   in Loop: Header=BB12_1455 Depth=4
	v_bfe_u32 v46, v44, 16, 1
	v_add3_u32 v47, v44, v46, s46
                                        ; implicit-def: $vgpr44
; %bb.1518:                             ;   in Loop: Header=BB12_1455 Depth=4
	s_andn2_saveexec_b64 s[92:93], s[92:93]
	s_cbranch_execz .LBB12_1520
; %bb.1519:                             ;   in Loop: Header=BB12_1455 Depth=4
	buffer_load_dword v30, off, s[0:3], s33 offset:128 ; 4-byte Folded Reload
	buffer_load_dword v31, off, s[0:3], s33 offset:132 ; 4-byte Folded Reload
	v_or_b32_e32 v46, 0x10000, v44
	s_waitcnt vmcnt(1)
	v_cmp_eq_u32_sdwa vcc, v44, v30 src0_sel:WORD_0 src1_sel:DWORD
	v_cndmask_b32_e32 v47, v46, v44, vcc
.LBB12_1520:                            ;   in Loop: Header=BB12_1455 Depth=4
	s_or_b64 exec, exec, s[92:93]
	v_lshlrev_b32_e32 v44, 16, v48
	v_mul_f32_e32 v44, v61, v44
	v_and_b32_e32 v46, 0x7f800000, v44
	v_cmp_ne_u32_e32 vcc, s97, v46
                                        ; implicit-def: $vgpr30
                                        ; kill: killed $vgpr30
	s_and_saveexec_b64 s[92:93], vcc
	s_xor_b64 s[92:93], exec, s[92:93]
	s_cbranch_execz .LBB12_1522
; %bb.1521:                             ;   in Loop: Header=BB12_1455 Depth=4
	v_bfe_u32 v46, v44, 16, 1
	v_add3_u32 v30, v44, v46, s46
	buffer_store_dword v30, off, s[0:3], s33 offset:444 ; 4-byte Folded Spill
                                        ; implicit-def: $vgpr44
.LBB12_1522:                            ;   in Loop: Header=BB12_1455 Depth=4
	s_andn2_saveexec_b64 s[92:93], s[92:93]
	s_cbranch_execz .LBB12_1524
; %bb.1523:                             ;   in Loop: Header=BB12_1455 Depth=4
	buffer_load_dword v30, off, s[0:3], s33 offset:128 ; 4-byte Folded Reload
	buffer_load_dword v31, off, s[0:3], s33 offset:132 ; 4-byte Folded Reload
	v_or_b32_e32 v46, 0x10000, v44
	s_waitcnt vmcnt(1)
	v_cmp_eq_u32_sdwa vcc, v44, v30 src0_sel:WORD_0 src1_sel:DWORD
	v_cndmask_b32_e32 v30, v46, v44, vcc
	buffer_store_dword v30, off, s[0:3], s33 offset:444 ; 4-byte Folded Spill
.LBB12_1524:                            ;   in Loop: Header=BB12_1455 Depth=4
	s_or_b64 exec, exec, s[92:93]
	v_and_b32_e32 v48, 0xffff0000, v48
	v_mul_f32_e32 v44, v61, v48
	v_and_b32_e32 v48, 0x7f800000, v44
	v_cmp_ne_u32_e32 vcc, s97, v48
                                        ; implicit-def: $vgpr30
                                        ; kill: killed $vgpr30
	s_and_saveexec_b64 s[92:93], vcc
	s_xor_b64 s[92:93], exec, s[92:93]
	s_cbranch_execz .LBB12_1526
; %bb.1525:                             ;   in Loop: Header=BB12_1455 Depth=4
	v_bfe_u32 v48, v44, 16, 1
	v_add3_u32 v30, v44, v48, s46
	buffer_store_dword v30, off, s[0:3], s33 offset:436 ; 4-byte Folded Spill
                                        ; implicit-def: $vgpr44
.LBB12_1526:                            ;   in Loop: Header=BB12_1455 Depth=4
	s_andn2_saveexec_b64 s[92:93], s[92:93]
	s_cbranch_execz .LBB12_1528
; %bb.1527:                             ;   in Loop: Header=BB12_1455 Depth=4
	buffer_load_dword v30, off, s[0:3], s33 offset:128 ; 4-byte Folded Reload
	buffer_load_dword v31, off, s[0:3], s33 offset:132 ; 4-byte Folded Reload
	v_or_b32_e32 v48, 0x10000, v44
	s_waitcnt vmcnt(1)
	v_cmp_eq_u32_sdwa vcc, v44, v30 src0_sel:WORD_0 src1_sel:DWORD
	v_cndmask_b32_e32 v30, v48, v44, vcc
	buffer_store_dword v30, off, s[0:3], s33 offset:436 ; 4-byte Folded Spill
.LBB12_1528:                            ;   in Loop: Header=BB12_1455 Depth=4
	s_or_b64 exec, exec, s[92:93]
	v_lshlrev_b32_e32 v44, 16, v49
	v_mul_f32_e32 v44, v61, v44
	v_and_b32_e32 v46, 0x7f800000, v44
	v_cmp_ne_u32_e32 vcc, s97, v46
                                        ; implicit-def: $vgpr30
                                        ; kill: killed $vgpr30
	s_and_saveexec_b64 s[92:93], vcc
	s_xor_b64 s[92:93], exec, s[92:93]
	s_cbranch_execz .LBB12_1530
; %bb.1529:                             ;   in Loop: Header=BB12_1455 Depth=4
	v_bfe_u32 v46, v44, 16, 1
	v_add3_u32 v30, v44, v46, s46
	buffer_store_dword v30, off, s[0:3], s33 offset:440 ; 4-byte Folded Spill
                                        ; implicit-def: $vgpr44
.LBB12_1530:                            ;   in Loop: Header=BB12_1455 Depth=4
	s_andn2_saveexec_b64 s[92:93], s[92:93]
	s_cbranch_execz .LBB12_1532
; %bb.1531:                             ;   in Loop: Header=BB12_1455 Depth=4
	buffer_load_dword v30, off, s[0:3], s33 offset:128 ; 4-byte Folded Reload
	buffer_load_dword v31, off, s[0:3], s33 offset:132 ; 4-byte Folded Reload
	v_or_b32_e32 v46, 0x10000, v44
	s_waitcnt vmcnt(1)
	v_cmp_eq_u32_sdwa vcc, v44, v30 src0_sel:WORD_0 src1_sel:DWORD
	v_cndmask_b32_e32 v30, v46, v44, vcc
	buffer_store_dword v30, off, s[0:3], s33 offset:440 ; 4-byte Folded Spill
.LBB12_1532:                            ;   in Loop: Header=BB12_1455 Depth=4
	s_or_b64 exec, exec, s[92:93]
	v_and_b32_e32 v49, 0xffff0000, v49
	v_mul_f32_e32 v44, v61, v49
	v_and_b32_e32 v49, 0x7f800000, v44
	v_cmp_ne_u32_e32 vcc, s97, v49
                                        ; implicit-def: $vgpr30
                                        ; kill: killed $vgpr30
	s_and_saveexec_b64 s[92:93], vcc
	s_xor_b64 s[92:93], exec, s[92:93]
	s_cbranch_execz .LBB12_1534
; %bb.1533:                             ;   in Loop: Header=BB12_1455 Depth=4
	v_bfe_u32 v49, v44, 16, 1
	v_add3_u32 v30, v44, v49, s46
	buffer_store_dword v30, off, s[0:3], s33 offset:376 ; 4-byte Folded Spill
                                        ; implicit-def: $vgpr44
.LBB12_1534:                            ;   in Loop: Header=BB12_1455 Depth=4
	s_andn2_saveexec_b64 s[92:93], s[92:93]
	s_cbranch_execz .LBB12_1536
; %bb.1535:                             ;   in Loop: Header=BB12_1455 Depth=4
	buffer_load_dword v30, off, s[0:3], s33 offset:128 ; 4-byte Folded Reload
	buffer_load_dword v31, off, s[0:3], s33 offset:132 ; 4-byte Folded Reload
	v_or_b32_e32 v49, 0x10000, v44
	s_waitcnt vmcnt(1)
	v_cmp_eq_u32_sdwa vcc, v44, v30 src0_sel:WORD_0 src1_sel:DWORD
	v_cndmask_b32_e32 v30, v49, v44, vcc
	buffer_store_dword v30, off, s[0:3], s33 offset:376 ; 4-byte Folded Spill
.LBB12_1536:                            ;   in Loop: Header=BB12_1455 Depth=4
	;; [unrolled: 54-line block ×4, first 2 shown]
	s_or_b64 exec, exec, s[92:93]
	v_lshlrev_b32_e32 v44, 16, v24
	v_mul_f32_e32 v44, v61, v44
	v_and_b32_e32 v46, 0x7f800000, v44
	v_cmp_ne_u32_e32 vcc, s97, v46
                                        ; implicit-def: $vgpr30
                                        ; kill: killed $vgpr30
	s_and_saveexec_b64 s[92:93], vcc
	s_xor_b64 s[92:93], exec, s[92:93]
	s_cbranch_execz .LBB12_1554
; %bb.1553:                             ;   in Loop: Header=BB12_1455 Depth=4
	v_bfe_u32 v46, v44, 16, 1
	v_add3_u32 v30, v44, v46, s46
	buffer_store_dword v30, off, s[0:3], s33 offset:364 ; 4-byte Folded Spill
                                        ; implicit-def: $vgpr44
.LBB12_1554:                            ;   in Loop: Header=BB12_1455 Depth=4
	s_andn2_saveexec_b64 s[92:93], s[92:93]
	s_cbranch_execz .LBB12_1556
; %bb.1555:                             ;   in Loop: Header=BB12_1455 Depth=4
	buffer_load_dword v30, off, s[0:3], s33 offset:128 ; 4-byte Folded Reload
	buffer_load_dword v31, off, s[0:3], s33 offset:132 ; 4-byte Folded Reload
	v_or_b32_e32 v46, 0x10000, v44
	s_waitcnt vmcnt(1)
	v_cmp_eq_u32_sdwa vcc, v44, v30 src0_sel:WORD_0 src1_sel:DWORD
	v_cndmask_b32_e32 v30, v46, v44, vcc
	buffer_store_dword v30, off, s[0:3], s33 offset:364 ; 4-byte Folded Spill
.LBB12_1556:                            ;   in Loop: Header=BB12_1455 Depth=4
	s_or_b64 exec, exec, s[92:93]
	v_and_b32_e32 v24, 0xffff0000, v24
	v_mul_f32_e32 v24, v61, v24
	v_and_b32_e32 v44, 0x7f800000, v24
	v_cmp_ne_u32_e32 vcc, s97, v44
                                        ; implicit-def: $vgpr30
                                        ; kill: killed $vgpr30
	s_and_saveexec_b64 s[92:93], vcc
	s_xor_b64 s[92:93], exec, s[92:93]
	s_cbranch_execz .LBB12_1558
; %bb.1557:                             ;   in Loop: Header=BB12_1455 Depth=4
	v_bfe_u32 v44, v24, 16, 1
	v_add3_u32 v24, v24, v44, s46
	buffer_store_dword v24, off, s[0:3], s33 offset:344 ; 4-byte Folded Spill
                                        ; implicit-def: $vgpr24
.LBB12_1558:                            ;   in Loop: Header=BB12_1455 Depth=4
	s_andn2_saveexec_b64 s[92:93], s[92:93]
	s_cbranch_execz .LBB12_1560
; %bb.1559:                             ;   in Loop: Header=BB12_1455 Depth=4
	buffer_load_dword v30, off, s[0:3], s33 offset:128 ; 4-byte Folded Reload
	buffer_load_dword v31, off, s[0:3], s33 offset:132 ; 4-byte Folded Reload
	v_or_b32_e32 v44, 0x10000, v24
	s_waitcnt vmcnt(1)
	v_cmp_eq_u32_sdwa vcc, v24, v30 src0_sel:WORD_0 src1_sel:DWORD
	v_cndmask_b32_e32 v24, v44, v24, vcc
	buffer_store_dword v24, off, s[0:3], s33 offset:344 ; 4-byte Folded Spill
.LBB12_1560:                            ;   in Loop: Header=BB12_1455 Depth=4
	s_or_b64 exec, exec, s[92:93]
	v_lshlrev_b32_e32 v24, 16, v25
	v_mul_f32_e32 v24, v61, v24
	v_and_b32_e32 v44, 0x7f800000, v24
	v_cmp_ne_u32_e32 vcc, s97, v44
                                        ; implicit-def: $vgpr30
                                        ; kill: killed $vgpr30
	s_and_saveexec_b64 s[92:93], vcc
	s_xor_b64 s[92:93], exec, s[92:93]
	s_cbranch_execz .LBB12_1562
; %bb.1561:                             ;   in Loop: Header=BB12_1455 Depth=4
	v_bfe_u32 v44, v24, 16, 1
	v_add3_u32 v24, v24, v44, s46
	buffer_store_dword v24, off, s[0:3], s33 offset:352 ; 4-byte Folded Spill
                                        ; implicit-def: $vgpr24
.LBB12_1562:                            ;   in Loop: Header=BB12_1455 Depth=4
	s_andn2_saveexec_b64 s[92:93], s[92:93]
	s_cbranch_execz .LBB12_1564
; %bb.1563:                             ;   in Loop: Header=BB12_1455 Depth=4
	buffer_load_dword v30, off, s[0:3], s33 offset:128 ; 4-byte Folded Reload
	buffer_load_dword v31, off, s[0:3], s33 offset:132 ; 4-byte Folded Reload
	v_or_b32_e32 v44, 0x10000, v24
	s_waitcnt vmcnt(1)
	v_cmp_eq_u32_sdwa vcc, v24, v30 src0_sel:WORD_0 src1_sel:DWORD
	v_cndmask_b32_e32 v24, v44, v24, vcc
	buffer_store_dword v24, off, s[0:3], s33 offset:352 ; 4-byte Folded Spill
.LBB12_1564:                            ;   in Loop: Header=BB12_1455 Depth=4
	s_or_b64 exec, exec, s[92:93]
	v_and_b32_e32 v24, 0xffff0000, v25
	v_mul_f32_e32 v24, v61, v24
	v_and_b32_e32 v25, 0x7f800000, v24
	v_cmp_ne_u32_e32 vcc, s97, v25
                                        ; implicit-def: $vgpr25
                                        ; kill: killed $vgpr25
	s_and_saveexec_b64 s[92:93], vcc
	s_xor_b64 s[92:93], exec, s[92:93]
	s_cbranch_execz .LBB12_1566
; %bb.1565:                             ;   in Loop: Header=BB12_1455 Depth=4
	v_bfe_u32 v25, v24, 16, 1
	v_add3_u32 v24, v24, v25, s46
	buffer_store_dword v24, off, s[0:3], s33 offset:332 ; 4-byte Folded Spill
                                        ; implicit-def: $vgpr24
.LBB12_1566:                            ;   in Loop: Header=BB12_1455 Depth=4
	s_andn2_saveexec_b64 s[92:93], s[92:93]
	s_cbranch_execz .LBB12_1568
; %bb.1567:                             ;   in Loop: Header=BB12_1455 Depth=4
	buffer_load_dword v30, off, s[0:3], s33 offset:128 ; 4-byte Folded Reload
	buffer_load_dword v31, off, s[0:3], s33 offset:132 ; 4-byte Folded Reload
	v_or_b32_e32 v25, 0x10000, v24
	s_waitcnt vmcnt(1)
	v_cmp_eq_u32_sdwa vcc, v24, v30 src0_sel:WORD_0 src1_sel:DWORD
	v_cndmask_b32_e32 v24, v25, v24, vcc
	buffer_store_dword v24, off, s[0:3], s33 offset:332 ; 4-byte Folded Spill
.LBB12_1568:                            ;   in Loop: Header=BB12_1455 Depth=4
	s_or_b64 exec, exec, s[92:93]
	v_lshlrev_b32_e32 v24, 16, v26
	v_mul_f32_e32 v24, v61, v24
	v_and_b32_e32 v25, 0x7f800000, v24
	v_cmp_ne_u32_e32 vcc, s97, v25
                                        ; implicit-def: $vgpr25
                                        ; kill: killed $vgpr25
	s_and_saveexec_b64 s[92:93], vcc
	s_xor_b64 s[92:93], exec, s[92:93]
	s_cbranch_execz .LBB12_1570
; %bb.1569:                             ;   in Loop: Header=BB12_1455 Depth=4
	v_bfe_u32 v25, v24, 16, 1
	v_add3_u32 v24, v24, v25, s46
	buffer_store_dword v24, off, s[0:3], s33 offset:340 ; 4-byte Folded Spill
                                        ; implicit-def: $vgpr24
.LBB12_1570:                            ;   in Loop: Header=BB12_1455 Depth=4
	s_andn2_saveexec_b64 s[92:93], s[92:93]
	s_cbranch_execz .LBB12_1572
; %bb.1571:                             ;   in Loop: Header=BB12_1455 Depth=4
	buffer_load_dword v30, off, s[0:3], s33 offset:128 ; 4-byte Folded Reload
	buffer_load_dword v31, off, s[0:3], s33 offset:132 ; 4-byte Folded Reload
	v_or_b32_e32 v25, 0x10000, v24
	s_waitcnt vmcnt(1)
	v_cmp_eq_u32_sdwa vcc, v24, v30 src0_sel:WORD_0 src1_sel:DWORD
	v_cndmask_b32_e32 v24, v25, v24, vcc
	buffer_store_dword v24, off, s[0:3], s33 offset:340 ; 4-byte Folded Spill
.LBB12_1572:                            ;   in Loop: Header=BB12_1455 Depth=4
	s_or_b64 exec, exec, s[92:93]
	v_and_b32_e32 v24, 0xffff0000, v26
	v_mul_f32_e32 v24, v61, v24
	v_and_b32_e32 v25, 0x7f800000, v24
	v_cmp_ne_u32_e32 vcc, s97, v25
                                        ; implicit-def: $vgpr25
                                        ; kill: killed $vgpr25
	s_and_saveexec_b64 s[92:93], vcc
	s_xor_b64 s[92:93], exec, s[92:93]
	s_cbranch_execz .LBB12_1574
; %bb.1573:                             ;   in Loop: Header=BB12_1455 Depth=4
	v_bfe_u32 v25, v24, 16, 1
	v_add3_u32 v24, v24, v25, s46
	buffer_store_dword v24, off, s[0:3], s33 offset:316 ; 4-byte Folded Spill
                                        ; implicit-def: $vgpr24
.LBB12_1574:                            ;   in Loop: Header=BB12_1455 Depth=4
	s_andn2_saveexec_b64 s[92:93], s[92:93]
	s_cbranch_execz .LBB12_1576
; %bb.1575:                             ;   in Loop: Header=BB12_1455 Depth=4
	buffer_load_dword v30, off, s[0:3], s33 offset:128 ; 4-byte Folded Reload
	buffer_load_dword v31, off, s[0:3], s33 offset:132 ; 4-byte Folded Reload
	v_or_b32_e32 v25, 0x10000, v24
	s_waitcnt vmcnt(1)
	v_cmp_eq_u32_sdwa vcc, v24, v30 src0_sel:WORD_0 src1_sel:DWORD
	v_cndmask_b32_e32 v24, v25, v24, vcc
	buffer_store_dword v24, off, s[0:3], s33 offset:316 ; 4-byte Folded Spill
.LBB12_1576:                            ;   in Loop: Header=BB12_1455 Depth=4
	s_or_b64 exec, exec, s[92:93]
	v_lshlrev_b32_e32 v24, 16, v27
	v_mul_f32_e32 v24, v61, v24
	v_and_b32_e32 v25, 0x7f800000, v24
	v_cmp_ne_u32_e32 vcc, s97, v25
                                        ; implicit-def: $vgpr25
                                        ; kill: killed $vgpr25
	s_and_saveexec_b64 s[92:93], vcc
	s_xor_b64 s[92:93], exec, s[92:93]
	s_cbranch_execz .LBB12_1578
; %bb.1577:                             ;   in Loop: Header=BB12_1455 Depth=4
	v_bfe_u32 v25, v24, 16, 1
	v_add3_u32 v24, v24, v25, s46
	buffer_store_dword v24, off, s[0:3], s33 offset:324 ; 4-byte Folded Spill
                                        ; implicit-def: $vgpr24
.LBB12_1578:                            ;   in Loop: Header=BB12_1455 Depth=4
	s_andn2_saveexec_b64 s[92:93], s[92:93]
	s_cbranch_execz .LBB12_1580
; %bb.1579:                             ;   in Loop: Header=BB12_1455 Depth=4
	buffer_load_dword v30, off, s[0:3], s33 offset:128 ; 4-byte Folded Reload
	buffer_load_dword v31, off, s[0:3], s33 offset:132 ; 4-byte Folded Reload
	v_or_b32_e32 v25, 0x10000, v24
	s_waitcnt vmcnt(1)
	v_cmp_eq_u32_sdwa vcc, v24, v30 src0_sel:WORD_0 src1_sel:DWORD
	v_cndmask_b32_e32 v24, v25, v24, vcc
	buffer_store_dword v24, off, s[0:3], s33 offset:324 ; 4-byte Folded Spill
.LBB12_1580:                            ;   in Loop: Header=BB12_1455 Depth=4
	s_or_b64 exec, exec, s[92:93]
	v_and_b32_e32 v24, 0xffff0000, v27
	v_mul_f32_e32 v24, v61, v24
	v_and_b32_e32 v25, 0x7f800000, v24
	v_cmp_ne_u32_e32 vcc, s97, v25
                                        ; implicit-def: $vgpr25
                                        ; kill: killed $vgpr25
	s_and_saveexec_b64 s[92:93], vcc
	s_xor_b64 s[92:93], exec, s[92:93]
	s_cbranch_execz .LBB12_1582
; %bb.1581:                             ;   in Loop: Header=BB12_1455 Depth=4
	v_bfe_u32 v25, v24, 16, 1
	v_add3_u32 v24, v24, v25, s46
	buffer_store_dword v24, off, s[0:3], s33 offset:300 ; 4-byte Folded Spill
                                        ; implicit-def: $vgpr24
.LBB12_1582:                            ;   in Loop: Header=BB12_1455 Depth=4
	s_andn2_saveexec_b64 s[92:93], s[92:93]
	s_cbranch_execz .LBB12_1584
; %bb.1583:                             ;   in Loop: Header=BB12_1455 Depth=4
	buffer_load_dword v26, off, s[0:3], s33 offset:128 ; 4-byte Folded Reload
	buffer_load_dword v27, off, s[0:3], s33 offset:132 ; 4-byte Folded Reload
	v_or_b32_e32 v25, 0x10000, v24
	s_waitcnt vmcnt(1)
	v_cmp_eq_u32_sdwa vcc, v24, v26 src0_sel:WORD_0 src1_sel:DWORD
	v_cndmask_b32_e32 v24, v25, v24, vcc
	buffer_store_dword v24, off, s[0:3], s33 offset:300 ; 4-byte Folded Spill
.LBB12_1584:                            ;   in Loop: Header=BB12_1455 Depth=4
	s_or_b64 exec, exec, s[92:93]
	buffer_load_dword v48, off, s[0:3], s33 offset:216 ; 4-byte Folded Reload
	buffer_load_dword v49, off, s[0:3], s33 offset:220 ; 4-byte Folded Reload
	;; [unrolled: 1-line block ×4, first 2 shown]
	v_and_b32_e32 v24, 0xffff0000, v60
	s_waitcnt vmcnt(3)
	v_lshlrev_b32_e32 v25, 16, v48
	v_add_f32_e32 v24, v25, v24
	v_and_b32_e32 v25, 0x7f800000, v24
	v_cmp_ne_u32_e32 vcc, s97, v25
                                        ; implicit-def: $vgpr25
                                        ; kill: killed $vgpr25
	s_and_saveexec_b64 s[92:93], vcc
	s_xor_b64 s[92:93], exec, s[92:93]
	s_cbranch_execz .LBB12_1586
; %bb.1585:                             ;   in Loop: Header=BB12_1455 Depth=4
	v_bfe_u32 v25, v24, 16, 1
	v_add3_u32 v24, v24, v25, s46
	buffer_store_dword v24, off, s[0:3], s33 offset:284 ; 4-byte Folded Spill
                                        ; implicit-def: $vgpr24
.LBB12_1586:                            ;   in Loop: Header=BB12_1455 Depth=4
	s_andn2_saveexec_b64 s[92:93], s[92:93]
	s_cbranch_execz .LBB12_1588
; %bb.1587:                             ;   in Loop: Header=BB12_1455 Depth=4
	buffer_load_dword v26, off, s[0:3], s33 offset:128 ; 4-byte Folded Reload
	buffer_load_dword v27, off, s[0:3], s33 offset:132 ; 4-byte Folded Reload
	v_or_b32_e32 v25, 0x10000, v24
	s_waitcnt vmcnt(1)
	v_cmp_eq_u32_sdwa vcc, v24, v26 src0_sel:WORD_0 src1_sel:DWORD
	v_cndmask_b32_e32 v24, v25, v24, vcc
	buffer_store_dword v24, off, s[0:3], s33 offset:284 ; 4-byte Folded Spill
.LBB12_1588:                            ;   in Loop: Header=BB12_1455 Depth=4
	s_or_b64 exec, exec, s[92:93]
	buffer_load_dword v24, off, s[0:3], s33 offset:216 ; 4-byte Folded Reload
	buffer_load_dword v25, off, s[0:3], s33 offset:220 ; 4-byte Folded Reload
	;; [unrolled: 1-line block ×4, first 2 shown]
	v_and_b32_e32 v23, 0xffff0000, v23
	s_waitcnt vmcnt(3)
	v_and_b32_e32 v24, 0xffff0000, v24
	v_add_f32_e32 v23, v24, v23
	v_and_b32_e32 v24, 0x7f800000, v23
	v_cmp_ne_u32_e32 vcc, s97, v24
                                        ; implicit-def: $vgpr24
                                        ; kill: killed $vgpr24
	s_and_saveexec_b64 s[92:93], vcc
	s_xor_b64 s[92:93], exec, s[92:93]
	s_cbranch_execz .LBB12_1590
; %bb.1589:                             ;   in Loop: Header=BB12_1455 Depth=4
	v_bfe_u32 v24, v23, 16, 1
	v_add3_u32 v23, v23, v24, s46
	buffer_store_dword v23, off, s[0:3], s33 offset:356 ; 4-byte Folded Spill
                                        ; implicit-def: $vgpr23
.LBB12_1590:                            ;   in Loop: Header=BB12_1455 Depth=4
	s_andn2_saveexec_b64 s[92:93], s[92:93]
	s_cbranch_execz .LBB12_1592
; %bb.1591:                             ;   in Loop: Header=BB12_1455 Depth=4
	buffer_load_dword v25, off, s[0:3], s33 offset:128 ; 4-byte Folded Reload
	buffer_load_dword v26, off, s[0:3], s33 offset:132 ; 4-byte Folded Reload
	v_or_b32_e32 v24, 0x10000, v23
	s_waitcnt vmcnt(1)
	v_cmp_eq_u32_sdwa vcc, v23, v25 src0_sel:WORD_0 src1_sel:DWORD
	v_cndmask_b32_e32 v23, v24, v23, vcc
	buffer_store_dword v23, off, s[0:3], s33 offset:356 ; 4-byte Folded Spill
.LBB12_1592:                            ;   in Loop: Header=BB12_1455 Depth=4
	s_or_b64 exec, exec, s[92:93]
	buffer_load_dword v23, off, s[0:3], s33 offset:216 ; 4-byte Folded Reload
	buffer_load_dword v24, off, s[0:3], s33 offset:220 ; 4-byte Folded Reload
	;; [unrolled: 1-line block ×4, first 2 shown]
	v_and_b32_e32 v18, 0xffff0000, v18
	s_waitcnt vmcnt(2)
	v_lshlrev_b32_e32 v23, 16, v24
	v_add_f32_e32 v18, v23, v18
	v_and_b32_e32 v23, 0x7f800000, v18
	v_cmp_ne_u32_e32 vcc, s97, v23
                                        ; implicit-def: $vgpr23
                                        ; kill: killed $vgpr23
	s_and_saveexec_b64 s[92:93], vcc
	s_xor_b64 s[92:93], exec, s[92:93]
	s_cbranch_execz .LBB12_1594
; %bb.1593:                             ;   in Loop: Header=BB12_1455 Depth=4
	v_bfe_u32 v23, v18, 16, 1
	v_add3_u32 v18, v18, v23, s46
	buffer_store_dword v18, off, s[0:3], s33 offset:468 ; 4-byte Folded Spill
                                        ; implicit-def: $vgpr18
.LBB12_1594:                            ;   in Loop: Header=BB12_1455 Depth=4
	s_andn2_saveexec_b64 s[92:93], s[92:93]
	s_cbranch_execz .LBB12_1596
; %bb.1595:                             ;   in Loop: Header=BB12_1455 Depth=4
	buffer_load_dword v24, off, s[0:3], s33 offset:128 ; 4-byte Folded Reload
	buffer_load_dword v25, off, s[0:3], s33 offset:132 ; 4-byte Folded Reload
	v_or_b32_e32 v23, 0x10000, v18
	s_waitcnt vmcnt(1)
	v_cmp_eq_u32_sdwa vcc, v18, v24 src0_sel:WORD_0 src1_sel:DWORD
	v_cndmask_b32_e32 v18, v23, v18, vcc
	buffer_store_dword v18, off, s[0:3], s33 offset:468 ; 4-byte Folded Spill
.LBB12_1596:                            ;   in Loop: Header=BB12_1455 Depth=4
	s_or_b64 exec, exec, s[92:93]
	buffer_load_dword v23, off, s[0:3], s33 offset:216 ; 4-byte Folded Reload
	buffer_load_dword v24, off, s[0:3], s33 offset:220 ; 4-byte Folded Reload
	;; [unrolled: 1-line block ×4, first 2 shown]
	v_and_b32_e32 v21, 0xffff0000, v21
	s_waitcnt vmcnt(2)
	v_and_b32_e32 v18, 0xffff0000, v24
	v_add_f32_e32 v18, v18, v21
	v_and_b32_e32 v21, 0x7f800000, v18
	v_cmp_ne_u32_e32 vcc, s97, v21
                                        ; implicit-def: $vgpr21
                                        ; kill: killed $vgpr21
	s_and_saveexec_b64 s[92:93], vcc
	s_xor_b64 s[92:93], exec, s[92:93]
	s_cbranch_execz .LBB12_1598
; %bb.1597:                             ;   in Loop: Header=BB12_1455 Depth=4
	v_bfe_u32 v21, v18, 16, 1
	v_add3_u32 v18, v18, v21, s46
	buffer_store_dword v18, off, s[0:3], s33 offset:472 ; 4-byte Folded Spill
                                        ; implicit-def: $vgpr18
.LBB12_1598:                            ;   in Loop: Header=BB12_1455 Depth=4
	s_andn2_saveexec_b64 s[92:93], s[92:93]
	s_cbranch_execz .LBB12_1600
; %bb.1599:                             ;   in Loop: Header=BB12_1455 Depth=4
	buffer_load_dword v23, off, s[0:3], s33 offset:128 ; 4-byte Folded Reload
	buffer_load_dword v24, off, s[0:3], s33 offset:132 ; 4-byte Folded Reload
	v_or_b32_e32 v21, 0x10000, v18
	s_waitcnt vmcnt(1)
	v_cmp_eq_u32_sdwa vcc, v18, v23 src0_sel:WORD_0 src1_sel:DWORD
	v_cndmask_b32_e32 v18, v21, v18, vcc
	buffer_store_dword v18, off, s[0:3], s33 offset:472 ; 4-byte Folded Spill
.LBB12_1600:                            ;   in Loop: Header=BB12_1455 Depth=4
	s_or_b64 exec, exec, s[92:93]
	v_and_b32_e32 v18, 0xffff0000, v22
	buffer_load_dword v21, off, s[0:3], s33 offset:216 ; 4-byte Folded Reload
	buffer_load_dword v22, off, s[0:3], s33 offset:220 ; 4-byte Folded Reload
	;; [unrolled: 1-line block ×4, first 2 shown]
	s_waitcnt vmcnt(1)
	v_lshlrev_b32_e32 v21, 16, v23
	v_add_f32_e32 v18, v21, v18
	v_and_b32_e32 v21, 0x7f800000, v18
	v_cmp_ne_u32_e32 vcc, s97, v21
                                        ; implicit-def: $vgpr21
                                        ; kill: killed $vgpr21
	s_and_saveexec_b64 s[92:93], vcc
	s_xor_b64 s[92:93], exec, s[92:93]
	s_cbranch_execz .LBB12_1602
; %bb.1601:                             ;   in Loop: Header=BB12_1455 Depth=4
	v_bfe_u32 v21, v18, 16, 1
	v_add3_u32 v18, v18, v21, s46
	buffer_store_dword v18, off, s[0:3], s33 offset:476 ; 4-byte Folded Spill
                                        ; implicit-def: $vgpr18
.LBB12_1602:                            ;   in Loop: Header=BB12_1455 Depth=4
	s_andn2_saveexec_b64 s[92:93], s[92:93]
	s_cbranch_execz .LBB12_1604
; %bb.1603:                             ;   in Loop: Header=BB12_1455 Depth=4
	buffer_load_dword v22, off, s[0:3], s33 offset:128 ; 4-byte Folded Reload
	buffer_load_dword v23, off, s[0:3], s33 offset:132 ; 4-byte Folded Reload
	v_or_b32_e32 v21, 0x10000, v18
	s_waitcnt vmcnt(1)
	v_cmp_eq_u32_sdwa vcc, v18, v22 src0_sel:WORD_0 src1_sel:DWORD
	v_cndmask_b32_e32 v18, v21, v18, vcc
	buffer_store_dword v18, off, s[0:3], s33 offset:476 ; 4-byte Folded Spill
.LBB12_1604:                            ;   in Loop: Header=BB12_1455 Depth=4
	s_or_b64 exec, exec, s[92:93]
	buffer_load_dword v21, off, s[0:3], s33 offset:216 ; 4-byte Folded Reload
	buffer_load_dword v22, off, s[0:3], s33 offset:220 ; 4-byte Folded Reload
	buffer_load_dword v23, off, s[0:3], s33 offset:224 ; 4-byte Folded Reload
	buffer_load_dword v24, off, s[0:3], s33 offset:228 ; 4-byte Folded Reload
	v_and_b32_e32 v19, 0xffff0000, v19
	s_waitcnt vmcnt(1)
	v_and_b32_e32 v18, 0xffff0000, v23
	v_add_f32_e32 v18, v18, v19
	v_and_b32_e32 v19, 0x7f800000, v18
	v_cmp_ne_u32_e32 vcc, s97, v19
                                        ; implicit-def: $vgpr19
                                        ; kill: killed $vgpr19
	s_and_saveexec_b64 s[92:93], vcc
	s_xor_b64 s[92:93], exec, s[92:93]
	s_cbranch_execz .LBB12_1606
; %bb.1605:                             ;   in Loop: Header=BB12_1455 Depth=4
	v_bfe_u32 v19, v18, 16, 1
	v_add3_u32 v18, v18, v19, s46
	buffer_store_dword v18, off, s[0:3], s33 offset:480 ; 4-byte Folded Spill
                                        ; implicit-def: $vgpr18
.LBB12_1606:                            ;   in Loop: Header=BB12_1455 Depth=4
	s_andn2_saveexec_b64 s[92:93], s[92:93]
	s_cbranch_execz .LBB12_1608
; %bb.1607:                             ;   in Loop: Header=BB12_1455 Depth=4
	buffer_load_dword v21, off, s[0:3], s33 offset:128 ; 4-byte Folded Reload
	buffer_load_dword v22, off, s[0:3], s33 offset:132 ; 4-byte Folded Reload
	v_or_b32_e32 v19, 0x10000, v18
	s_waitcnt vmcnt(1)
	v_cmp_eq_u32_sdwa vcc, v18, v21 src0_sel:WORD_0 src1_sel:DWORD
	v_cndmask_b32_e32 v18, v19, v18, vcc
	buffer_store_dword v18, off, s[0:3], s33 offset:480 ; 4-byte Folded Spill
.LBB12_1608:                            ;   in Loop: Header=BB12_1455 Depth=4
	s_or_b64 exec, exec, s[92:93]
	v_and_b32_e32 v18, 0xffff0000, v20
	buffer_load_dword v19, off, s[0:3], s33 offset:216 ; 4-byte Folded Reload
	buffer_load_dword v20, off, s[0:3], s33 offset:220 ; 4-byte Folded Reload
	;; [unrolled: 1-line block ×4, first 2 shown]
	s_waitcnt vmcnt(0)
	v_lshlrev_b32_e32 v19, 16, v22
	v_add_f32_e32 v18, v19, v18
	v_and_b32_e32 v19, 0x7f800000, v18
	v_cmp_ne_u32_e32 vcc, s97, v19
                                        ; implicit-def: $vgpr19
                                        ; kill: killed $vgpr19
	s_and_saveexec_b64 s[92:93], vcc
	s_xor_b64 s[92:93], exec, s[92:93]
	s_cbranch_execz .LBB12_1610
; %bb.1609:                             ;   in Loop: Header=BB12_1455 Depth=4
	v_bfe_u32 v19, v18, 16, 1
	v_add3_u32 v18, v18, v19, s46
	buffer_store_dword v18, off, s[0:3], s33 offset:488 ; 4-byte Folded Spill
                                        ; implicit-def: $vgpr18
.LBB12_1610:                            ;   in Loop: Header=BB12_1455 Depth=4
	s_andn2_saveexec_b64 s[92:93], s[92:93]
	s_cbranch_execz .LBB12_1612
; %bb.1611:                             ;   in Loop: Header=BB12_1455 Depth=4
	buffer_load_dword v20, off, s[0:3], s33 offset:128 ; 4-byte Folded Reload
	buffer_load_dword v21, off, s[0:3], s33 offset:132 ; 4-byte Folded Reload
	v_or_b32_e32 v19, 0x10000, v18
	s_waitcnt vmcnt(1)
	v_cmp_eq_u32_sdwa vcc, v18, v20 src0_sel:WORD_0 src1_sel:DWORD
	v_cndmask_b32_e32 v18, v19, v18, vcc
	buffer_store_dword v18, off, s[0:3], s33 offset:488 ; 4-byte Folded Spill
.LBB12_1612:                            ;   in Loop: Header=BB12_1455 Depth=4
	s_or_b64 exec, exec, s[92:93]
	buffer_load_dword v18, off, s[0:3], s33 offset:216 ; 4-byte Folded Reload
	buffer_load_dword v19, off, s[0:3], s33 offset:220 ; 4-byte Folded Reload
	buffer_load_dword v20, off, s[0:3], s33 offset:224 ; 4-byte Folded Reload
	buffer_load_dword v21, off, s[0:3], s33 offset:228 ; 4-byte Folded Reload
	buffer_load_dword v19, off, s[0:3], s33 offset:460 ; 4-byte Folded Reload
	s_waitcnt vmcnt(1)
	v_and_b32_e32 v18, 0xffff0000, v21
	s_waitcnt vmcnt(0)
	v_and_b32_e32 v19, 0xffff0000, v19
	v_add_f32_e32 v18, v18, v19
	v_and_b32_e32 v19, 0x7f800000, v18
	v_cmp_ne_u32_e32 vcc, s97, v19
                                        ; implicit-def: $vgpr19
                                        ; kill: killed $vgpr19
	s_and_saveexec_b64 s[92:93], vcc
	s_xor_b64 s[92:93], exec, s[92:93]
	s_cbranch_execz .LBB12_1614
; %bb.1613:                             ;   in Loop: Header=BB12_1455 Depth=4
	v_bfe_u32 v19, v18, 16, 1
	v_add3_u32 v18, v18, v19, s46
	buffer_store_dword v18, off, s[0:3], s33 offset:460 ; 4-byte Folded Spill
                                        ; implicit-def: $vgpr18
.LBB12_1614:                            ;   in Loop: Header=BB12_1455 Depth=4
	s_andn2_saveexec_b64 s[92:93], s[92:93]
	s_cbranch_execz .LBB12_1616
; %bb.1615:                             ;   in Loop: Header=BB12_1455 Depth=4
	buffer_load_dword v20, off, s[0:3], s33 offset:128 ; 4-byte Folded Reload
	buffer_load_dword v21, off, s[0:3], s33 offset:132 ; 4-byte Folded Reload
	v_or_b32_e32 v19, 0x10000, v18
	s_waitcnt vmcnt(1)
	v_cmp_eq_u32_sdwa vcc, v18, v20 src0_sel:WORD_0 src1_sel:DWORD
	v_cndmask_b32_e32 v18, v19, v18, vcc
	buffer_store_dword v18, off, s[0:3], s33 offset:460 ; 4-byte Folded Spill
.LBB12_1616:                            ;   in Loop: Header=BB12_1455 Depth=4
	s_or_b64 exec, exec, s[92:93]
	buffer_load_dword v18, off, s[0:3], s33 offset:464 ; 4-byte Folded Reload
	buffer_load_dword v19, off, s[0:3], s33 offset:200 ; 4-byte Folded Reload
	;; [unrolled: 1-line block ×5, first 2 shown]
	s_waitcnt vmcnt(3)
	v_lshlrev_b32_e32 v19, 16, v19
	v_and_b32_e32 v18, 0xffff0000, v18
	v_add_f32_e32 v18, v19, v18
	v_and_b32_e32 v19, 0x7f800000, v18
	v_cmp_ne_u32_e32 vcc, s97, v19
                                        ; implicit-def: $vgpr19
                                        ; kill: killed $vgpr19
	s_and_saveexec_b64 s[92:93], vcc
	s_xor_b64 s[92:93], exec, s[92:93]
	s_cbranch_execz .LBB12_1618
; %bb.1617:                             ;   in Loop: Header=BB12_1455 Depth=4
	v_bfe_u32 v19, v18, 16, 1
	v_add3_u32 v18, v18, v19, s46
	buffer_store_dword v18, off, s[0:3], s33 offset:464 ; 4-byte Folded Spill
                                        ; implicit-def: $vgpr18
.LBB12_1618:                            ;   in Loop: Header=BB12_1455 Depth=4
	s_andn2_saveexec_b64 s[92:93], s[92:93]
	s_cbranch_execz .LBB12_1620
; %bb.1619:                             ;   in Loop: Header=BB12_1455 Depth=4
	buffer_load_dword v20, off, s[0:3], s33 offset:128 ; 4-byte Folded Reload
	buffer_load_dword v21, off, s[0:3], s33 offset:132 ; 4-byte Folded Reload
	v_or_b32_e32 v19, 0x10000, v18
	s_waitcnt vmcnt(1)
	v_cmp_eq_u32_sdwa vcc, v18, v20 src0_sel:WORD_0 src1_sel:DWORD
	v_cndmask_b32_e32 v18, v19, v18, vcc
	buffer_store_dword v18, off, s[0:3], s33 offset:464 ; 4-byte Folded Spill
.LBB12_1620:                            ;   in Loop: Header=BB12_1455 Depth=4
	s_or_b64 exec, exec, s[92:93]
	buffer_load_dword v18, off, s[0:3], s33 offset:200 ; 4-byte Folded Reload
	buffer_load_dword v19, off, s[0:3], s33 offset:204 ; 4-byte Folded Reload
	;; [unrolled: 1-line block ×4, first 2 shown]
	s_waitcnt vmcnt(2)
	v_and_b32_e32 v19, 0xffff0000, v28
	v_and_b32_e32 v18, 0xffff0000, v18
	v_add_f32_e32 v18, v18, v19
	v_and_b32_e32 v19, 0x7f800000, v18
	v_cmp_ne_u32_e32 vcc, s97, v19
                                        ; implicit-def: $vgpr19
                                        ; kill: killed $vgpr19
	s_and_saveexec_b64 s[92:93], vcc
	s_xor_b64 s[92:93], exec, s[92:93]
	s_cbranch_execz .LBB12_1622
; %bb.1621:                             ;   in Loop: Header=BB12_1455 Depth=4
	v_bfe_u32 v19, v18, 16, 1
	v_add3_u32 v18, v18, v19, s46
	buffer_store_dword v18, off, s[0:3], s33 offset:492 ; 4-byte Folded Spill
                                        ; implicit-def: $vgpr18
.LBB12_1622:                            ;   in Loop: Header=BB12_1455 Depth=4
	s_andn2_saveexec_b64 s[92:93], s[92:93]
	s_cbranch_execz .LBB12_1624
; %bb.1623:                             ;   in Loop: Header=BB12_1455 Depth=4
	buffer_load_dword v20, off, s[0:3], s33 offset:128 ; 4-byte Folded Reload
	buffer_load_dword v21, off, s[0:3], s33 offset:132 ; 4-byte Folded Reload
	v_or_b32_e32 v19, 0x10000, v18
	s_waitcnt vmcnt(1)
	v_cmp_eq_u32_sdwa vcc, v18, v20 src0_sel:WORD_0 src1_sel:DWORD
	v_cndmask_b32_e32 v18, v19, v18, vcc
	buffer_store_dword v18, off, s[0:3], s33 offset:492 ; 4-byte Folded Spill
.LBB12_1624:                            ;   in Loop: Header=BB12_1455 Depth=4
	s_or_b64 exec, exec, s[92:93]
	buffer_load_dword v19, off, s[0:3], s33 offset:200 ; 4-byte Folded Reload
	buffer_load_dword v20, off, s[0:3], s33 offset:204 ; 4-byte Folded Reload
	buffer_load_dword v21, off, s[0:3], s33 offset:208 ; 4-byte Folded Reload
	buffer_load_dword v22, off, s[0:3], s33 offset:212 ; 4-byte Folded Reload
	v_and_b32_e32 v18, 0xffff0000, v29
	s_waitcnt vmcnt(2)
	v_lshlrev_b32_e32 v19, 16, v20
	v_add_f32_e32 v18, v19, v18
	v_and_b32_e32 v19, 0x7f800000, v18
	v_cmp_ne_u32_e32 vcc, s97, v19
                                        ; implicit-def: $vgpr19
                                        ; kill: killed $vgpr19
	s_and_saveexec_b64 s[92:93], vcc
	s_xor_b64 s[92:93], exec, s[92:93]
	s_cbranch_execz .LBB12_1626
; %bb.1625:                             ;   in Loop: Header=BB12_1455 Depth=4
	v_bfe_u32 v19, v18, 16, 1
	v_add3_u32 v18, v18, v19, s46
	buffer_store_dword v18, off, s[0:3], s33 offset:508 ; 4-byte Folded Spill
                                        ; implicit-def: $vgpr18
.LBB12_1626:                            ;   in Loop: Header=BB12_1455 Depth=4
	s_andn2_saveexec_b64 s[92:93], s[92:93]
	s_cbranch_execz .LBB12_1628
; %bb.1627:                             ;   in Loop: Header=BB12_1455 Depth=4
	buffer_load_dword v20, off, s[0:3], s33 offset:128 ; 4-byte Folded Reload
	buffer_load_dword v21, off, s[0:3], s33 offset:132 ; 4-byte Folded Reload
	v_or_b32_e32 v19, 0x10000, v18
	s_waitcnt vmcnt(1)
	v_cmp_eq_u32_sdwa vcc, v18, v20 src0_sel:WORD_0 src1_sel:DWORD
	v_cndmask_b32_e32 v18, v19, v18, vcc
	buffer_store_dword v18, off, s[0:3], s33 offset:508 ; 4-byte Folded Spill
.LBB12_1628:                            ;   in Loop: Header=BB12_1455 Depth=4
	s_or_b64 exec, exec, s[92:93]
	buffer_load_dword v18, off, s[0:3], s33 offset:200 ; 4-byte Folded Reload
	buffer_load_dword v19, off, s[0:3], s33 offset:204 ; 4-byte Folded Reload
	;; [unrolled: 1-line block ×4, first 2 shown]
	s_waitcnt vmcnt(2)
	v_and_b32_e32 v18, 0xffff0000, v19
	buffer_load_dword v19, off, s[0:3], s33 offset:456 ; 4-byte Folded Reload
	s_waitcnt vmcnt(0)
	v_and_b32_e32 v19, 0xffff0000, v19
	v_add_f32_e32 v18, v18, v19
	v_and_b32_e32 v19, 0x7f800000, v18
	v_cmp_ne_u32_e32 vcc, s97, v19
                                        ; implicit-def: $vgpr19
                                        ; kill: killed $vgpr19
	s_and_saveexec_b64 s[92:93], vcc
	s_xor_b64 s[92:93], exec, s[92:93]
	s_cbranch_execz .LBB12_1630
; %bb.1629:                             ;   in Loop: Header=BB12_1455 Depth=4
	v_bfe_u32 v19, v18, 16, 1
	v_add3_u32 v18, v18, v19, s46
	buffer_store_dword v18, off, s[0:3], s33 offset:456 ; 4-byte Folded Spill
                                        ; implicit-def: $vgpr18
.LBB12_1630:                            ;   in Loop: Header=BB12_1455 Depth=4
	s_andn2_saveexec_b64 s[92:93], s[92:93]
	s_cbranch_execz .LBB12_1632
; %bb.1631:                             ;   in Loop: Header=BB12_1455 Depth=4
	buffer_load_dword v20, off, s[0:3], s33 offset:128 ; 4-byte Folded Reload
	buffer_load_dword v21, off, s[0:3], s33 offset:132 ; 4-byte Folded Reload
	v_or_b32_e32 v19, 0x10000, v18
	s_waitcnt vmcnt(1)
	v_cmp_eq_u32_sdwa vcc, v18, v20 src0_sel:WORD_0 src1_sel:DWORD
	v_cndmask_b32_e32 v18, v19, v18, vcc
	buffer_store_dword v18, off, s[0:3], s33 offset:456 ; 4-byte Folded Spill
.LBB12_1632:                            ;   in Loop: Header=BB12_1455 Depth=4
	s_or_b64 exec, exec, s[92:93]
	buffer_load_dword v19, off, s[0:3], s33 offset:200 ; 4-byte Folded Reload
	buffer_load_dword v20, off, s[0:3], s33 offset:204 ; 4-byte Folded Reload
	;; [unrolled: 1-line block ×4, first 2 shown]
	v_and_b32_e32 v18, 0xffff0000, v45
	s_waitcnt vmcnt(1)
	v_lshlrev_b32_e32 v19, 16, v21
	v_add_f32_e32 v18, v19, v18
	v_and_b32_e32 v19, 0x7f800000, v18
	v_cmp_ne_u32_e32 vcc, s97, v19
                                        ; implicit-def: $vgpr19
                                        ; kill: killed $vgpr19
	s_and_saveexec_b64 s[92:93], vcc
	s_xor_b64 s[92:93], exec, s[92:93]
	s_cbranch_execz .LBB12_1634
; %bb.1633:                             ;   in Loop: Header=BB12_1455 Depth=4
	v_bfe_u32 v19, v18, 16, 1
	v_add3_u32 v18, v18, v19, s46
	buffer_store_dword v18, off, s[0:3], s33 offset:516 ; 4-byte Folded Spill
                                        ; implicit-def: $vgpr18
.LBB12_1634:                            ;   in Loop: Header=BB12_1455 Depth=4
	s_andn2_saveexec_b64 s[92:93], s[92:93]
	s_cbranch_execz .LBB12_1636
; %bb.1635:                             ;   in Loop: Header=BB12_1455 Depth=4
	buffer_load_dword v20, off, s[0:3], s33 offset:128 ; 4-byte Folded Reload
	buffer_load_dword v21, off, s[0:3], s33 offset:132 ; 4-byte Folded Reload
	v_or_b32_e32 v19, 0x10000, v18
	s_waitcnt vmcnt(1)
	v_cmp_eq_u32_sdwa vcc, v18, v20 src0_sel:WORD_0 src1_sel:DWORD
	v_cndmask_b32_e32 v18, v19, v18, vcc
	buffer_store_dword v18, off, s[0:3], s33 offset:516 ; 4-byte Folded Spill
.LBB12_1636:                            ;   in Loop: Header=BB12_1455 Depth=4
	s_or_b64 exec, exec, s[92:93]
	buffer_load_dword v18, off, s[0:3], s33 offset:200 ; 4-byte Folded Reload
	buffer_load_dword v19, off, s[0:3], s33 offset:204 ; 4-byte Folded Reload
	;; [unrolled: 1-line block ×5, first 2 shown]
                                        ; implicit-def: $vgpr46
	s_waitcnt vmcnt(2)
	v_and_b32_e32 v18, 0xffff0000, v20
	s_waitcnt vmcnt(0)
	v_and_b32_e32 v19, 0xffff0000, v19
	v_add_f32_e32 v18, v18, v19
	v_and_b32_e32 v19, 0x7f800000, v18
	v_cmp_ne_u32_e32 vcc, s97, v19
	s_and_saveexec_b64 s[92:93], vcc
	s_xor_b64 s[92:93], exec, s[92:93]
; %bb.1637:                             ;   in Loop: Header=BB12_1455 Depth=4
	v_bfe_u32 v19, v18, 16, 1
	v_add3_u32 v46, v18, v19, s46
                                        ; implicit-def: $vgpr18
; %bb.1638:                             ;   in Loop: Header=BB12_1455 Depth=4
	s_andn2_saveexec_b64 s[92:93], s[92:93]
	s_cbranch_execz .LBB12_1640
; %bb.1639:                             ;   in Loop: Header=BB12_1455 Depth=4
	buffer_load_dword v20, off, s[0:3], s33 offset:128 ; 4-byte Folded Reload
	buffer_load_dword v21, off, s[0:3], s33 offset:132 ; 4-byte Folded Reload
	v_or_b32_e32 v19, 0x10000, v18
	s_waitcnt vmcnt(1)
	v_cmp_eq_u32_sdwa vcc, v18, v20 src0_sel:WORD_0 src1_sel:DWORD
	v_cndmask_b32_e32 v46, v19, v18, vcc
.LBB12_1640:                            ;   in Loop: Header=BB12_1455 Depth=4
	s_or_b64 exec, exec, s[92:93]
	buffer_load_dword v18, off, s[0:3], s33 offset:452 ; 4-byte Folded Reload
	buffer_load_dword v19, off, s[0:3], s33 offset:200 ; 4-byte Folded Reload
	;; [unrolled: 1-line block ×5, first 2 shown]
                                        ; implicit-def: $vgpr26
	s_waitcnt vmcnt(4)
	v_and_b32_e32 v18, 0xffff0000, v18
	s_waitcnt vmcnt(0)
	v_lshlrev_b32_e32 v19, 16, v22
	v_add_f32_e32 v18, v19, v18
	v_and_b32_e32 v19, 0x7f800000, v18
	v_cmp_ne_u32_e32 vcc, s97, v19
	s_and_saveexec_b64 s[92:93], vcc
	s_xor_b64 s[92:93], exec, s[92:93]
; %bb.1641:                             ;   in Loop: Header=BB12_1455 Depth=4
	v_bfe_u32 v19, v18, 16, 1
	v_add3_u32 v26, v18, v19, s46
                                        ; implicit-def: $vgpr18
; %bb.1642:                             ;   in Loop: Header=BB12_1455 Depth=4
	s_andn2_saveexec_b64 s[92:93], s[92:93]
	s_cbranch_execz .LBB12_1644
; %bb.1643:                             ;   in Loop: Header=BB12_1455 Depth=4
	buffer_load_dword v20, off, s[0:3], s33 offset:128 ; 4-byte Folded Reload
	buffer_load_dword v21, off, s[0:3], s33 offset:132 ; 4-byte Folded Reload
	v_or_b32_e32 v19, 0x10000, v18
	s_waitcnt vmcnt(1)
	v_cmp_eq_u32_sdwa vcc, v18, v20 src0_sel:WORD_0 src1_sel:DWORD
	v_cndmask_b32_e32 v26, v19, v18, vcc
.LBB12_1644:                            ;   in Loop: Header=BB12_1455 Depth=4
	s_or_b64 exec, exec, s[92:93]
	buffer_load_dword v18, off, s[0:3], s33 offset:200 ; 4-byte Folded Reload
	buffer_load_dword v19, off, s[0:3], s33 offset:204 ; 4-byte Folded Reload
	;; [unrolled: 1-line block ×4, first 2 shown]
	s_waitcnt vmcnt(2)
	v_and_b32_e32 v19, 0xffff0000, v47
                                        ; implicit-def: $vgpr47
	s_waitcnt vmcnt(0)
	v_and_b32_e32 v18, 0xffff0000, v21
	v_add_f32_e32 v18, v18, v19
	v_and_b32_e32 v19, 0x7f800000, v18
	v_cmp_ne_u32_e32 vcc, s97, v19
	s_and_saveexec_b64 s[92:93], vcc
	s_xor_b64 s[92:93], exec, s[92:93]
; %bb.1645:                             ;   in Loop: Header=BB12_1455 Depth=4
	v_bfe_u32 v19, v18, 16, 1
	v_add3_u32 v47, v18, v19, s46
                                        ; implicit-def: $vgpr18
; %bb.1646:                             ;   in Loop: Header=BB12_1455 Depth=4
	s_andn2_saveexec_b64 s[92:93], s[92:93]
	s_cbranch_execz .LBB12_1648
; %bb.1647:                             ;   in Loop: Header=BB12_1455 Depth=4
	buffer_load_dword v20, off, s[0:3], s33 offset:128 ; 4-byte Folded Reload
	buffer_load_dword v21, off, s[0:3], s33 offset:132 ; 4-byte Folded Reload
	v_or_b32_e32 v19, 0x10000, v18
	s_waitcnt vmcnt(1)
	v_cmp_eq_u32_sdwa vcc, v18, v20 src0_sel:WORD_0 src1_sel:DWORD
	v_cndmask_b32_e32 v47, v19, v18, vcc
.LBB12_1648:                            ;   in Loop: Header=BB12_1455 Depth=4
	s_or_b64 exec, exec, s[92:93]
	buffer_load_dword v18, off, s[0:3], s33 offset:444 ; 4-byte Folded Reload
	buffer_load_dword v19, off, s[0:3], s33 offset:184 ; 4-byte Folded Reload
	;; [unrolled: 1-line block ×5, first 2 shown]
                                        ; implicit-def: $vgpr44
	s_waitcnt vmcnt(3)
	v_lshlrev_b32_e32 v19, 16, v19
	v_and_b32_e32 v18, 0xffff0000, v18
	v_add_f32_e32 v18, v19, v18
	v_and_b32_e32 v19, 0x7f800000, v18
	v_cmp_ne_u32_e32 vcc, s97, v19
	s_and_saveexec_b64 s[92:93], vcc
	s_xor_b64 s[92:93], exec, s[92:93]
; %bb.1649:                             ;   in Loop: Header=BB12_1455 Depth=4
	v_bfe_u32 v19, v18, 16, 1
	v_add3_u32 v44, v18, v19, s46
                                        ; implicit-def: $vgpr18
; %bb.1650:                             ;   in Loop: Header=BB12_1455 Depth=4
	s_andn2_saveexec_b64 s[92:93], s[92:93]
	s_cbranch_execz .LBB12_1652
; %bb.1651:                             ;   in Loop: Header=BB12_1455 Depth=4
	buffer_load_dword v20, off, s[0:3], s33 offset:128 ; 4-byte Folded Reload
	buffer_load_dword v21, off, s[0:3], s33 offset:132 ; 4-byte Folded Reload
	v_or_b32_e32 v19, 0x10000, v18
	s_waitcnt vmcnt(1)
	v_cmp_eq_u32_sdwa vcc, v18, v20 src0_sel:WORD_0 src1_sel:DWORD
	v_cndmask_b32_e32 v44, v19, v18, vcc
.LBB12_1652:                            ;   in Loop: Header=BB12_1455 Depth=4
	s_or_b64 exec, exec, s[92:93]
	buffer_load_dword v18, off, s[0:3], s33 offset:184 ; 4-byte Folded Reload
	buffer_load_dword v19, off, s[0:3], s33 offset:188 ; 4-byte Folded Reload
	;; [unrolled: 1-line block ×5, first 2 shown]
                                        ; implicit-def: $vgpr48
	s_waitcnt vmcnt(4)
	v_and_b32_e32 v18, 0xffff0000, v18
	s_waitcnt vmcnt(0)
	v_and_b32_e32 v19, 0xffff0000, v19
	v_add_f32_e32 v18, v18, v19
	v_and_b32_e32 v19, 0x7f800000, v18
	v_cmp_ne_u32_e32 vcc, s97, v19
	s_and_saveexec_b64 s[92:93], vcc
	s_xor_b64 s[92:93], exec, s[92:93]
; %bb.1653:                             ;   in Loop: Header=BB12_1455 Depth=4
	v_bfe_u32 v19, v18, 16, 1
	v_add3_u32 v48, v18, v19, s46
                                        ; implicit-def: $vgpr18
; %bb.1654:                             ;   in Loop: Header=BB12_1455 Depth=4
	s_andn2_saveexec_b64 s[92:93], s[92:93]
	s_cbranch_execz .LBB12_1656
; %bb.1655:                             ;   in Loop: Header=BB12_1455 Depth=4
	buffer_load_dword v20, off, s[0:3], s33 offset:128 ; 4-byte Folded Reload
	buffer_load_dword v21, off, s[0:3], s33 offset:132 ; 4-byte Folded Reload
	v_or_b32_e32 v19, 0x10000, v18
	s_waitcnt vmcnt(1)
	v_cmp_eq_u32_sdwa vcc, v18, v20 src0_sel:WORD_0 src1_sel:DWORD
	v_cndmask_b32_e32 v48, v19, v18, vcc
.LBB12_1656:                            ;   in Loop: Header=BB12_1455 Depth=4
	s_or_b64 exec, exec, s[92:93]
	buffer_load_dword v18, off, s[0:3], s33 offset:440 ; 4-byte Folded Reload
	buffer_load_dword v19, off, s[0:3], s33 offset:184 ; 4-byte Folded Reload
	;; [unrolled: 1-line block ×5, first 2 shown]
                                        ; implicit-def: $vgpr45
	s_waitcnt vmcnt(2)
	v_lshlrev_b32_e32 v19, 16, v20
	v_and_b32_e32 v18, 0xffff0000, v18
	v_add_f32_e32 v18, v19, v18
	v_and_b32_e32 v19, 0x7f800000, v18
	v_cmp_ne_u32_e32 vcc, s97, v19
	s_and_saveexec_b64 s[92:93], vcc
	s_xor_b64 s[92:93], exec, s[92:93]
; %bb.1657:                             ;   in Loop: Header=BB12_1455 Depth=4
	v_bfe_u32 v19, v18, 16, 1
	v_add3_u32 v45, v18, v19, s46
                                        ; implicit-def: $vgpr18
; %bb.1658:                             ;   in Loop: Header=BB12_1455 Depth=4
	s_andn2_saveexec_b64 s[92:93], s[92:93]
	s_cbranch_execz .LBB12_1660
; %bb.1659:                             ;   in Loop: Header=BB12_1455 Depth=4
	buffer_load_dword v20, off, s[0:3], s33 offset:128 ; 4-byte Folded Reload
	buffer_load_dword v21, off, s[0:3], s33 offset:132 ; 4-byte Folded Reload
	v_or_b32_e32 v19, 0x10000, v18
	s_waitcnt vmcnt(1)
	v_cmp_eq_u32_sdwa vcc, v18, v20 src0_sel:WORD_0 src1_sel:DWORD
	v_cndmask_b32_e32 v45, v19, v18, vcc
.LBB12_1660:                            ;   in Loop: Header=BB12_1455 Depth=4
	s_or_b64 exec, exec, s[92:93]
	buffer_load_dword v18, off, s[0:3], s33 offset:184 ; 4-byte Folded Reload
	buffer_load_dword v19, off, s[0:3], s33 offset:188 ; 4-byte Folded Reload
	;; [unrolled: 1-line block ×4, first 2 shown]
                                        ; implicit-def: $vgpr49
	s_waitcnt vmcnt(2)
	v_and_b32_e32 v18, 0xffff0000, v19
	buffer_load_dword v19, off, s[0:3], s33 offset:376 ; 4-byte Folded Reload
	s_waitcnt vmcnt(0)
	v_and_b32_e32 v19, 0xffff0000, v19
	v_add_f32_e32 v18, v18, v19
	v_and_b32_e32 v19, 0x7f800000, v18
	v_cmp_ne_u32_e32 vcc, s97, v19
	s_and_saveexec_b64 s[92:93], vcc
	s_xor_b64 s[92:93], exec, s[92:93]
; %bb.1661:                             ;   in Loop: Header=BB12_1455 Depth=4
	v_bfe_u32 v19, v18, 16, 1
	v_add3_u32 v49, v18, v19, s46
                                        ; implicit-def: $vgpr18
; %bb.1662:                             ;   in Loop: Header=BB12_1455 Depth=4
	s_andn2_saveexec_b64 s[92:93], s[92:93]
	s_cbranch_execz .LBB12_1664
; %bb.1663:                             ;   in Loop: Header=BB12_1455 Depth=4
	buffer_load_dword v20, off, s[0:3], s33 offset:128 ; 4-byte Folded Reload
	buffer_load_dword v21, off, s[0:3], s33 offset:132 ; 4-byte Folded Reload
	v_or_b32_e32 v19, 0x10000, v18
	s_waitcnt vmcnt(1)
	v_cmp_eq_u32_sdwa vcc, v18, v20 src0_sel:WORD_0 src1_sel:DWORD
	v_cndmask_b32_e32 v49, v19, v18, vcc
.LBB12_1664:                            ;   in Loop: Header=BB12_1455 Depth=4
	s_or_b64 exec, exec, s[92:93]
	buffer_load_dword v18, off, s[0:3], s33 offset:380 ; 4-byte Folded Reload
	buffer_load_dword v19, off, s[0:3], s33 offset:184 ; 4-byte Folded Reload
	;; [unrolled: 1-line block ×5, first 2 shown]
                                        ; implicit-def: $vgpr25
	s_waitcnt vmcnt(1)
	v_lshlrev_b32_e32 v19, 16, v21
	v_and_b32_e32 v18, 0xffff0000, v18
	v_add_f32_e32 v18, v19, v18
	v_and_b32_e32 v19, 0x7f800000, v18
	v_cmp_ne_u32_e32 vcc, s97, v19
	s_and_saveexec_b64 s[92:93], vcc
	s_xor_b64 s[92:93], exec, s[92:93]
; %bb.1665:                             ;   in Loop: Header=BB12_1455 Depth=4
	v_bfe_u32 v19, v18, 16, 1
	v_add3_u32 v25, v18, v19, s46
                                        ; implicit-def: $vgpr18
; %bb.1666:                             ;   in Loop: Header=BB12_1455 Depth=4
	s_andn2_saveexec_b64 s[92:93], s[92:93]
	s_cbranch_execz .LBB12_1668
; %bb.1667:                             ;   in Loop: Header=BB12_1455 Depth=4
	buffer_load_dword v20, off, s[0:3], s33 offset:128 ; 4-byte Folded Reload
	buffer_load_dword v21, off, s[0:3], s33 offset:132 ; 4-byte Folded Reload
	v_or_b32_e32 v19, 0x10000, v18
	s_waitcnt vmcnt(1)
	v_cmp_eq_u32_sdwa vcc, v18, v20 src0_sel:WORD_0 src1_sel:DWORD
	v_cndmask_b32_e32 v25, v19, v18, vcc
.LBB12_1668:                            ;   in Loop: Header=BB12_1455 Depth=4
	s_or_b64 exec, exec, s[92:93]
	buffer_load_dword v18, off, s[0:3], s33 offset:184 ; 4-byte Folded Reload
	buffer_load_dword v19, off, s[0:3], s33 offset:188 ; 4-byte Folded Reload
	;; [unrolled: 1-line block ×5, first 2 shown]
                                        ; implicit-def: $vgpr50
	s_waitcnt vmcnt(2)
	v_and_b32_e32 v18, 0xffff0000, v20
	s_waitcnt vmcnt(0)
	v_and_b32_e32 v19, 0xffff0000, v19
	v_add_f32_e32 v18, v18, v19
	v_and_b32_e32 v19, 0x7f800000, v18
	v_cmp_ne_u32_e32 vcc, s97, v19
	s_and_saveexec_b64 s[92:93], vcc
	s_xor_b64 s[92:93], exec, s[92:93]
; %bb.1669:                             ;   in Loop: Header=BB12_1455 Depth=4
	v_bfe_u32 v19, v18, 16, 1
	v_add3_u32 v50, v18, v19, s46
                                        ; implicit-def: $vgpr18
; %bb.1670:                             ;   in Loop: Header=BB12_1455 Depth=4
	s_andn2_saveexec_b64 s[92:93], s[92:93]
	s_cbranch_execz .LBB12_1672
; %bb.1671:                             ;   in Loop: Header=BB12_1455 Depth=4
	buffer_load_dword v20, off, s[0:3], s33 offset:128 ; 4-byte Folded Reload
	buffer_load_dword v21, off, s[0:3], s33 offset:132 ; 4-byte Folded Reload
	v_or_b32_e32 v19, 0x10000, v18
	s_waitcnt vmcnt(1)
	v_cmp_eq_u32_sdwa vcc, v18, v20 src0_sel:WORD_0 src1_sel:DWORD
	v_cndmask_b32_e32 v50, v19, v18, vcc
.LBB12_1672:                            ;   in Loop: Header=BB12_1455 Depth=4
	s_or_b64 exec, exec, s[92:93]
	buffer_load_dword v18, off, s[0:3], s33 offset:372 ; 4-byte Folded Reload
	buffer_load_dword v19, off, s[0:3], s33 offset:184 ; 4-byte Folded Reload
	;; [unrolled: 1-line block ×5, first 2 shown]
                                        ; implicit-def: $vgpr24
	s_waitcnt vmcnt(4)
	v_and_b32_e32 v18, 0xffff0000, v18
	s_waitcnt vmcnt(0)
	v_lshlrev_b32_e32 v19, 16, v22
	v_add_f32_e32 v18, v19, v18
	v_and_b32_e32 v19, 0x7f800000, v18
	v_cmp_ne_u32_e32 vcc, s97, v19
	s_and_saveexec_b64 s[92:93], vcc
	s_xor_b64 s[92:93], exec, s[92:93]
; %bb.1673:                             ;   in Loop: Header=BB12_1455 Depth=4
	v_bfe_u32 v19, v18, 16, 1
	v_add3_u32 v24, v18, v19, s46
                                        ; implicit-def: $vgpr18
; %bb.1674:                             ;   in Loop: Header=BB12_1455 Depth=4
	s_andn2_saveexec_b64 s[92:93], s[92:93]
	s_cbranch_execz .LBB12_1676
; %bb.1675:                             ;   in Loop: Header=BB12_1455 Depth=4
	buffer_load_dword v20, off, s[0:3], s33 offset:128 ; 4-byte Folded Reload
	buffer_load_dword v21, off, s[0:3], s33 offset:132 ; 4-byte Folded Reload
	v_or_b32_e32 v19, 0x10000, v18
	s_waitcnt vmcnt(1)
	v_cmp_eq_u32_sdwa vcc, v18, v20 src0_sel:WORD_0 src1_sel:DWORD
	v_cndmask_b32_e32 v24, v19, v18, vcc
.LBB12_1676:                            ;   in Loop: Header=BB12_1455 Depth=4
	s_or_b64 exec, exec, s[92:93]
	buffer_load_dword v18, off, s[0:3], s33 offset:184 ; 4-byte Folded Reload
	buffer_load_dword v19, off, s[0:3], s33 offset:188 ; 4-byte Folded Reload
	;; [unrolled: 1-line block ×5, first 2 shown]
                                        ; implicit-def: $vgpr51
	s_waitcnt vmcnt(1)
	v_and_b32_e32 v18, 0xffff0000, v21
	s_waitcnt vmcnt(0)
	v_and_b32_e32 v19, 0xffff0000, v19
	v_add_f32_e32 v18, v18, v19
	v_and_b32_e32 v19, 0x7f800000, v18
	v_cmp_ne_u32_e32 vcc, s97, v19
	s_and_saveexec_b64 s[92:93], vcc
	s_xor_b64 s[92:93], exec, s[92:93]
; %bb.1677:                             ;   in Loop: Header=BB12_1455 Depth=4
	v_bfe_u32 v19, v18, 16, 1
	v_add3_u32 v51, v18, v19, s46
                                        ; implicit-def: $vgpr18
; %bb.1678:                             ;   in Loop: Header=BB12_1455 Depth=4
	s_andn2_saveexec_b64 s[92:93], s[92:93]
	s_cbranch_execz .LBB12_1680
; %bb.1679:                             ;   in Loop: Header=BB12_1455 Depth=4
	buffer_load_dword v20, off, s[0:3], s33 offset:128 ; 4-byte Folded Reload
	buffer_load_dword v21, off, s[0:3], s33 offset:132 ; 4-byte Folded Reload
	v_or_b32_e32 v19, 0x10000, v18
	s_waitcnt vmcnt(1)
	v_cmp_eq_u32_sdwa vcc, v18, v20 src0_sel:WORD_0 src1_sel:DWORD
	v_cndmask_b32_e32 v51, v19, v18, vcc
.LBB12_1680:                            ;   in Loop: Header=BB12_1455 Depth=4
	s_or_b64 exec, exec, s[92:93]
	buffer_load_dword v18, off, s[0:3], s33 offset:364 ; 4-byte Folded Reload
	buffer_load_dword v19, off, s[0:3], s33 offset:168 ; 4-byte Folded Reload
	;; [unrolled: 1-line block ×5, first 2 shown]
                                        ; implicit-def: $vgpr27
	s_waitcnt vmcnt(3)
	v_lshlrev_b32_e32 v19, 16, v19
	v_and_b32_e32 v18, 0xffff0000, v18
	v_add_f32_e32 v18, v19, v18
	v_and_b32_e32 v19, 0x7f800000, v18
	v_cmp_ne_u32_e32 vcc, s97, v19
	s_and_saveexec_b64 s[92:93], vcc
	s_xor_b64 s[92:93], exec, s[92:93]
; %bb.1681:                             ;   in Loop: Header=BB12_1455 Depth=4
	v_bfe_u32 v19, v18, 16, 1
	v_add3_u32 v27, v18, v19, s46
                                        ; implicit-def: $vgpr18
; %bb.1682:                             ;   in Loop: Header=BB12_1455 Depth=4
	s_andn2_saveexec_b64 s[92:93], s[92:93]
	s_cbranch_execz .LBB12_1684
; %bb.1683:                             ;   in Loop: Header=BB12_1455 Depth=4
	buffer_load_dword v20, off, s[0:3], s33 offset:128 ; 4-byte Folded Reload
	buffer_load_dword v21, off, s[0:3], s33 offset:132 ; 4-byte Folded Reload
	v_or_b32_e32 v19, 0x10000, v18
	s_waitcnt vmcnt(1)
	v_cmp_eq_u32_sdwa vcc, v18, v20 src0_sel:WORD_0 src1_sel:DWORD
	v_cndmask_b32_e32 v27, v19, v18, vcc
.LBB12_1684:                            ;   in Loop: Header=BB12_1455 Depth=4
	s_or_b64 exec, exec, s[92:93]
	buffer_load_dword v18, off, s[0:3], s33 offset:168 ; 4-byte Folded Reload
	buffer_load_dword v19, off, s[0:3], s33 offset:172 ; 4-byte Folded Reload
	;; [unrolled: 1-line block ×5, first 2 shown]
	s_waitcnt vmcnt(4)
	v_and_b32_e32 v18, 0xffff0000, v18
	s_waitcnt vmcnt(0)
	v_and_b32_e32 v19, 0xffff0000, v19
	v_add_f32_e32 v19, v18, v19
	v_and_b32_e32 v18, 0x7f800000, v19
	v_cmp_ne_u32_e32 vcc, s97, v18
                                        ; implicit-def: $vgpr18
	s_and_saveexec_b64 s[92:93], vcc
	s_xor_b64 s[92:93], exec, s[92:93]
; %bb.1685:                             ;   in Loop: Header=BB12_1455 Depth=4
	v_bfe_u32 v18, v19, 16, 1
	v_add3_u32 v18, v19, v18, s46
                                        ; implicit-def: $vgpr19
; %bb.1686:                             ;   in Loop: Header=BB12_1455 Depth=4
	s_andn2_saveexec_b64 s[92:93], s[92:93]
	s_cbranch_execz .LBB12_1688
; %bb.1687:                             ;   in Loop: Header=BB12_1455 Depth=4
	buffer_load_dword v20, off, s[0:3], s33 offset:128 ; 4-byte Folded Reload
	buffer_load_dword v21, off, s[0:3], s33 offset:132 ; 4-byte Folded Reload
	v_or_b32_e32 v18, 0x10000, v19
	s_waitcnt vmcnt(1)
	v_cmp_eq_u32_sdwa vcc, v19, v20 src0_sel:WORD_0 src1_sel:DWORD
	v_cndmask_b32_e32 v18, v18, v19, vcc
.LBB12_1688:                            ;   in Loop: Header=BB12_1455 Depth=4
	s_or_b64 exec, exec, s[92:93]
	buffer_load_dword v19, off, s[0:3], s33 offset:352 ; 4-byte Folded Reload
	buffer_load_dword v20, off, s[0:3], s33 offset:168 ; 4-byte Folded Reload
	;; [unrolled: 1-line block ×5, first 2 shown]
	s_waitcnt vmcnt(2)
	v_lshlrev_b32_e32 v20, 16, v21
	v_and_b32_e32 v19, 0xffff0000, v19
	v_add_f32_e32 v19, v20, v19
	v_and_b32_e32 v20, 0x7f800000, v19
	v_cmp_ne_u32_e32 vcc, s97, v20
                                        ; implicit-def: $vgpr21
	s_and_saveexec_b64 s[92:93], vcc
	s_xor_b64 s[92:93], exec, s[92:93]
; %bb.1689:                             ;   in Loop: Header=BB12_1455 Depth=4
	v_bfe_u32 v20, v19, 16, 1
	v_add3_u32 v21, v19, v20, s46
                                        ; implicit-def: $vgpr19
; %bb.1690:                             ;   in Loop: Header=BB12_1455 Depth=4
	s_andn2_saveexec_b64 s[92:93], s[92:93]
	s_cbranch_execz .LBB12_1692
; %bb.1691:                             ;   in Loop: Header=BB12_1455 Depth=4
	buffer_load_dword v21, off, s[0:3], s33 offset:128 ; 4-byte Folded Reload
	buffer_load_dword v22, off, s[0:3], s33 offset:132 ; 4-byte Folded Reload
	v_or_b32_e32 v20, 0x10000, v19
	s_waitcnt vmcnt(1)
	v_cmp_eq_u32_sdwa vcc, v19, v21 src0_sel:WORD_0 src1_sel:DWORD
	v_cndmask_b32_e32 v21, v20, v19, vcc
.LBB12_1692:                            ;   in Loop: Header=BB12_1455 Depth=4
	s_or_b64 exec, exec, s[92:93]
	buffer_load_dword v28, off, s[0:3], s33 offset:168 ; 4-byte Folded Reload
	buffer_load_dword v29, off, s[0:3], s33 offset:172 ; 4-byte Folded Reload
	;; [unrolled: 1-line block ×5, first 2 shown]
                                        ; implicit-def: $vgpr22
	s_waitcnt vmcnt(3)
	v_and_b32_e32 v19, 0xffff0000, v29
	s_waitcnt vmcnt(0)
	v_and_b32_e32 v20, 0xffff0000, v20
	v_add_f32_e32 v19, v19, v20
	v_and_b32_e32 v20, 0x7f800000, v19
	v_cmp_ne_u32_e32 vcc, s97, v20
	s_and_saveexec_b64 s[92:93], vcc
	s_xor_b64 s[92:93], exec, s[92:93]
; %bb.1693:                             ;   in Loop: Header=BB12_1455 Depth=4
	v_bfe_u32 v20, v19, 16, 1
	v_add3_u32 v22, v19, v20, s46
                                        ; implicit-def: $vgpr19
; %bb.1694:                             ;   in Loop: Header=BB12_1455 Depth=4
	s_andn2_saveexec_b64 s[92:93], s[92:93]
	s_cbranch_execz .LBB12_1696
; %bb.1695:                             ;   in Loop: Header=BB12_1455 Depth=4
	buffer_load_dword v22, off, s[0:3], s33 offset:128 ; 4-byte Folded Reload
	buffer_load_dword v23, off, s[0:3], s33 offset:132 ; 4-byte Folded Reload
	v_or_b32_e32 v20, 0x10000, v19
	s_waitcnt vmcnt(1)
	v_cmp_eq_u32_sdwa vcc, v19, v22 src0_sel:WORD_0 src1_sel:DWORD
	v_cndmask_b32_e32 v22, v20, v19, vcc
.LBB12_1696:                            ;   in Loop: Header=BB12_1455 Depth=4
	s_or_b64 exec, exec, s[92:93]
	buffer_load_dword v19, off, s[0:3], s33 offset:340 ; 4-byte Folded Reload
	buffer_load_dword v28, off, s[0:3], s33 offset:168 ; 4-byte Folded Reload
	;; [unrolled: 1-line block ×5, first 2 shown]
	s_waitcnt vmcnt(1)
	v_lshlrev_b32_e32 v20, 16, v30
	v_and_b32_e32 v19, 0xffff0000, v19
	v_add_f32_e32 v20, v20, v19
	v_and_b32_e32 v19, 0x7f800000, v20
	v_cmp_ne_u32_e32 vcc, s97, v19
                                        ; implicit-def: $vgpr19
	s_and_saveexec_b64 s[92:93], vcc
	s_xor_b64 s[92:93], exec, s[92:93]
; %bb.1697:                             ;   in Loop: Header=BB12_1455 Depth=4
	v_bfe_u32 v19, v20, 16, 1
	v_add3_u32 v19, v20, v19, s46
                                        ; implicit-def: $vgpr20
; %bb.1698:                             ;   in Loop: Header=BB12_1455 Depth=4
	s_andn2_saveexec_b64 s[92:93], s[92:93]
	s_cbranch_execz .LBB12_1700
; %bb.1699:                             ;   in Loop: Header=BB12_1455 Depth=4
	buffer_load_dword v28, off, s[0:3], s33 offset:128 ; 4-byte Folded Reload
	buffer_load_dword v29, off, s[0:3], s33 offset:132 ; 4-byte Folded Reload
	v_or_b32_e32 v19, 0x10000, v20
	s_waitcnt vmcnt(1)
	v_cmp_eq_u32_sdwa vcc, v20, v28 src0_sel:WORD_0 src1_sel:DWORD
	v_cndmask_b32_e32 v19, v19, v20, vcc
.LBB12_1700:                            ;   in Loop: Header=BB12_1455 Depth=4
	s_or_b64 exec, exec, s[92:93]
	buffer_load_dword v28, off, s[0:3], s33 offset:168 ; 4-byte Folded Reload
	buffer_load_dword v29, off, s[0:3], s33 offset:172 ; 4-byte Folded Reload
	;; [unrolled: 1-line block ×5, first 2 shown]
	s_waitcnt vmcnt(2)
	v_and_b32_e32 v20, 0xffff0000, v30
	s_waitcnt vmcnt(0)
	v_and_b32_e32 v23, 0xffff0000, v23
	v_add_f32_e32 v23, v20, v23
	v_and_b32_e32 v20, 0x7f800000, v23
	v_cmp_ne_u32_e32 vcc, s97, v20
                                        ; implicit-def: $vgpr20
	s_and_saveexec_b64 s[92:93], vcc
	s_xor_b64 s[92:93], exec, s[92:93]
; %bb.1701:                             ;   in Loop: Header=BB12_1455 Depth=4
	v_bfe_u32 v20, v23, 16, 1
	v_add3_u32 v20, v23, v20, s46
                                        ; implicit-def: $vgpr23
; %bb.1702:                             ;   in Loop: Header=BB12_1455 Depth=4
	s_andn2_saveexec_b64 s[92:93], s[92:93]
	s_cbranch_execz .LBB12_1704
; %bb.1703:                             ;   in Loop: Header=BB12_1455 Depth=4
	buffer_load_dword v28, off, s[0:3], s33 offset:128 ; 4-byte Folded Reload
	buffer_load_dword v29, off, s[0:3], s33 offset:132 ; 4-byte Folded Reload
	v_or_b32_e32 v20, 0x10000, v23
	s_waitcnt vmcnt(1)
	v_cmp_eq_u32_sdwa vcc, v23, v28 src0_sel:WORD_0 src1_sel:DWORD
	v_cndmask_b32_e32 v20, v20, v23, vcc
.LBB12_1704:                            ;   in Loop: Header=BB12_1455 Depth=4
	s_or_b64 exec, exec, s[92:93]
	buffer_load_dword v23, off, s[0:3], s33 offset:324 ; 4-byte Folded Reload
	buffer_load_dword v28, off, s[0:3], s33 offset:168 ; 4-byte Folded Reload
	;; [unrolled: 1-line block ×5, first 2 shown]
	s_waitcnt vmcnt(4)
	v_and_b32_e32 v23, 0xffff0000, v23
	s_waitcnt vmcnt(0)
	v_lshlrev_b32_e32 v28, 16, v31
	v_add_f32_e32 v60, v28, v23
	v_and_b32_e32 v23, 0x7f800000, v60
	v_cmp_ne_u32_e32 vcc, s97, v23
                                        ; implicit-def: $vgpr23
	s_and_saveexec_b64 s[92:93], vcc
	s_xor_b64 s[92:93], exec, s[92:93]
; %bb.1705:                             ;   in Loop: Header=BB12_1455 Depth=4
	v_bfe_u32 v23, v60, 16, 1
	v_add3_u32 v23, v60, v23, s46
                                        ; implicit-def: $vgpr60
; %bb.1706:                             ;   in Loop: Header=BB12_1455 Depth=4
	s_andn2_saveexec_b64 s[92:93], s[92:93]
	s_cbranch_execz .LBB12_1708
; %bb.1707:                             ;   in Loop: Header=BB12_1455 Depth=4
	buffer_load_dword v28, off, s[0:3], s33 offset:128 ; 4-byte Folded Reload
	buffer_load_dword v29, off, s[0:3], s33 offset:132 ; 4-byte Folded Reload
	v_or_b32_e32 v23, 0x10000, v60
	s_waitcnt vmcnt(1)
	v_cmp_eq_u32_sdwa vcc, v60, v28 src0_sel:WORD_0 src1_sel:DWORD
	v_cndmask_b32_e32 v23, v23, v60, vcc
.LBB12_1708:                            ;   in Loop: Header=BB12_1455 Depth=4
	s_or_b64 exec, exec, s[92:93]
	buffer_load_dword v28, off, s[0:3], s33 offset:168 ; 4-byte Folded Reload
	buffer_load_dword v29, off, s[0:3], s33 offset:172 ; 4-byte Folded Reload
	;; [unrolled: 1-line block ×5, first 2 shown]
	s_waitcnt vmcnt(1)
	v_and_b32_e32 v28, 0xffff0000, v31
	s_waitcnt vmcnt(0)
	v_and_b32_e32 v60, 0xffff0000, v29
	v_add_f32_e32 v28, v28, v60
	v_and_b32_e32 v60, 0x7f800000, v28
	v_cmp_ne_u32_e32 vcc, s97, v60
                                        ; implicit-def: $vgpr60
	s_and_saveexec_b64 s[92:93], vcc
	s_xor_b64 s[92:93], exec, s[92:93]
; %bb.1709:                             ;   in Loop: Header=BB12_1455 Depth=4
	v_bfe_u32 v60, v28, 16, 1
	v_add3_u32 v60, v28, v60, s46
                                        ; implicit-def: $vgpr28
; %bb.1710:                             ;   in Loop: Header=BB12_1455 Depth=4
	s_andn2_saveexec_b64 s[92:93], s[92:93]
	s_cbranch_execz .LBB12_1712
; %bb.1711:                             ;   in Loop: Header=BB12_1455 Depth=4
	buffer_load_dword v29, off, s[0:3], s33 offset:128 ; 4-byte Folded Reload
	buffer_load_dword v30, off, s[0:3], s33 offset:132 ; 4-byte Folded Reload
	v_or_b32_e32 v60, 0x10000, v28
	s_waitcnt vmcnt(1)
	v_cmp_eq_u32_sdwa vcc, v28, v29 src0_sel:WORD_0 src1_sel:DWORD
	v_cndmask_b32_e32 v60, v60, v28, vcc
.LBB12_1712:                            ;   in Loop: Header=BB12_1455 Depth=4
	s_or_b64 exec, exec, s[92:93]
	v_lshrrev_b32_e32 v24, 16, v24
	v_lshrrev_b32_e32 v25, 16, v25
	v_and_or_b32 v51, v51, s47, v24
	buffer_load_dword v24, off, s[0:3], s33 offset:508 ; 4-byte Folded Reload
	v_and_or_b32 v50, v50, s47, v25
	buffer_load_dword v25, off, s[0:3], s33 offset:456 ; 4-byte Folded Reload
	v_lshrrev_b32_e32 v28, 16, v45
	v_and_or_b32 v49, v49, s47, v28
	v_lshrrev_b32_e32 v28, 16, v44
	v_and_or_b32 v48, v48, s47, v28
	v_lshrrev_b32_e32 v21, 16, v21
	s_waitcnt vmcnt(1)
	v_lshrrev_b32_e32 v24, 16, v24
	s_waitcnt vmcnt(0)
	v_and_or_b32 v45, v25, s47, v24
	buffer_load_dword v24, off, s[0:3], s33 offset:464 ; 4-byte Folded Reload
	buffer_load_dword v25, off, s[0:3], s33 offset:492 ; 4-byte Folded Reload
	s_waitcnt vmcnt(1)
	v_lshrrev_b32_e32 v24, 16, v24
	s_waitcnt vmcnt(0)
	v_and_or_b32 v44, v25, s47, v24
	buffer_load_dword v24, off, s[0:3], s33 offset:516 ; 4-byte Folded Reload
	buffer_load_dword v25, off, s[0:3], s33 offset:472 ; 4-byte Folded Reload
	s_waitcnt vmcnt(1)
	v_lshrrev_b32_e32 v24, 16, v24
	v_and_or_b32 v46, v46, s47, v24
	v_lshrrev_b32_e32 v24, 16, v26
	v_and_or_b32 v47, v47, s47, v24
	buffer_load_dword v24, off, s[0:3], s33 offset:468 ; 4-byte Folded Reload
	s_waitcnt vmcnt(0)
	v_lshrrev_b32_e32 v24, 16, v24
	v_and_or_b32 v29, v25, s47, v24
	buffer_load_dword v24, off, s[0:3], s33 offset:284 ; 4-byte Folded Reload
	buffer_load_dword v25, off, s[0:3], s33 offset:356 ; 4-byte Folded Reload
	s_waitcnt vmcnt(1)
	v_lshrrev_b32_e32 v24, 16, v24
	s_waitcnt vmcnt(0)
	v_and_or_b32 v28, v25, s47, v24
	buffer_load_dword v24, off, s[0:3], s33 offset:476 ; 4-byte Folded Reload
	buffer_load_dword v25, off, s[0:3], s33 offset:480 ; 4-byte Folded Reload
	s_waitcnt vmcnt(1)
	v_lshrrev_b32_e32 v24, 16, v24
	s_waitcnt vmcnt(0)
	;; [unrolled: 6-line block ×3, first 2 shown]
	v_and_or_b32 v31, v25, s47, v24
	v_and_or_b32 v25, v22, s47, v21
	v_lshrrev_b32_e32 v21, 16, v27
	v_and_or_b32 v24, v18, s47, v21
	v_lshrrev_b32_e32 v18, 16, v19
	;; [unrolled: 2-line block ×3, first 2 shown]
	v_and_or_b32 v27, v60, s47, v18
	global_store_dwordx4 v[0:1], v[28:31], off glc slc
	global_store_dwordx4 v[0:1], v[44:47], off offset:1024 glc slc
	global_store_dwordx4 v[0:1], v[48:51], off offset:2048 glc slc
	global_store_dwordx4 v[0:1], v[24:27], off offset:3072 glc slc
	buffer_load_dword v18, off, s[0:3], s33 offset:264 ; 4-byte Folded Reload
	s_waitcnt vmcnt(0)
	v_add_co_u32_e32 v0, vcc, v0, v18
	buffer_load_dword v18, off, s[0:3], s33 offset:268 ; 4-byte Folded Reload
	s_waitcnt vmcnt(0)
	v_addc_co_u32_e32 v1, vcc, v1, v18, vcc
.LBB12_1713:                            ;   in Loop: Header=BB12_1455 Depth=4
	s_or_b64 exec, exec, s[94:95]
	buffer_load_dword v18, off, s[0:3], s33 offset:264 ; 4-byte Folded Reload
	buffer_load_dword v19, off, s[0:3], s33 offset:268 ; 4-byte Folded Reload
	s_waitcnt vmcnt(1)
	v_add_co_u32_e32 v16, vcc, v16, v18
	s_waitcnt vmcnt(0)
	v_addc_co_u32_e32 v17, vcc, v17, v19, vcc
	v_add_co_u32_e32 v14, vcc, v14, v18
	v_addc_co_u32_e32 v15, vcc, v15, v19, vcc
	buffer_load_dword v18, off, s[0:3], s33 offset:152 ; 4-byte Folded Reload
	buffer_load_dword v19, off, s[0:3], s33 offset:240 ; 4-byte Folded Reload
	s_waitcnt vmcnt(0)
	v_sub_u32_e32 v19, v19, v18
	v_cmp_lt_i32_e64 s[92:93], 0, v19
	buffer_store_dword v19, off, s[0:3], s33 offset:240 ; 4-byte Folded Spill
	s_and_saveexec_b64 s[94:95], s[92:93]
	s_cbranch_execz .LBB12_1715
; %bb.1714:                             ;   in Loop: Header=BB12_1455 Depth=4
	global_load_dwordx4 v[28:31], v[16:17], off glc slc
	global_load_dwordx4 v[44:47], v[16:17], off offset:1024 glc slc
	global_load_dwordx4 v[48:51], v[16:17], off offset:2048 glc slc
	;; [unrolled: 1-line block ×3, first 2 shown]
	global_load_dwordx4 v[18:21], v[14:15], off glc slc
	v_add_co_u32_e32 v16, vcc, s81, v16
	v_addc_co_u32_e32 v17, vcc, 0, v17, vcc
	s_waitcnt vmcnt(0)
	buffer_store_dword v18, off, s[0:3], s33 offset:216 ; 4-byte Folded Spill
	s_nop 0
	buffer_store_dword v19, off, s[0:3], s33 offset:220 ; 4-byte Folded Spill
	buffer_store_dword v20, off, s[0:3], s33 offset:224 ; 4-byte Folded Spill
	buffer_store_dword v21, off, s[0:3], s33 offset:228 ; 4-byte Folded Spill
	global_load_dwordx4 v[18:21], v[14:15], off offset:1024 glc slc
	s_waitcnt vmcnt(0)
	buffer_store_dword v18, off, s[0:3], s33 offset:200 ; 4-byte Folded Spill
	s_nop 0
	buffer_store_dword v19, off, s[0:3], s33 offset:204 ; 4-byte Folded Spill
	buffer_store_dword v20, off, s[0:3], s33 offset:208 ; 4-byte Folded Spill
	buffer_store_dword v21, off, s[0:3], s33 offset:212 ; 4-byte Folded Spill
	global_load_dwordx4 v[18:21], v[14:15], off offset:2048 glc slc
	;; [unrolled: 7-line block ×3, first 2 shown]
	v_add_co_u32_e32 v14, vcc, 0x1000, v14
	v_addc_co_u32_e32 v15, vcc, 0, v15, vcc
	s_waitcnt vmcnt(0)
	buffer_store_dword v18, off, s[0:3], s33 offset:168 ; 4-byte Folded Spill
	s_nop 0
	buffer_store_dword v19, off, s[0:3], s33 offset:172 ; 4-byte Folded Spill
	buffer_store_dword v20, off, s[0:3], s33 offset:176 ; 4-byte Folded Spill
	buffer_store_dword v21, off, s[0:3], s33 offset:180 ; 4-byte Folded Spill
.LBB12_1715:                            ;   in Loop: Header=BB12_1455 Depth=4
	s_or_b64 exec, exec, s[94:95]
	v_lshlrev_b32_e32 v18, 16, v10
	v_mul_f32_e32 v19, v61, v18
	v_and_b32_e32 v18, 0x7f800000, v19
	v_cmp_ne_u32_e32 vcc, s97, v18
                                        ; implicit-def: $vgpr18
	s_and_saveexec_b64 s[94:95], vcc
	s_xor_b64 s[94:95], exec, s[94:95]
; %bb.1716:                             ;   in Loop: Header=BB12_1455 Depth=4
	v_bfe_u32 v18, v19, 16, 1
	v_add3_u32 v18, v19, v18, s46
                                        ; implicit-def: $vgpr19
; %bb.1717:                             ;   in Loop: Header=BB12_1455 Depth=4
	s_andn2_saveexec_b64 s[94:95], s[94:95]
	s_cbranch_execz .LBB12_1719
; %bb.1718:                             ;   in Loop: Header=BB12_1455 Depth=4
	buffer_load_dword v20, off, s[0:3], s33 offset:128 ; 4-byte Folded Reload
	buffer_load_dword v21, off, s[0:3], s33 offset:132 ; 4-byte Folded Reload
	v_or_b32_e32 v18, 0x10000, v19
	s_waitcnt vmcnt(1)
	v_cmp_eq_u32_sdwa vcc, v19, v20 src0_sel:WORD_0 src1_sel:DWORD
	v_cndmask_b32_e32 v18, v18, v19, vcc
.LBB12_1719:                            ;   in Loop: Header=BB12_1455 Depth=4
	s_or_b64 exec, exec, s[94:95]
	v_and_b32_e32 v10, 0xffff0000, v10
	v_mul_f32_e32 v10, v61, v10
	v_and_b32_e32 v19, 0x7f800000, v10
	v_cmp_ne_u32_e32 vcc, s97, v19
                                        ; implicit-def: $vgpr23
	s_and_saveexec_b64 s[94:95], vcc
	s_xor_b64 s[94:95], exec, s[94:95]
; %bb.1720:                             ;   in Loop: Header=BB12_1455 Depth=4
	v_bfe_u32 v19, v10, 16, 1
	v_add3_u32 v23, v10, v19, s46
                                        ; implicit-def: $vgpr10
; %bb.1721:                             ;   in Loop: Header=BB12_1455 Depth=4
	s_andn2_saveexec_b64 s[94:95], s[94:95]
	s_cbranch_execz .LBB12_1723
; %bb.1722:                             ;   in Loop: Header=BB12_1455 Depth=4
	buffer_load_dword v20, off, s[0:3], s33 offset:128 ; 4-byte Folded Reload
	buffer_load_dword v21, off, s[0:3], s33 offset:132 ; 4-byte Folded Reload
	v_or_b32_e32 v19, 0x10000, v10
	s_waitcnt vmcnt(1)
	v_cmp_eq_u32_sdwa vcc, v10, v20 src0_sel:WORD_0 src1_sel:DWORD
	v_cndmask_b32_e32 v23, v19, v10, vcc
.LBB12_1723:                            ;   in Loop: Header=BB12_1455 Depth=4
	s_or_b64 exec, exec, s[94:95]
	v_lshlrev_b32_e32 v10, 16, v11
	v_mul_f32_e32 v10, v61, v10
	v_and_b32_e32 v19, 0x7f800000, v10
	v_cmp_ne_u32_e32 vcc, s97, v19
                                        ; implicit-def: $vgpr60
	s_and_saveexec_b64 s[94:95], vcc
	s_xor_b64 s[94:95], exec, s[94:95]
; %bb.1724:                             ;   in Loop: Header=BB12_1455 Depth=4
	v_bfe_u32 v19, v10, 16, 1
	v_add3_u32 v60, v10, v19, s46
                                        ; implicit-def: $vgpr10
; %bb.1725:                             ;   in Loop: Header=BB12_1455 Depth=4
	s_andn2_saveexec_b64 s[94:95], s[94:95]
	s_cbranch_execz .LBB12_1727
; %bb.1726:                             ;   in Loop: Header=BB12_1455 Depth=4
	buffer_load_dword v20, off, s[0:3], s33 offset:128 ; 4-byte Folded Reload
	buffer_load_dword v21, off, s[0:3], s33 offset:132 ; 4-byte Folded Reload
	v_or_b32_e32 v19, 0x10000, v10
	s_waitcnt vmcnt(1)
	v_cmp_eq_u32_sdwa vcc, v10, v20 src0_sel:WORD_0 src1_sel:DWORD
	v_cndmask_b32_e32 v60, v19, v10, vcc
.LBB12_1727:                            ;   in Loop: Header=BB12_1455 Depth=4
	s_or_b64 exec, exec, s[94:95]
	v_and_b32_e32 v10, 0xffff0000, v11
	v_mul_f32_e32 v10, v61, v10
	v_and_b32_e32 v11, 0x7f800000, v10
	v_cmp_ne_u32_e32 vcc, s97, v11
                                        ; implicit-def: $vgpr21
	s_and_saveexec_b64 s[94:95], vcc
	s_xor_b64 s[94:95], exec, s[94:95]
	s_cbranch_execz .LBB12_1729
; %bb.1728:                             ;   in Loop: Header=BB12_1455 Depth=4
	v_bfe_u32 v11, v10, 16, 1
	s_waitcnt vmcnt(0)
	v_add3_u32 v21, v10, v11, s46
                                        ; implicit-def: $vgpr10
.LBB12_1729:                            ;   in Loop: Header=BB12_1455 Depth=4
	s_andn2_saveexec_b64 s[94:95], s[94:95]
	s_cbranch_execz .LBB12_1731
; %bb.1730:                             ;   in Loop: Header=BB12_1455 Depth=4
	buffer_load_dword v19, off, s[0:3], s33 offset:128 ; 4-byte Folded Reload
	buffer_load_dword v20, off, s[0:3], s33 offset:132 ; 4-byte Folded Reload
	v_or_b32_e32 v11, 0x10000, v10
	s_waitcnt vmcnt(1)
	v_cmp_eq_u32_sdwa vcc, v10, v19 src0_sel:WORD_0 src1_sel:DWORD
	v_cndmask_b32_e32 v21, v11, v10, vcc
.LBB12_1731:                            ;   in Loop: Header=BB12_1455 Depth=4
	s_or_b64 exec, exec, s[94:95]
	v_lshlrev_b32_e32 v10, 16, v12
	v_mul_f32_e32 v10, v61, v10
	v_and_b32_e32 v11, 0x7f800000, v10
	v_cmp_ne_u32_e32 vcc, s97, v11
                                        ; implicit-def: $vgpr22
	s_and_saveexec_b64 s[94:95], vcc
	s_xor_b64 s[94:95], exec, s[94:95]
; %bb.1732:                             ;   in Loop: Header=BB12_1455 Depth=4
	v_bfe_u32 v11, v10, 16, 1
	v_add3_u32 v22, v10, v11, s46
                                        ; implicit-def: $vgpr10
; %bb.1733:                             ;   in Loop: Header=BB12_1455 Depth=4
	s_andn2_saveexec_b64 s[94:95], s[94:95]
	s_cbranch_execz .LBB12_1735
; %bb.1734:                             ;   in Loop: Header=BB12_1455 Depth=4
	buffer_load_dword v19, off, s[0:3], s33 offset:128 ; 4-byte Folded Reload
	buffer_load_dword v20, off, s[0:3], s33 offset:132 ; 4-byte Folded Reload
	v_or_b32_e32 v11, 0x10000, v10
	s_waitcnt vmcnt(1)
	v_cmp_eq_u32_sdwa vcc, v10, v19 src0_sel:WORD_0 src1_sel:DWORD
	v_cndmask_b32_e32 v22, v11, v10, vcc
.LBB12_1735:                            ;   in Loop: Header=BB12_1455 Depth=4
	s_or_b64 exec, exec, s[94:95]
	v_and_b32_e32 v10, 0xffff0000, v12
	v_mul_f32_e32 v10, v61, v10
	v_and_b32_e32 v11, 0x7f800000, v10
	v_cmp_ne_u32_e32 vcc, s97, v11
                                        ; implicit-def: $vgpr19
	s_and_saveexec_b64 s[94:95], vcc
	s_xor_b64 s[94:95], exec, s[94:95]
; %bb.1736:                             ;   in Loop: Header=BB12_1455 Depth=4
	v_bfe_u32 v11, v10, 16, 1
	v_add3_u32 v19, v10, v11, s46
                                        ; implicit-def: $vgpr10
; %bb.1737:                             ;   in Loop: Header=BB12_1455 Depth=4
	s_andn2_saveexec_b64 s[94:95], s[94:95]
	s_cbranch_execz .LBB12_1739
; %bb.1738:                             ;   in Loop: Header=BB12_1455 Depth=4
	buffer_load_dword v19, off, s[0:3], s33 offset:128 ; 4-byte Folded Reload
	buffer_load_dword v20, off, s[0:3], s33 offset:132 ; 4-byte Folded Reload
	v_or_b32_e32 v11, 0x10000, v10
	s_waitcnt vmcnt(1)
	v_cmp_eq_u32_sdwa vcc, v10, v19 src0_sel:WORD_0 src1_sel:DWORD
	v_cndmask_b32_e32 v19, v11, v10, vcc
.LBB12_1739:                            ;   in Loop: Header=BB12_1455 Depth=4
	s_or_b64 exec, exec, s[94:95]
	v_lshlrev_b32_e32 v10, 16, v13
	v_mul_f32_e32 v10, v61, v10
	v_and_b32_e32 v11, 0x7f800000, v10
	v_cmp_ne_u32_e32 vcc, s97, v11
                                        ; implicit-def: $vgpr20
	s_and_saveexec_b64 s[94:95], vcc
	s_xor_b64 s[94:95], exec, s[94:95]
	s_cbranch_execz .LBB12_1741
; %bb.1740:                             ;   in Loop: Header=BB12_1455 Depth=4
	v_bfe_u32 v11, v10, 16, 1
	s_waitcnt vmcnt(0)
	v_add3_u32 v20, v10, v11, s46
                                        ; implicit-def: $vgpr10
.LBB12_1741:                            ;   in Loop: Header=BB12_1455 Depth=4
	s_andn2_saveexec_b64 s[94:95], s[94:95]
	s_cbranch_execz .LBB12_1743
; %bb.1742:                             ;   in Loop: Header=BB12_1455 Depth=4
	v_mov_b32_e32 v12, v19
	buffer_load_dword v19, off, s[0:3], s33 offset:128 ; 4-byte Folded Reload
	buffer_load_dword v20, off, s[0:3], s33 offset:132 ; 4-byte Folded Reload
	v_or_b32_e32 v11, 0x10000, v10
	s_waitcnt vmcnt(1)
	v_cmp_eq_u32_sdwa vcc, v10, v19 src0_sel:WORD_0 src1_sel:DWORD
	v_mov_b32_e32 v19, v12
	s_waitcnt vmcnt(0)
	v_cndmask_b32_e32 v20, v11, v10, vcc
.LBB12_1743:                            ;   in Loop: Header=BB12_1455 Depth=4
	s_or_b64 exec, exec, s[94:95]
	v_and_b32_e32 v10, 0xffff0000, v13
	v_mul_f32_e32 v10, v61, v10
	v_and_b32_e32 v11, 0x7f800000, v10
	v_cmp_ne_u32_e32 vcc, s97, v11
                                        ; implicit-def: $vgpr11
                                        ; kill: killed $vgpr11
	s_and_saveexec_b64 s[94:95], vcc
	s_xor_b64 s[94:95], exec, s[94:95]
	s_cbranch_execz .LBB12_1745
; %bb.1744:                             ;   in Loop: Header=BB12_1455 Depth=4
	v_bfe_u32 v11, v10, 16, 1
	v_add3_u32 v10, v10, v11, s46
	buffer_store_dword v10, off, s[0:3], s33 offset:376 ; 4-byte Folded Spill
                                        ; implicit-def: $vgpr10
.LBB12_1745:                            ;   in Loop: Header=BB12_1455 Depth=4
	s_andn2_saveexec_b64 s[94:95], s[94:95]
	s_cbranch_execz .LBB12_1747
; %bb.1746:                             ;   in Loop: Header=BB12_1455 Depth=4
	buffer_load_dword v12, off, s[0:3], s33 offset:128 ; 4-byte Folded Reload
	buffer_load_dword v13, off, s[0:3], s33 offset:132 ; 4-byte Folded Reload
	v_or_b32_e32 v11, 0x10000, v10
	s_waitcnt vmcnt(1)
	v_cmp_eq_u32_sdwa vcc, v10, v12 src0_sel:WORD_0 src1_sel:DWORD
	v_cndmask_b32_e32 v10, v11, v10, vcc
	buffer_store_dword v10, off, s[0:3], s33 offset:376 ; 4-byte Folded Spill
.LBB12_1747:                            ;   in Loop: Header=BB12_1455 Depth=4
	s_or_b64 exec, exec, s[94:95]
	v_lshlrev_b32_e32 v10, 16, v6
	v_mul_f32_e32 v11, v61, v10
	v_and_b32_e32 v10, 0x7f800000, v11
	v_cmp_ne_u32_e32 vcc, s97, v10
                                        ; implicit-def: $vgpr10
                                        ; kill: killed $vgpr10
	s_and_saveexec_b64 s[94:95], vcc
	s_xor_b64 s[94:95], exec, s[94:95]
	s_cbranch_execz .LBB12_1749
; %bb.1748:                             ;   in Loop: Header=BB12_1455 Depth=4
	v_bfe_u32 v10, v11, 16, 1
	v_add3_u32 v10, v11, v10, s46
	buffer_store_dword v10, off, s[0:3], s33 offset:380 ; 4-byte Folded Spill
                                        ; implicit-def: $vgpr11
.LBB12_1749:                            ;   in Loop: Header=BB12_1455 Depth=4
	s_andn2_saveexec_b64 s[94:95], s[94:95]
	s_cbranch_execz .LBB12_1751
; %bb.1750:                             ;   in Loop: Header=BB12_1455 Depth=4
	buffer_load_dword v12, off, s[0:3], s33 offset:128 ; 4-byte Folded Reload
	buffer_load_dword v13, off, s[0:3], s33 offset:132 ; 4-byte Folded Reload
	v_or_b32_e32 v10, 0x10000, v11
	s_waitcnt vmcnt(1)
	v_cmp_eq_u32_sdwa vcc, v11, v12 src0_sel:WORD_0 src1_sel:DWORD
	v_cndmask_b32_e32 v10, v10, v11, vcc
	buffer_store_dword v10, off, s[0:3], s33 offset:380 ; 4-byte Folded Spill
.LBB12_1751:                            ;   in Loop: Header=BB12_1455 Depth=4
	s_or_b64 exec, exec, s[94:95]
	v_and_b32_e32 v6, 0xffff0000, v6
	v_mul_f32_e32 v6, v61, v6
	v_and_b32_e32 v11, 0x7f800000, v6
	v_cmp_ne_u32_e32 vcc, s97, v11
                                        ; implicit-def: $vgpr10
                                        ; kill: killed $vgpr10
	s_and_saveexec_b64 s[94:95], vcc
	s_xor_b64 s[94:95], exec, s[94:95]
	s_cbranch_execz .LBB12_1753
; %bb.1752:                             ;   in Loop: Header=BB12_1455 Depth=4
	v_bfe_u32 v11, v6, 16, 1
	v_add3_u32 v6, v6, v11, s46
	buffer_store_dword v6, off, s[0:3], s33 offset:372 ; 4-byte Folded Spill
                                        ; implicit-def: $vgpr6
.LBB12_1753:                            ;   in Loop: Header=BB12_1455 Depth=4
	s_andn2_saveexec_b64 s[94:95], s[94:95]
	s_cbranch_execz .LBB12_1755
; %bb.1754:                             ;   in Loop: Header=BB12_1455 Depth=4
	buffer_load_dword v12, off, s[0:3], s33 offset:128 ; 4-byte Folded Reload
	buffer_load_dword v13, off, s[0:3], s33 offset:132 ; 4-byte Folded Reload
	v_or_b32_e32 v11, 0x10000, v6
	s_waitcnt vmcnt(1)
	v_cmp_eq_u32_sdwa vcc, v6, v12 src0_sel:WORD_0 src1_sel:DWORD
	v_cndmask_b32_e32 v6, v11, v6, vcc
	buffer_store_dword v6, off, s[0:3], s33 offset:372 ; 4-byte Folded Spill
.LBB12_1755:                            ;   in Loop: Header=BB12_1455 Depth=4
	s_or_b64 exec, exec, s[94:95]
	v_lshlrev_b32_e32 v6, 16, v7
	v_mul_f32_e32 v6, v61, v6
	v_and_b32_e32 v12, 0x7f800000, v6
	v_cmp_ne_u32_e32 vcc, s97, v12
                                        ; implicit-def: $vgpr12
	s_and_saveexec_b64 s[94:95], vcc
	s_xor_b64 s[94:95], exec, s[94:95]
; %bb.1756:                             ;   in Loop: Header=BB12_1455 Depth=4
	v_bfe_u32 v12, v6, 16, 1
	v_add3_u32 v12, v6, v12, s46
                                        ; implicit-def: $vgpr6
; %bb.1757:                             ;   in Loop: Header=BB12_1455 Depth=4
	s_andn2_saveexec_b64 s[94:95], s[94:95]
	s_cbranch_execz .LBB12_1759
; %bb.1758:                             ;   in Loop: Header=BB12_1455 Depth=4
	buffer_load_dword v10, off, s[0:3], s33 offset:128 ; 4-byte Folded Reload
	buffer_load_dword v11, off, s[0:3], s33 offset:132 ; 4-byte Folded Reload
	v_or_b32_e32 v12, 0x10000, v6
	s_waitcnt vmcnt(1)
	v_cmp_eq_u32_sdwa vcc, v6, v10 src0_sel:WORD_0 src1_sel:DWORD
	v_cndmask_b32_e32 v12, v12, v6, vcc
.LBB12_1759:                            ;   in Loop: Header=BB12_1455 Depth=4
	s_or_b64 exec, exec, s[94:95]
	v_and_b32_e32 v6, 0xffff0000, v7
	v_mul_f32_e32 v6, v61, v6
	v_and_b32_e32 v7, 0x7f800000, v6
	v_cmp_ne_u32_e32 vcc, s97, v7
                                        ; implicit-def: $vgpr7
                                        ; kill: killed $vgpr7
	s_and_saveexec_b64 s[94:95], vcc
	s_xor_b64 s[94:95], exec, s[94:95]
	s_cbranch_execz .LBB12_1761
; %bb.1760:                             ;   in Loop: Header=BB12_1455 Depth=4
	v_bfe_u32 v7, v6, 16, 1
	v_add3_u32 v6, v6, v7, s46
	buffer_store_dword v6, off, s[0:3], s33 offset:364 ; 4-byte Folded Spill
                                        ; implicit-def: $vgpr6
.LBB12_1761:                            ;   in Loop: Header=BB12_1455 Depth=4
	s_andn2_saveexec_b64 s[94:95], s[94:95]
	s_cbranch_execz .LBB12_1763
; %bb.1762:                             ;   in Loop: Header=BB12_1455 Depth=4
	buffer_load_dword v10, off, s[0:3], s33 offset:128 ; 4-byte Folded Reload
	buffer_load_dword v11, off, s[0:3], s33 offset:132 ; 4-byte Folded Reload
	v_or_b32_e32 v7, 0x10000, v6
	s_waitcnt vmcnt(1)
	v_cmp_eq_u32_sdwa vcc, v6, v10 src0_sel:WORD_0 src1_sel:DWORD
	v_cndmask_b32_e32 v6, v7, v6, vcc
	buffer_store_dword v6, off, s[0:3], s33 offset:364 ; 4-byte Folded Spill
.LBB12_1763:                            ;   in Loop: Header=BB12_1455 Depth=4
	s_or_b64 exec, exec, s[94:95]
	v_lshlrev_b32_e32 v6, 16, v8
	v_mul_f32_e32 v6, v61, v6
	v_and_b32_e32 v7, 0x7f800000, v6
	v_cmp_ne_u32_e32 vcc, s97, v7
                                        ; implicit-def: $vgpr7
                                        ; kill: killed $vgpr7
	s_and_saveexec_b64 s[94:95], vcc
	s_xor_b64 s[94:95], exec, s[94:95]
	s_cbranch_execz .LBB12_1765
; %bb.1764:                             ;   in Loop: Header=BB12_1455 Depth=4
	v_bfe_u32 v7, v6, 16, 1
	v_add3_u32 v6, v6, v7, s46
	buffer_store_dword v6, off, s[0:3], s33 offset:368 ; 4-byte Folded Spill
                                        ; implicit-def: $vgpr6
.LBB12_1765:                            ;   in Loop: Header=BB12_1455 Depth=4
	s_andn2_saveexec_b64 s[94:95], s[94:95]
	s_cbranch_execz .LBB12_1767
; %bb.1766:                             ;   in Loop: Header=BB12_1455 Depth=4
	buffer_load_dword v10, off, s[0:3], s33 offset:128 ; 4-byte Folded Reload
	buffer_load_dword v11, off, s[0:3], s33 offset:132 ; 4-byte Folded Reload
	v_or_b32_e32 v7, 0x10000, v6
	s_waitcnt vmcnt(1)
	v_cmp_eq_u32_sdwa vcc, v6, v10 src0_sel:WORD_0 src1_sel:DWORD
	v_cndmask_b32_e32 v6, v7, v6, vcc
	buffer_store_dword v6, off, s[0:3], s33 offset:368 ; 4-byte Folded Spill
.LBB12_1767:                            ;   in Loop: Header=BB12_1455 Depth=4
	s_or_b64 exec, exec, s[94:95]
	v_and_b32_e32 v6, 0xffff0000, v8
	v_mul_f32_e32 v6, v61, v6
	v_and_b32_e32 v7, 0x7f800000, v6
	v_cmp_ne_u32_e32 vcc, s97, v7
                                        ; implicit-def: $vgpr8
	s_and_saveexec_b64 s[94:95], vcc
	s_xor_b64 s[94:95], exec, s[94:95]
; %bb.1768:                             ;   in Loop: Header=BB12_1455 Depth=4
	v_bfe_u32 v7, v6, 16, 1
	v_add3_u32 v8, v6, v7, s46
                                        ; implicit-def: $vgpr6
; %bb.1769:                             ;   in Loop: Header=BB12_1455 Depth=4
	s_andn2_saveexec_b64 s[94:95], s[94:95]
	s_cbranch_execz .LBB12_1771
; %bb.1770:                             ;   in Loop: Header=BB12_1455 Depth=4
	buffer_load_dword v10, off, s[0:3], s33 offset:128 ; 4-byte Folded Reload
	buffer_load_dword v11, off, s[0:3], s33 offset:132 ; 4-byte Folded Reload
	v_or_b32_e32 v7, 0x10000, v6
	s_waitcnt vmcnt(1)
	v_cmp_eq_u32_sdwa vcc, v6, v10 src0_sel:WORD_0 src1_sel:DWORD
	v_cndmask_b32_e32 v8, v7, v6, vcc
.LBB12_1771:                            ;   in Loop: Header=BB12_1455 Depth=4
	s_or_b64 exec, exec, s[94:95]
	v_lshlrev_b32_e32 v6, 16, v9
	v_mul_f32_e32 v6, v61, v6
	v_and_b32_e32 v7, 0x7f800000, v6
	v_cmp_ne_u32_e32 vcc, s97, v7
                                        ; implicit-def: $vgpr7
                                        ; kill: killed $vgpr7
	s_and_saveexec_b64 s[94:95], vcc
	s_xor_b64 s[94:95], exec, s[94:95]
	s_cbranch_execz .LBB12_1773
; %bb.1772:                             ;   in Loop: Header=BB12_1455 Depth=4
	v_bfe_u32 v7, v6, 16, 1
	v_add3_u32 v6, v6, v7, s46
	buffer_store_dword v6, off, s[0:3], s33 offset:360 ; 4-byte Folded Spill
                                        ; implicit-def: $vgpr6
.LBB12_1773:                            ;   in Loop: Header=BB12_1455 Depth=4
	s_andn2_saveexec_b64 s[94:95], s[94:95]
	s_cbranch_execz .LBB12_1775
; %bb.1774:                             ;   in Loop: Header=BB12_1455 Depth=4
	buffer_load_dword v10, off, s[0:3], s33 offset:128 ; 4-byte Folded Reload
	buffer_load_dword v11, off, s[0:3], s33 offset:132 ; 4-byte Folded Reload
	v_or_b32_e32 v7, 0x10000, v6
	s_waitcnt vmcnt(1)
	v_cmp_eq_u32_sdwa vcc, v6, v10 src0_sel:WORD_0 src1_sel:DWORD
	v_cndmask_b32_e32 v6, v7, v6, vcc
	buffer_store_dword v6, off, s[0:3], s33 offset:360 ; 4-byte Folded Spill
.LBB12_1775:                            ;   in Loop: Header=BB12_1455 Depth=4
	s_or_b64 exec, exec, s[94:95]
	v_and_b32_e32 v6, 0xffff0000, v9
	v_mul_f32_e32 v6, v61, v6
	v_and_b32_e32 v7, 0x7f800000, v6
	v_cmp_ne_u32_e32 vcc, s97, v7
                                        ; implicit-def: $vgpr9
	s_and_saveexec_b64 s[94:95], vcc
	s_xor_b64 s[94:95], exec, s[94:95]
; %bb.1776:                             ;   in Loop: Header=BB12_1455 Depth=4
	v_bfe_u32 v7, v6, 16, 1
	v_add3_u32 v9, v6, v7, s46
                                        ; implicit-def: $vgpr6
; %bb.1777:                             ;   in Loop: Header=BB12_1455 Depth=4
	s_andn2_saveexec_b64 s[94:95], s[94:95]
	s_cbranch_execz .LBB12_1779
; %bb.1778:                             ;   in Loop: Header=BB12_1455 Depth=4
	buffer_load_dword v9, off, s[0:3], s33 offset:128 ; 4-byte Folded Reload
	buffer_load_dword v10, off, s[0:3], s33 offset:132 ; 4-byte Folded Reload
	v_or_b32_e32 v7, 0x10000, v6
	s_waitcnt vmcnt(1)
	v_cmp_eq_u32_sdwa vcc, v6, v9 src0_sel:WORD_0 src1_sel:DWORD
	v_cndmask_b32_e32 v9, v7, v6, vcc
.LBB12_1779:                            ;   in Loop: Header=BB12_1455 Depth=4
	s_or_b64 exec, exec, s[94:95]
	v_lshlrev_b32_e32 v6, 16, v2
	v_mul_f32_e32 v6, v61, v6
	v_and_b32_e32 v7, 0x7f800000, v6
	v_cmp_ne_u32_e32 vcc, s97, v7
                                        ; implicit-def: $vgpr7
                                        ; kill: killed $vgpr7
	s_and_saveexec_b64 s[94:95], vcc
	s_xor_b64 s[94:95], exec, s[94:95]
	s_cbranch_execz .LBB12_1781
; %bb.1780:                             ;   in Loop: Header=BB12_1455 Depth=4
	v_bfe_u32 v7, v6, 16, 1
	v_add3_u32 v6, v6, v7, s46
	buffer_store_dword v6, off, s[0:3], s33 offset:356 ; 4-byte Folded Spill
                                        ; implicit-def: $vgpr6
.LBB12_1781:                            ;   in Loop: Header=BB12_1455 Depth=4
	s_andn2_saveexec_b64 s[94:95], s[94:95]
	s_cbranch_execz .LBB12_1783
; %bb.1782:                             ;   in Loop: Header=BB12_1455 Depth=4
	buffer_load_dword v10, off, s[0:3], s33 offset:128 ; 4-byte Folded Reload
	buffer_load_dword v11, off, s[0:3], s33 offset:132 ; 4-byte Folded Reload
	v_or_b32_e32 v7, 0x10000, v6
	s_waitcnt vmcnt(1)
	v_cmp_eq_u32_sdwa vcc, v6, v10 src0_sel:WORD_0 src1_sel:DWORD
	v_cndmask_b32_e32 v6, v7, v6, vcc
	buffer_store_dword v6, off, s[0:3], s33 offset:356 ; 4-byte Folded Spill
.LBB12_1783:                            ;   in Loop: Header=BB12_1455 Depth=4
	s_or_b64 exec, exec, s[94:95]
	v_and_b32_e32 v2, 0xffff0000, v2
	v_mul_f32_e32 v2, v61, v2
	v_and_b32_e32 v6, 0x7f800000, v2
	v_cmp_ne_u32_e32 vcc, s97, v6
                                        ; implicit-def: $vgpr6
                                        ; kill: killed $vgpr6
	s_and_saveexec_b64 s[94:95], vcc
	s_xor_b64 s[94:95], exec, s[94:95]
	s_cbranch_execz .LBB12_1785
; %bb.1784:                             ;   in Loop: Header=BB12_1455 Depth=4
	v_bfe_u32 v6, v2, 16, 1
	v_add3_u32 v2, v2, v6, s46
	buffer_store_dword v2, off, s[0:3], s33 offset:352 ; 4-byte Folded Spill
                                        ; implicit-def: $vgpr2
.LBB12_1785:                            ;   in Loop: Header=BB12_1455 Depth=4
	s_andn2_saveexec_b64 s[94:95], s[94:95]
	s_cbranch_execz .LBB12_1787
; %bb.1786:                             ;   in Loop: Header=BB12_1455 Depth=4
	buffer_load_dword v10, off, s[0:3], s33 offset:128 ; 4-byte Folded Reload
	buffer_load_dword v11, off, s[0:3], s33 offset:132 ; 4-byte Folded Reload
	v_or_b32_e32 v6, 0x10000, v2
	s_waitcnt vmcnt(1)
	v_cmp_eq_u32_sdwa vcc, v2, v10 src0_sel:WORD_0 src1_sel:DWORD
	v_cndmask_b32_e32 v2, v6, v2, vcc
	buffer_store_dword v2, off, s[0:3], s33 offset:352 ; 4-byte Folded Spill
.LBB12_1787:                            ;   in Loop: Header=BB12_1455 Depth=4
	s_or_b64 exec, exec, s[94:95]
	v_lshlrev_b32_e32 v2, 16, v3
	v_mul_f32_e32 v6, v61, v2
	v_and_b32_e32 v2, 0x7f800000, v6
	v_cmp_ne_u32_e32 vcc, s97, v2
                                        ; implicit-def: $vgpr2
	s_and_saveexec_b64 s[94:95], vcc
	s_xor_b64 s[94:95], exec, s[94:95]
; %bb.1788:                             ;   in Loop: Header=BB12_1455 Depth=4
	v_bfe_u32 v2, v6, 16, 1
	v_add3_u32 v2, v6, v2, s46
                                        ; implicit-def: $vgpr6
; %bb.1789:                             ;   in Loop: Header=BB12_1455 Depth=4
	s_andn2_saveexec_b64 s[94:95], s[94:95]
	s_cbranch_execz .LBB12_1791
; %bb.1790:                             ;   in Loop: Header=BB12_1455 Depth=4
	buffer_load_dword v10, off, s[0:3], s33 offset:128 ; 4-byte Folded Reload
	buffer_load_dword v11, off, s[0:3], s33 offset:132 ; 4-byte Folded Reload
	v_or_b32_e32 v2, 0x10000, v6
	s_waitcnt vmcnt(1)
	v_cmp_eq_u32_sdwa vcc, v6, v10 src0_sel:WORD_0 src1_sel:DWORD
	v_cndmask_b32_e32 v2, v2, v6, vcc
.LBB12_1791:                            ;   in Loop: Header=BB12_1455 Depth=4
	s_or_b64 exec, exec, s[94:95]
	v_and_b32_e32 v3, 0xffff0000, v3
	v_mul_f32_e32 v3, v61, v3
	v_and_b32_e32 v6, 0x7f800000, v3
	v_cmp_ne_u32_e32 vcc, s97, v6
                                        ; implicit-def: $vgpr6
                                        ; kill: killed $vgpr6
	s_and_saveexec_b64 s[94:95], vcc
	s_xor_b64 s[94:95], exec, s[94:95]
	s_cbranch_execz .LBB12_1793
; %bb.1792:                             ;   in Loop: Header=BB12_1455 Depth=4
	v_bfe_u32 v6, v3, 16, 1
	v_add3_u32 v3, v3, v6, s46
	buffer_store_dword v3, off, s[0:3], s33 offset:344 ; 4-byte Folded Spill
                                        ; implicit-def: $vgpr3
.LBB12_1793:                            ;   in Loop: Header=BB12_1455 Depth=4
	s_andn2_saveexec_b64 s[94:95], s[94:95]
	s_cbranch_execz .LBB12_1795
; %bb.1794:                             ;   in Loop: Header=BB12_1455 Depth=4
	buffer_load_dword v10, off, s[0:3], s33 offset:128 ; 4-byte Folded Reload
	buffer_load_dword v11, off, s[0:3], s33 offset:132 ; 4-byte Folded Reload
	v_or_b32_e32 v6, 0x10000, v3
	s_waitcnt vmcnt(1)
	v_cmp_eq_u32_sdwa vcc, v3, v10 src0_sel:WORD_0 src1_sel:DWORD
	v_cndmask_b32_e32 v3, v6, v3, vcc
	buffer_store_dword v3, off, s[0:3], s33 offset:344 ; 4-byte Folded Spill
.LBB12_1795:                            ;   in Loop: Header=BB12_1455 Depth=4
	s_or_b64 exec, exec, s[94:95]
	v_lshlrev_b32_e32 v3, 16, v4
	v_mul_f32_e32 v6, v61, v3
	v_and_b32_e32 v3, 0x7f800000, v6
	v_cmp_ne_u32_e32 vcc, s97, v3
                                        ; implicit-def: $vgpr3
	s_and_saveexec_b64 s[94:95], vcc
	s_xor_b64 s[94:95], exec, s[94:95]
; %bb.1796:                             ;   in Loop: Header=BB12_1455 Depth=4
	v_bfe_u32 v3, v6, 16, 1
	v_add3_u32 v3, v6, v3, s46
                                        ; implicit-def: $vgpr6
; %bb.1797:                             ;   in Loop: Header=BB12_1455 Depth=4
	s_andn2_saveexec_b64 s[94:95], s[94:95]
	s_cbranch_execz .LBB12_1799
; %bb.1798:                             ;   in Loop: Header=BB12_1455 Depth=4
	buffer_load_dword v10, off, s[0:3], s33 offset:128 ; 4-byte Folded Reload
	buffer_load_dword v11, off, s[0:3], s33 offset:132 ; 4-byte Folded Reload
	v_or_b32_e32 v3, 0x10000, v6
	s_waitcnt vmcnt(1)
	v_cmp_eq_u32_sdwa vcc, v6, v10 src0_sel:WORD_0 src1_sel:DWORD
	v_cndmask_b32_e32 v3, v3, v6, vcc
.LBB12_1799:                            ;   in Loop: Header=BB12_1455 Depth=4
	s_or_b64 exec, exec, s[94:95]
	v_and_b32_e32 v4, 0xffff0000, v4
	v_mul_f32_e32 v6, v61, v4
	v_and_b32_e32 v4, 0x7f800000, v6
	v_cmp_ne_u32_e32 vcc, s97, v4
                                        ; implicit-def: $vgpr4
	s_and_saveexec_b64 s[94:95], vcc
	s_xor_b64 s[94:95], exec, s[94:95]
; %bb.1800:                             ;   in Loop: Header=BB12_1455 Depth=4
	v_bfe_u32 v4, v6, 16, 1
	v_add3_u32 v4, v6, v4, s46
                                        ; implicit-def: $vgpr6
; %bb.1801:                             ;   in Loop: Header=BB12_1455 Depth=4
	s_andn2_saveexec_b64 s[94:95], s[94:95]
	s_cbranch_execz .LBB12_1803
; %bb.1802:                             ;   in Loop: Header=BB12_1455 Depth=4
	buffer_load_dword v10, off, s[0:3], s33 offset:128 ; 4-byte Folded Reload
	buffer_load_dword v11, off, s[0:3], s33 offset:132 ; 4-byte Folded Reload
	v_or_b32_e32 v4, 0x10000, v6
	s_waitcnt vmcnt(1)
	v_cmp_eq_u32_sdwa vcc, v6, v10 src0_sel:WORD_0 src1_sel:DWORD
	v_cndmask_b32_e32 v4, v4, v6, vcc
.LBB12_1803:                            ;   in Loop: Header=BB12_1455 Depth=4
	s_or_b64 exec, exec, s[94:95]
	v_lshlrev_b32_e32 v6, 16, v5
	v_mul_f32_e32 v6, v61, v6
	v_and_b32_e32 v7, 0x7f800000, v6
	v_cmp_ne_u32_e32 vcc, s97, v7
                                        ; implicit-def: $vgpr7
                                        ; kill: killed $vgpr7
	s_and_saveexec_b64 s[94:95], vcc
	s_xor_b64 s[94:95], exec, s[94:95]
	s_cbranch_execz .LBB12_1805
; %bb.1804:                             ;   in Loop: Header=BB12_1455 Depth=4
	v_bfe_u32 v7, v6, 16, 1
	v_add3_u32 v6, v6, v7, s46
	buffer_store_dword v6, off, s[0:3], s33 offset:340 ; 4-byte Folded Spill
                                        ; implicit-def: $vgpr6
.LBB12_1805:                            ;   in Loop: Header=BB12_1455 Depth=4
	s_andn2_saveexec_b64 s[94:95], s[94:95]
	s_cbranch_execz .LBB12_1807
; %bb.1806:                             ;   in Loop: Header=BB12_1455 Depth=4
	buffer_load_dword v10, off, s[0:3], s33 offset:128 ; 4-byte Folded Reload
	buffer_load_dword v11, off, s[0:3], s33 offset:132 ; 4-byte Folded Reload
	v_or_b32_e32 v7, 0x10000, v6
	s_waitcnt vmcnt(1)
	v_cmp_eq_u32_sdwa vcc, v6, v10 src0_sel:WORD_0 src1_sel:DWORD
	v_cndmask_b32_e32 v6, v7, v6, vcc
	buffer_store_dword v6, off, s[0:3], s33 offset:340 ; 4-byte Folded Spill
.LBB12_1807:                            ;   in Loop: Header=BB12_1455 Depth=4
	s_or_b64 exec, exec, s[94:95]
	v_and_b32_e32 v5, 0xffff0000, v5
	v_mul_f32_e32 v6, v61, v5
	v_and_b32_e32 v5, 0x7f800000, v6
	v_cmp_ne_u32_e32 vcc, s97, v5
                                        ; implicit-def: $vgpr5
	s_and_saveexec_b64 s[94:95], vcc
	s_xor_b64 s[94:95], exec, s[94:95]
; %bb.1808:                             ;   in Loop: Header=BB12_1455 Depth=4
	v_bfe_u32 v5, v6, 16, 1
	v_add3_u32 v5, v6, v5, s46
                                        ; implicit-def: $vgpr6
; %bb.1809:                             ;   in Loop: Header=BB12_1455 Depth=4
	s_andn2_saveexec_b64 s[94:95], s[94:95]
	s_cbranch_execz .LBB12_1811
; %bb.1810:                             ;   in Loop: Header=BB12_1455 Depth=4
	buffer_load_dword v10, off, s[0:3], s33 offset:128 ; 4-byte Folded Reload
	buffer_load_dword v11, off, s[0:3], s33 offset:132 ; 4-byte Folded Reload
	v_or_b32_e32 v5, 0x10000, v6
	s_waitcnt vmcnt(1)
	v_cmp_eq_u32_sdwa vcc, v6, v10 src0_sel:WORD_0 src1_sel:DWORD
	v_cndmask_b32_e32 v5, v5, v6, vcc
.LBB12_1811:                            ;   in Loop: Header=BB12_1455 Depth=4
	s_or_b64 exec, exec, s[94:95]
	v_lshlrev_b32_e32 v6, 16, v56
	v_mul_f32_e32 v6, v61, v6
	v_and_b32_e32 v7, 0x7f800000, v6
	v_cmp_ne_u32_e32 vcc, s97, v7
                                        ; implicit-def: $vgpr7
                                        ; kill: killed $vgpr7
	s_and_saveexec_b64 s[94:95], vcc
	s_xor_b64 s[94:95], exec, s[94:95]
	s_cbranch_execz .LBB12_1813
; %bb.1812:                             ;   in Loop: Header=BB12_1455 Depth=4
	v_bfe_u32 v7, v6, 16, 1
	v_add3_u32 v6, v6, v7, s46
	buffer_store_dword v6, off, s[0:3], s33 offset:332 ; 4-byte Folded Spill
                                        ; implicit-def: $vgpr6
.LBB12_1813:                            ;   in Loop: Header=BB12_1455 Depth=4
	s_andn2_saveexec_b64 s[94:95], s[94:95]
	s_cbranch_execz .LBB12_1815
; %bb.1814:                             ;   in Loop: Header=BB12_1455 Depth=4
	buffer_load_dword v10, off, s[0:3], s33 offset:128 ; 4-byte Folded Reload
	buffer_load_dword v11, off, s[0:3], s33 offset:132 ; 4-byte Folded Reload
	v_or_b32_e32 v7, 0x10000, v6
	s_waitcnt vmcnt(1)
	v_cmp_eq_u32_sdwa vcc, v6, v10 src0_sel:WORD_0 src1_sel:DWORD
	v_cndmask_b32_e32 v6, v7, v6, vcc
	buffer_store_dword v6, off, s[0:3], s33 offset:332 ; 4-byte Folded Spill
.LBB12_1815:                            ;   in Loop: Header=BB12_1455 Depth=4
	s_or_b64 exec, exec, s[94:95]
	v_and_b32_e32 v6, 0xffff0000, v56
	v_mul_f32_e32 v6, v61, v6
	v_and_b32_e32 v7, 0x7f800000, v6
	v_cmp_ne_u32_e32 vcc, s97, v7
                                        ; implicit-def: $vgpr7
                                        ; kill: killed $vgpr7
	s_and_saveexec_b64 s[94:95], vcc
	s_xor_b64 s[94:95], exec, s[94:95]
	s_cbranch_execz .LBB12_1817
; %bb.1816:                             ;   in Loop: Header=BB12_1455 Depth=4
	v_bfe_u32 v7, v6, 16, 1
	v_add3_u32 v6, v6, v7, s46
	buffer_store_dword v6, off, s[0:3], s33 offset:324 ; 4-byte Folded Spill
                                        ; implicit-def: $vgpr6
.LBB12_1817:                            ;   in Loop: Header=BB12_1455 Depth=4
	s_andn2_saveexec_b64 s[94:95], s[94:95]
	s_cbranch_execz .LBB12_1819
; %bb.1818:                             ;   in Loop: Header=BB12_1455 Depth=4
	buffer_load_dword v10, off, s[0:3], s33 offset:128 ; 4-byte Folded Reload
	buffer_load_dword v11, off, s[0:3], s33 offset:132 ; 4-byte Folded Reload
	v_or_b32_e32 v7, 0x10000, v6
	s_waitcnt vmcnt(1)
	v_cmp_eq_u32_sdwa vcc, v6, v10 src0_sel:WORD_0 src1_sel:DWORD
	v_cndmask_b32_e32 v6, v7, v6, vcc
	buffer_store_dword v6, off, s[0:3], s33 offset:324 ; 4-byte Folded Spill
.LBB12_1819:                            ;   in Loop: Header=BB12_1455 Depth=4
	s_or_b64 exec, exec, s[94:95]
	v_lshlrev_b32_e32 v6, 16, v57
	v_mul_f32_e32 v6, v61, v6
	v_and_b32_e32 v7, 0x7f800000, v6
	v_cmp_ne_u32_e32 vcc, s97, v7
                                        ; implicit-def: $vgpr56
	s_and_saveexec_b64 s[94:95], vcc
	s_xor_b64 s[94:95], exec, s[94:95]
; %bb.1820:                             ;   in Loop: Header=BB12_1455 Depth=4
	v_bfe_u32 v7, v6, 16, 1
	v_add3_u32 v56, v6, v7, s46
                                        ; implicit-def: $vgpr6
; %bb.1821:                             ;   in Loop: Header=BB12_1455 Depth=4
	s_andn2_saveexec_b64 s[94:95], s[94:95]
	s_cbranch_execz .LBB12_1823
; %bb.1822:                             ;   in Loop: Header=BB12_1455 Depth=4
	buffer_load_dword v10, off, s[0:3], s33 offset:128 ; 4-byte Folded Reload
	buffer_load_dword v11, off, s[0:3], s33 offset:132 ; 4-byte Folded Reload
	v_or_b32_e32 v7, 0x10000, v6
	s_waitcnt vmcnt(1)
	v_cmp_eq_u32_sdwa vcc, v6, v10 src0_sel:WORD_0 src1_sel:DWORD
	v_cndmask_b32_e32 v56, v7, v6, vcc
.LBB12_1823:                            ;   in Loop: Header=BB12_1455 Depth=4
	s_or_b64 exec, exec, s[94:95]
	v_and_b32_e32 v6, 0xffff0000, v57
	v_mul_f32_e32 v6, v61, v6
	v_and_b32_e32 v7, 0x7f800000, v6
	v_cmp_ne_u32_e32 vcc, s97, v7
                                        ; implicit-def: $vgpr7
                                        ; kill: killed $vgpr7
	s_and_saveexec_b64 s[94:95], vcc
	s_xor_b64 s[94:95], exec, s[94:95]
	s_cbranch_execz .LBB12_1825
; %bb.1824:                             ;   in Loop: Header=BB12_1455 Depth=4
	v_bfe_u32 v7, v6, 16, 1
	v_add3_u32 v6, v6, v7, s46
	buffer_store_dword v6, off, s[0:3], s33 offset:316 ; 4-byte Folded Spill
                                        ; implicit-def: $vgpr6
.LBB12_1825:                            ;   in Loop: Header=BB12_1455 Depth=4
	s_andn2_saveexec_b64 s[94:95], s[94:95]
	s_cbranch_execz .LBB12_1827
; %bb.1826:                             ;   in Loop: Header=BB12_1455 Depth=4
	buffer_load_dword v10, off, s[0:3], s33 offset:128 ; 4-byte Folded Reload
	buffer_load_dword v11, off, s[0:3], s33 offset:132 ; 4-byte Folded Reload
	v_or_b32_e32 v7, 0x10000, v6
	s_waitcnt vmcnt(1)
	v_cmp_eq_u32_sdwa vcc, v6, v10 src0_sel:WORD_0 src1_sel:DWORD
	v_cndmask_b32_e32 v6, v7, v6, vcc
	buffer_store_dword v6, off, s[0:3], s33 offset:316 ; 4-byte Folded Spill
.LBB12_1827:                            ;   in Loop: Header=BB12_1455 Depth=4
	s_or_b64 exec, exec, s[94:95]
	v_lshlrev_b32_e32 v6, 16, v58
	v_mul_f32_e32 v6, v61, v6
	v_and_b32_e32 v7, 0x7f800000, v6
	v_cmp_ne_u32_e32 vcc, s97, v7
                                        ; implicit-def: $vgpr57
	s_and_saveexec_b64 s[94:95], vcc
	s_xor_b64 s[94:95], exec, s[94:95]
; %bb.1828:                             ;   in Loop: Header=BB12_1455 Depth=4
	v_bfe_u32 v7, v6, 16, 1
	v_add3_u32 v57, v6, v7, s46
                                        ; implicit-def: $vgpr6
; %bb.1829:                             ;   in Loop: Header=BB12_1455 Depth=4
	s_andn2_saveexec_b64 s[94:95], s[94:95]
	s_cbranch_execz .LBB12_1831
; %bb.1830:                             ;   in Loop: Header=BB12_1455 Depth=4
	buffer_load_dword v10, off, s[0:3], s33 offset:128 ; 4-byte Folded Reload
	buffer_load_dword v11, off, s[0:3], s33 offset:132 ; 4-byte Folded Reload
	v_or_b32_e32 v7, 0x10000, v6
	s_waitcnt vmcnt(1)
	v_cmp_eq_u32_sdwa vcc, v6, v10 src0_sel:WORD_0 src1_sel:DWORD
	v_cndmask_b32_e32 v57, v7, v6, vcc
.LBB12_1831:                            ;   in Loop: Header=BB12_1455 Depth=4
	s_or_b64 exec, exec, s[94:95]
	v_and_b32_e32 v6, 0xffff0000, v58
	v_mul_f32_e32 v6, v61, v6
	v_and_b32_e32 v7, 0x7f800000, v6
	v_cmp_ne_u32_e32 vcc, s97, v7
                                        ; implicit-def: $vgpr58
	s_and_saveexec_b64 s[94:95], vcc
	s_xor_b64 s[94:95], exec, s[94:95]
; %bb.1832:                             ;   in Loop: Header=BB12_1455 Depth=4
	v_bfe_u32 v7, v6, 16, 1
	v_add3_u32 v58, v6, v7, s46
                                        ; implicit-def: $vgpr6
; %bb.1833:                             ;   in Loop: Header=BB12_1455 Depth=4
	s_andn2_saveexec_b64 s[94:95], s[94:95]
	s_cbranch_execz .LBB12_1835
; %bb.1834:                             ;   in Loop: Header=BB12_1455 Depth=4
	buffer_load_dword v10, off, s[0:3], s33 offset:128 ; 4-byte Folded Reload
	buffer_load_dword v11, off, s[0:3], s33 offset:132 ; 4-byte Folded Reload
	v_or_b32_e32 v7, 0x10000, v6
	s_waitcnt vmcnt(1)
	v_cmp_eq_u32_sdwa vcc, v6, v10 src0_sel:WORD_0 src1_sel:DWORD
	v_cndmask_b32_e32 v58, v7, v6, vcc
.LBB12_1835:                            ;   in Loop: Header=BB12_1455 Depth=4
	s_or_b64 exec, exec, s[94:95]
	v_lshlrev_b32_e32 v6, 16, v59
	v_mul_f32_e32 v6, v61, v6
	v_and_b32_e32 v7, 0x7f800000, v6
	v_cmp_ne_u32_e32 vcc, s97, v7
                                        ; implicit-def: $vgpr7
                                        ; kill: killed $vgpr7
	s_and_saveexec_b64 s[94:95], vcc
	s_xor_b64 s[94:95], exec, s[94:95]
	s_cbranch_execz .LBB12_1837
; %bb.1836:                             ;   in Loop: Header=BB12_1455 Depth=4
	v_bfe_u32 v7, v6, 16, 1
	v_add3_u32 v6, v6, v7, s46
	buffer_store_dword v6, off, s[0:3], s33 offset:300 ; 4-byte Folded Spill
                                        ; implicit-def: $vgpr6
.LBB12_1837:                            ;   in Loop: Header=BB12_1455 Depth=4
	s_andn2_saveexec_b64 s[94:95], s[94:95]
	s_cbranch_execz .LBB12_1839
; %bb.1838:                             ;   in Loop: Header=BB12_1455 Depth=4
	buffer_load_dword v10, off, s[0:3], s33 offset:128 ; 4-byte Folded Reload
	buffer_load_dword v11, off, s[0:3], s33 offset:132 ; 4-byte Folded Reload
	v_or_b32_e32 v7, 0x10000, v6
	s_waitcnt vmcnt(1)
	v_cmp_eq_u32_sdwa vcc, v6, v10 src0_sel:WORD_0 src1_sel:DWORD
	v_cndmask_b32_e32 v6, v7, v6, vcc
	buffer_store_dword v6, off, s[0:3], s33 offset:300 ; 4-byte Folded Spill
.LBB12_1839:                            ;   in Loop: Header=BB12_1455 Depth=4
	s_or_b64 exec, exec, s[94:95]
	v_and_b32_e32 v6, 0xffff0000, v59
	v_mul_f32_e32 v6, v61, v6
	v_and_b32_e32 v7, 0x7f800000, v6
	v_cmp_ne_u32_e32 vcc, s97, v7
                                        ; implicit-def: $vgpr59
	s_and_saveexec_b64 s[94:95], vcc
	s_xor_b64 s[94:95], exec, s[94:95]
; %bb.1840:                             ;   in Loop: Header=BB12_1455 Depth=4
	v_bfe_u32 v7, v6, 16, 1
	v_add3_u32 v59, v6, v7, s46
                                        ; implicit-def: $vgpr6
; %bb.1841:                             ;   in Loop: Header=BB12_1455 Depth=4
	s_andn2_saveexec_b64 s[94:95], s[94:95]
	s_cbranch_execz .LBB12_1843
; %bb.1842:                             ;   in Loop: Header=BB12_1455 Depth=4
	buffer_load_dword v10, off, s[0:3], s33 offset:128 ; 4-byte Folded Reload
	buffer_load_dword v11, off, s[0:3], s33 offset:132 ; 4-byte Folded Reload
	v_or_b32_e32 v7, 0x10000, v6
	s_waitcnt vmcnt(1)
	v_cmp_eq_u32_sdwa vcc, v6, v10 src0_sel:WORD_0 src1_sel:DWORD
	v_cndmask_b32_e32 v59, v7, v6, vcc
.LBB12_1843:                            ;   in Loop: Header=BB12_1455 Depth=4
	s_or_b64 exec, exec, s[94:95]
	v_and_b32_e32 v6, 0xffff0000, v18
	v_lshlrev_b32_e32 v7, 16, v40
	v_add_f32_e32 v6, v7, v6
	v_and_b32_e32 v7, 0x7f800000, v6
	v_cmp_ne_u32_e32 vcc, s97, v7
                                        ; implicit-def: $vgpr7
                                        ; kill: killed $vgpr7
	s_and_saveexec_b64 s[94:95], vcc
	s_xor_b64 s[94:95], exec, s[94:95]
	s_cbranch_execz .LBB12_1845
; %bb.1844:                             ;   in Loop: Header=BB12_1455 Depth=4
	v_bfe_u32 v7, v6, 16, 1
	v_add3_u32 v6, v6, v7, s46
	buffer_store_dword v6, off, s[0:3], s33 offset:284 ; 4-byte Folded Spill
                                        ; implicit-def: $vgpr6
.LBB12_1845:                            ;   in Loop: Header=BB12_1455 Depth=4
	s_andn2_saveexec_b64 s[94:95], s[94:95]
	s_cbranch_execz .LBB12_1847
; %bb.1846:                             ;   in Loop: Header=BB12_1455 Depth=4
	buffer_load_dword v10, off, s[0:3], s33 offset:128 ; 4-byte Folded Reload
	buffer_load_dword v11, off, s[0:3], s33 offset:132 ; 4-byte Folded Reload
	v_or_b32_e32 v7, 0x10000, v6
	s_waitcnt vmcnt(1)
	v_cmp_eq_u32_sdwa vcc, v6, v10 src0_sel:WORD_0 src1_sel:DWORD
	v_cndmask_b32_e32 v6, v7, v6, vcc
	buffer_store_dword v6, off, s[0:3], s33 offset:284 ; 4-byte Folded Spill
.LBB12_1847:                            ;   in Loop: Header=BB12_1455 Depth=4
	s_or_b64 exec, exec, s[94:95]
	v_and_b32_e32 v6, 0xffff0000, v40
	v_and_b32_e32 v7, 0xffff0000, v23
	v_add_f32_e32 v6, v6, v7
	v_and_b32_e32 v7, 0x7f800000, v6
	v_cmp_ne_u32_e32 vcc, s97, v7
                                        ; implicit-def: $vgpr40
	s_and_saveexec_b64 s[94:95], vcc
	s_xor_b64 s[94:95], exec, s[94:95]
; %bb.1848:                             ;   in Loop: Header=BB12_1455 Depth=4
	v_bfe_u32 v7, v6, 16, 1
	v_add3_u32 v40, v6, v7, s46
                                        ; implicit-def: $vgpr6
; %bb.1849:                             ;   in Loop: Header=BB12_1455 Depth=4
	s_andn2_saveexec_b64 s[94:95], s[94:95]
	s_cbranch_execz .LBB12_1851
; %bb.1850:                             ;   in Loop: Header=BB12_1455 Depth=4
	buffer_load_dword v10, off, s[0:3], s33 offset:128 ; 4-byte Folded Reload
	buffer_load_dword v11, off, s[0:3], s33 offset:132 ; 4-byte Folded Reload
	v_or_b32_e32 v7, 0x10000, v6
	s_waitcnt vmcnt(1)
	v_cmp_eq_u32_sdwa vcc, v6, v10 src0_sel:WORD_0 src1_sel:DWORD
	v_cndmask_b32_e32 v40, v7, v6, vcc
.LBB12_1851:                            ;   in Loop: Header=BB12_1455 Depth=4
	s_or_b64 exec, exec, s[94:95]
	v_and_b32_e32 v6, 0xffff0000, v60
	v_lshlrev_b32_e32 v7, 16, v41
	v_add_f32_e32 v6, v7, v6
	v_and_b32_e32 v7, 0x7f800000, v6
	v_cmp_ne_u32_e32 vcc, s97, v7
                                        ; implicit-def: $vgpr18
	s_and_saveexec_b64 s[94:95], vcc
	s_xor_b64 s[94:95], exec, s[94:95]
; %bb.1852:                             ;   in Loop: Header=BB12_1455 Depth=4
	v_bfe_u32 v7, v6, 16, 1
	v_add3_u32 v18, v6, v7, s46
                                        ; implicit-def: $vgpr6
; %bb.1853:                             ;   in Loop: Header=BB12_1455 Depth=4
	s_andn2_saveexec_b64 s[94:95], s[94:95]
	s_cbranch_execz .LBB12_1855
; %bb.1854:                             ;   in Loop: Header=BB12_1455 Depth=4
	buffer_load_dword v10, off, s[0:3], s33 offset:128 ; 4-byte Folded Reload
	buffer_load_dword v11, off, s[0:3], s33 offset:132 ; 4-byte Folded Reload
	v_or_b32_e32 v7, 0x10000, v6
	s_waitcnt vmcnt(1)
	v_cmp_eq_u32_sdwa vcc, v6, v10 src0_sel:WORD_0 src1_sel:DWORD
	v_cndmask_b32_e32 v18, v7, v6, vcc
.LBB12_1855:                            ;   in Loop: Header=BB12_1455 Depth=4
	s_or_b64 exec, exec, s[94:95]
	v_and_b32_e32 v6, 0xffff0000, v41
	s_waitcnt vmcnt(0)
	v_and_b32_e32 v7, 0xffff0000, v21
	v_add_f32_e32 v6, v6, v7
	v_and_b32_e32 v7, 0x7f800000, v6
	v_cmp_ne_u32_e32 vcc, s97, v7
                                        ; implicit-def: $vgpr21
	s_and_saveexec_b64 s[94:95], vcc
	s_xor_b64 s[94:95], exec, s[94:95]
; %bb.1856:                             ;   in Loop: Header=BB12_1455 Depth=4
	v_bfe_u32 v7, v6, 16, 1
	v_add3_u32 v21, v6, v7, s46
                                        ; implicit-def: $vgpr6
; %bb.1857:                             ;   in Loop: Header=BB12_1455 Depth=4
	s_andn2_saveexec_b64 s[94:95], s[94:95]
	s_cbranch_execz .LBB12_1859
; %bb.1858:                             ;   in Loop: Header=BB12_1455 Depth=4
	buffer_load_dword v10, off, s[0:3], s33 offset:128 ; 4-byte Folded Reload
	buffer_load_dword v11, off, s[0:3], s33 offset:132 ; 4-byte Folded Reload
	v_or_b32_e32 v7, 0x10000, v6
	s_waitcnt vmcnt(1)
	v_cmp_eq_u32_sdwa vcc, v6, v10 src0_sel:WORD_0 src1_sel:DWORD
	v_cndmask_b32_e32 v21, v7, v6, vcc
.LBB12_1859:                            ;   in Loop: Header=BB12_1455 Depth=4
	s_or_b64 exec, exec, s[94:95]
	v_and_b32_e32 v6, 0xffff0000, v22
	v_lshlrev_b32_e32 v7, 16, v42
	v_add_f32_e32 v6, v7, v6
	v_and_b32_e32 v7, 0x7f800000, v6
	v_cmp_ne_u32_e32 vcc, s97, v7
                                        ; implicit-def: $vgpr22
	s_and_saveexec_b64 s[94:95], vcc
	s_xor_b64 s[94:95], exec, s[94:95]
; %bb.1860:                             ;   in Loop: Header=BB12_1455 Depth=4
	v_bfe_u32 v7, v6, 16, 1
	v_add3_u32 v22, v6, v7, s46
                                        ; implicit-def: $vgpr6
; %bb.1861:                             ;   in Loop: Header=BB12_1455 Depth=4
	s_andn2_saveexec_b64 s[94:95], s[94:95]
	s_cbranch_execz .LBB12_1863
; %bb.1862:                             ;   in Loop: Header=BB12_1455 Depth=4
	buffer_load_dword v10, off, s[0:3], s33 offset:128 ; 4-byte Folded Reload
	buffer_load_dword v11, off, s[0:3], s33 offset:132 ; 4-byte Folded Reload
	v_or_b32_e32 v7, 0x10000, v6
	s_waitcnt vmcnt(1)
	v_cmp_eq_u32_sdwa vcc, v6, v10 src0_sel:WORD_0 src1_sel:DWORD
	v_cndmask_b32_e32 v22, v7, v6, vcc
.LBB12_1863:                            ;   in Loop: Header=BB12_1455 Depth=4
	s_or_b64 exec, exec, s[94:95]
	v_and_b32_e32 v6, 0xffff0000, v42
	v_and_b32_e32 v7, 0xffff0000, v19
	v_add_f32_e32 v6, v6, v7
	v_and_b32_e32 v7, 0x7f800000, v6
	v_cmp_ne_u32_e32 vcc, s97, v7
                                        ; implicit-def: $vgpr19
	s_and_saveexec_b64 s[94:95], vcc
	s_xor_b64 s[94:95], exec, s[94:95]
; %bb.1864:                             ;   in Loop: Header=BB12_1455 Depth=4
	v_bfe_u32 v7, v6, 16, 1
	v_add3_u32 v19, v6, v7, s46
                                        ; implicit-def: $vgpr6
; %bb.1865:                             ;   in Loop: Header=BB12_1455 Depth=4
	s_andn2_saveexec_b64 s[94:95], s[94:95]
	s_cbranch_execz .LBB12_1867
; %bb.1866:                             ;   in Loop: Header=BB12_1455 Depth=4
	buffer_load_dword v10, off, s[0:3], s33 offset:128 ; 4-byte Folded Reload
	buffer_load_dword v11, off, s[0:3], s33 offset:132 ; 4-byte Folded Reload
	v_or_b32_e32 v7, 0x10000, v6
	s_waitcnt vmcnt(1)
	v_cmp_eq_u32_sdwa vcc, v6, v10 src0_sel:WORD_0 src1_sel:DWORD
	v_cndmask_b32_e32 v19, v7, v6, vcc
.LBB12_1867:                            ;   in Loop: Header=BB12_1455 Depth=4
	s_or_b64 exec, exec, s[94:95]
	v_and_b32_e32 v6, 0xffff0000, v20
	v_lshlrev_b32_e32 v7, 16, v43
	v_add_f32_e32 v6, v7, v6
	v_and_b32_e32 v7, 0x7f800000, v6
	v_cmp_ne_u32_e32 vcc, s97, v7
                                        ; implicit-def: $vgpr20
	s_and_saveexec_b64 s[94:95], vcc
	s_xor_b64 s[94:95], exec, s[94:95]
; %bb.1868:                             ;   in Loop: Header=BB12_1455 Depth=4
	v_bfe_u32 v7, v6, 16, 1
	v_add3_u32 v20, v6, v7, s46
                                        ; implicit-def: $vgpr6
; %bb.1869:                             ;   in Loop: Header=BB12_1455 Depth=4
	s_andn2_saveexec_b64 s[94:95], s[94:95]
	s_cbranch_execz .LBB12_1871
; %bb.1870:                             ;   in Loop: Header=BB12_1455 Depth=4
	buffer_load_dword v10, off, s[0:3], s33 offset:128 ; 4-byte Folded Reload
	buffer_load_dword v11, off, s[0:3], s33 offset:132 ; 4-byte Folded Reload
	v_or_b32_e32 v7, 0x10000, v6
	s_waitcnt vmcnt(1)
	v_cmp_eq_u32_sdwa vcc, v6, v10 src0_sel:WORD_0 src1_sel:DWORD
	v_cndmask_b32_e32 v20, v7, v6, vcc
.LBB12_1871:                            ;   in Loop: Header=BB12_1455 Depth=4
	s_or_b64 exec, exec, s[94:95]
	buffer_load_dword v7, off, s[0:3], s33 offset:376 ; 4-byte Folded Reload
	v_and_b32_e32 v6, 0xffff0000, v43
                                        ; implicit-def: $vgpr13
	s_waitcnt vmcnt(0)
	v_and_b32_e32 v7, 0xffff0000, v7
	v_add_f32_e32 v6, v6, v7
	v_and_b32_e32 v7, 0x7f800000, v6
	v_cmp_ne_u32_e32 vcc, s97, v7
	s_and_saveexec_b64 s[94:95], vcc
	s_xor_b64 s[94:95], exec, s[94:95]
; %bb.1872:                             ;   in Loop: Header=BB12_1455 Depth=4
	v_bfe_u32 v7, v6, 16, 1
	v_add3_u32 v13, v6, v7, s46
                                        ; implicit-def: $vgpr6
; %bb.1873:                             ;   in Loop: Header=BB12_1455 Depth=4
	s_andn2_saveexec_b64 s[94:95], s[94:95]
	s_cbranch_execz .LBB12_1875
; %bb.1874:                             ;   in Loop: Header=BB12_1455 Depth=4
	buffer_load_dword v10, off, s[0:3], s33 offset:128 ; 4-byte Folded Reload
	buffer_load_dword v11, off, s[0:3], s33 offset:132 ; 4-byte Folded Reload
	v_or_b32_e32 v7, 0x10000, v6
	s_waitcnt vmcnt(1)
	v_cmp_eq_u32_sdwa vcc, v6, v10 src0_sel:WORD_0 src1_sel:DWORD
	v_cndmask_b32_e32 v13, v7, v6, vcc
.LBB12_1875:                            ;   in Loop: Header=BB12_1455 Depth=4
	s_or_b64 exec, exec, s[94:95]
	buffer_load_dword v6, off, s[0:3], s33 offset:380 ; 4-byte Folded Reload
	v_lshlrev_b32_e32 v7, 16, v52
                                        ; implicit-def: $vgpr10
	s_waitcnt vmcnt(0)
	v_and_b32_e32 v6, 0xffff0000, v6
	v_add_f32_e32 v6, v7, v6
	v_and_b32_e32 v7, 0x7f800000, v6
	v_cmp_ne_u32_e32 vcc, s97, v7
	s_and_saveexec_b64 s[94:95], vcc
	s_xor_b64 s[94:95], exec, s[94:95]
; %bb.1876:                             ;   in Loop: Header=BB12_1455 Depth=4
	v_bfe_u32 v7, v6, 16, 1
	v_add3_u32 v10, v6, v7, s46
                                        ; implicit-def: $vgpr6
; %bb.1877:                             ;   in Loop: Header=BB12_1455 Depth=4
	s_andn2_saveexec_b64 s[94:95], s[94:95]
	s_cbranch_execz .LBB12_1879
; %bb.1878:                             ;   in Loop: Header=BB12_1455 Depth=4
	buffer_load_dword v10, off, s[0:3], s33 offset:128 ; 4-byte Folded Reload
	buffer_load_dword v11, off, s[0:3], s33 offset:132 ; 4-byte Folded Reload
	v_or_b32_e32 v7, 0x10000, v6
	s_waitcnt vmcnt(1)
	v_cmp_eq_u32_sdwa vcc, v6, v10 src0_sel:WORD_0 src1_sel:DWORD
	v_cndmask_b32_e32 v10, v7, v6, vcc
.LBB12_1879:                            ;   in Loop: Header=BB12_1455 Depth=4
	s_or_b64 exec, exec, s[94:95]
	buffer_load_dword v7, off, s[0:3], s33 offset:372 ; 4-byte Folded Reload
	v_and_b32_e32 v6, 0xffff0000, v52
                                        ; implicit-def: $vgpr11
	s_waitcnt vmcnt(0)
	v_and_b32_e32 v7, 0xffff0000, v7
	v_add_f32_e32 v6, v6, v7
	v_and_b32_e32 v7, 0x7f800000, v6
	v_cmp_ne_u32_e32 vcc, s97, v7
	s_and_saveexec_b64 s[94:95], vcc
	s_xor_b64 s[94:95], exec, s[94:95]
; %bb.1880:                             ;   in Loop: Header=BB12_1455 Depth=4
	v_bfe_u32 v7, v6, 16, 1
	v_add3_u32 v11, v6, v7, s46
                                        ; implicit-def: $vgpr6
; %bb.1881:                             ;   in Loop: Header=BB12_1455 Depth=4
	s_andn2_saveexec_b64 s[94:95], s[94:95]
	s_cbranch_execz .LBB12_1883
; %bb.1882:                             ;   in Loop: Header=BB12_1455 Depth=4
	buffer_load_dword v41, off, s[0:3], s33 offset:128 ; 4-byte Folded Reload
	buffer_load_dword v42, off, s[0:3], s33 offset:132 ; 4-byte Folded Reload
	v_or_b32_e32 v7, 0x10000, v6
	s_waitcnt vmcnt(1)
	v_cmp_eq_u32_sdwa vcc, v6, v41 src0_sel:WORD_0 src1_sel:DWORD
	v_cndmask_b32_e32 v11, v7, v6, vcc
.LBB12_1883:                            ;   in Loop: Header=BB12_1455 Depth=4
	s_or_b64 exec, exec, s[94:95]
	v_and_b32_e32 v6, 0xffff0000, v12
	v_lshlrev_b32_e32 v7, 16, v53
	v_add_f32_e32 v6, v7, v6
	v_and_b32_e32 v7, 0x7f800000, v6
	v_cmp_ne_u32_e32 vcc, s97, v7
                                        ; implicit-def: $vgpr12
	s_and_saveexec_b64 s[94:95], vcc
	s_xor_b64 s[94:95], exec, s[94:95]
; %bb.1884:                             ;   in Loop: Header=BB12_1455 Depth=4
	v_bfe_u32 v7, v6, 16, 1
	v_add3_u32 v12, v6, v7, s46
                                        ; implicit-def: $vgpr6
; %bb.1885:                             ;   in Loop: Header=BB12_1455 Depth=4
	s_andn2_saveexec_b64 s[94:95], s[94:95]
	s_cbranch_execz .LBB12_1887
; %bb.1886:                             ;   in Loop: Header=BB12_1455 Depth=4
	buffer_load_dword v41, off, s[0:3], s33 offset:128 ; 4-byte Folded Reload
	buffer_load_dword v42, off, s[0:3], s33 offset:132 ; 4-byte Folded Reload
	v_or_b32_e32 v7, 0x10000, v6
	s_waitcnt vmcnt(1)
	v_cmp_eq_u32_sdwa vcc, v6, v41 src0_sel:WORD_0 src1_sel:DWORD
	v_cndmask_b32_e32 v12, v7, v6, vcc
.LBB12_1887:                            ;   in Loop: Header=BB12_1455 Depth=4
	s_or_b64 exec, exec, s[94:95]
	buffer_load_dword v7, off, s[0:3], s33 offset:364 ; 4-byte Folded Reload
	v_and_b32_e32 v6, 0xffff0000, v53
	s_waitcnt vmcnt(0)
	v_and_b32_e32 v7, 0xffff0000, v7
	v_add_f32_e32 v6, v6, v7
	v_and_b32_e32 v7, 0x7f800000, v6
	v_cmp_ne_u32_e32 vcc, s97, v7
                                        ; implicit-def: $vgpr7
	s_and_saveexec_b64 s[94:95], vcc
	s_xor_b64 s[94:95], exec, s[94:95]
; %bb.1888:                             ;   in Loop: Header=BB12_1455 Depth=4
	v_bfe_u32 v7, v6, 16, 1
	v_add3_u32 v7, v6, v7, s46
                                        ; implicit-def: $vgpr6
; %bb.1889:                             ;   in Loop: Header=BB12_1455 Depth=4
	s_andn2_saveexec_b64 s[94:95], s[94:95]
	s_cbranch_execz .LBB12_1891
; %bb.1890:                             ;   in Loop: Header=BB12_1455 Depth=4
	buffer_load_dword v52, off, s[0:3], s33 offset:128 ; 4-byte Folded Reload
	buffer_load_dword v53, off, s[0:3], s33 offset:132 ; 4-byte Folded Reload
	v_or_b32_e32 v7, 0x10000, v6
	s_waitcnt vmcnt(1)
	v_cmp_eq_u32_sdwa vcc, v6, v52 src0_sel:WORD_0 src1_sel:DWORD
	v_cndmask_b32_e32 v7, v7, v6, vcc
.LBB12_1891:                            ;   in Loop: Header=BB12_1455 Depth=4
	s_or_b64 exec, exec, s[94:95]
	buffer_load_dword v6, off, s[0:3], s33 offset:368 ; 4-byte Folded Reload
	v_lshlrev_b32_e32 v23, 16, v54
	s_waitcnt vmcnt(0)
	v_and_b32_e32 v6, 0xffff0000, v6
	v_add_f32_e32 v23, v23, v6
	v_and_b32_e32 v6, 0x7f800000, v23
	v_cmp_ne_u32_e32 vcc, s97, v6
                                        ; implicit-def: $vgpr6
	s_and_saveexec_b64 s[94:95], vcc
	s_xor_b64 s[94:95], exec, s[94:95]
; %bb.1892:                             ;   in Loop: Header=BB12_1455 Depth=4
	v_bfe_u32 v6, v23, 16, 1
	v_add3_u32 v6, v23, v6, s46
                                        ; implicit-def: $vgpr23
; %bb.1893:                             ;   in Loop: Header=BB12_1455 Depth=4
	s_andn2_saveexec_b64 s[94:95], s[94:95]
	s_cbranch_execz .LBB12_1895
; %bb.1894:                             ;   in Loop: Header=BB12_1455 Depth=4
	buffer_load_dword v52, off, s[0:3], s33 offset:128 ; 4-byte Folded Reload
	buffer_load_dword v53, off, s[0:3], s33 offset:132 ; 4-byte Folded Reload
	v_or_b32_e32 v6, 0x10000, v23
	s_waitcnt vmcnt(1)
	v_cmp_eq_u32_sdwa vcc, v23, v52 src0_sel:WORD_0 src1_sel:DWORD
	v_cndmask_b32_e32 v6, v6, v23, vcc
.LBB12_1895:                            ;   in Loop: Header=BB12_1455 Depth=4
	s_or_b64 exec, exec, s[94:95]
	v_and_b32_e32 v23, 0xffff0000, v54
	v_and_b32_e32 v8, 0xffff0000, v8
	v_add_f32_e32 v23, v23, v8
	v_and_b32_e32 v8, 0x7f800000, v23
	v_cmp_ne_u32_e32 vcc, s97, v8
                                        ; implicit-def: $vgpr8
	s_and_saveexec_b64 s[94:95], vcc
	s_xor_b64 s[94:95], exec, s[94:95]
; %bb.1896:                             ;   in Loop: Header=BB12_1455 Depth=4
	v_bfe_u32 v8, v23, 16, 1
	v_add3_u32 v8, v23, v8, s46
                                        ; implicit-def: $vgpr23
; %bb.1897:                             ;   in Loop: Header=BB12_1455 Depth=4
	s_andn2_saveexec_b64 s[94:95], s[94:95]
	s_cbranch_execz .LBB12_1899
; %bb.1898:                             ;   in Loop: Header=BB12_1455 Depth=4
	buffer_load_dword v52, off, s[0:3], s33 offset:128 ; 4-byte Folded Reload
	buffer_load_dword v53, off, s[0:3], s33 offset:132 ; 4-byte Folded Reload
	v_or_b32_e32 v8, 0x10000, v23
	s_waitcnt vmcnt(1)
	v_cmp_eq_u32_sdwa vcc, v23, v52 src0_sel:WORD_0 src1_sel:DWORD
	v_cndmask_b32_e32 v8, v8, v23, vcc
.LBB12_1899:                            ;   in Loop: Header=BB12_1455 Depth=4
	s_or_b64 exec, exec, s[94:95]
	buffer_load_dword v23, off, s[0:3], s33 offset:360 ; 4-byte Folded Reload
	v_lshlrev_b32_e32 v52, 16, v55
	s_waitcnt vmcnt(0)
	v_and_b32_e32 v23, 0xffff0000, v23
	v_add_f32_e32 v52, v52, v23
	v_and_b32_e32 v23, 0x7f800000, v52
	v_cmp_ne_u32_e32 vcc, s97, v23
                                        ; implicit-def: $vgpr23
	s_and_saveexec_b64 s[94:95], vcc
	s_xor_b64 s[94:95], exec, s[94:95]
; %bb.1900:                             ;   in Loop: Header=BB12_1455 Depth=4
	v_bfe_u32 v23, v52, 16, 1
	v_add3_u32 v23, v52, v23, s46
                                        ; implicit-def: $vgpr52
; %bb.1901:                             ;   in Loop: Header=BB12_1455 Depth=4
	s_andn2_saveexec_b64 s[94:95], s[94:95]
	s_cbranch_execz .LBB12_1903
; %bb.1902:                             ;   in Loop: Header=BB12_1455 Depth=4
	buffer_load_dword v53, off, s[0:3], s33 offset:128 ; 4-byte Folded Reload
	buffer_load_dword v54, off, s[0:3], s33 offset:132 ; 4-byte Folded Reload
	v_or_b32_e32 v23, 0x10000, v52
	s_waitcnt vmcnt(1)
	v_cmp_eq_u32_sdwa vcc, v52, v53 src0_sel:WORD_0 src1_sel:DWORD
	v_cndmask_b32_e32 v23, v23, v52, vcc
.LBB12_1903:                            ;   in Loop: Header=BB12_1455 Depth=4
	s_or_b64 exec, exec, s[94:95]
	v_and_b32_e32 v52, 0xffff0000, v55
	v_and_b32_e32 v9, 0xffff0000, v9
	v_add_f32_e32 v52, v52, v9
	v_and_b32_e32 v9, 0x7f800000, v52
	v_cmp_ne_u32_e32 vcc, s97, v9
                                        ; implicit-def: $vgpr9
	s_and_saveexec_b64 s[94:95], vcc
	s_xor_b64 s[94:95], exec, s[94:95]
; %bb.1904:                             ;   in Loop: Header=BB12_1455 Depth=4
	v_bfe_u32 v9, v52, 16, 1
	v_add3_u32 v9, v52, v9, s46
                                        ; implicit-def: $vgpr52
; %bb.1905:                             ;   in Loop: Header=BB12_1455 Depth=4
	s_andn2_saveexec_b64 s[94:95], s[94:95]
	s_cbranch_execz .LBB12_1907
; %bb.1906:                             ;   in Loop: Header=BB12_1455 Depth=4
	buffer_load_dword v53, off, s[0:3], s33 offset:128 ; 4-byte Folded Reload
	buffer_load_dword v54, off, s[0:3], s33 offset:132 ; 4-byte Folded Reload
	v_or_b32_e32 v9, 0x10000, v52
	s_waitcnt vmcnt(1)
	v_cmp_eq_u32_sdwa vcc, v52, v53 src0_sel:WORD_0 src1_sel:DWORD
	v_cndmask_b32_e32 v9, v9, v52, vcc
.LBB12_1907:                            ;   in Loop: Header=BB12_1455 Depth=4
	s_or_b64 exec, exec, s[94:95]
	buffer_load_dword v52, off, s[0:3], s33 offset:356 ; 4-byte Folded Reload
	v_lshlrev_b32_e32 v53, 16, v36
	s_waitcnt vmcnt(0)
	v_and_b32_e32 v52, 0xffff0000, v52
	v_add_f32_e32 v53, v53, v52
	v_and_b32_e32 v52, 0x7f800000, v53
	v_cmp_ne_u32_e32 vcc, s97, v52
                                        ; implicit-def: $vgpr52
	s_and_saveexec_b64 s[94:95], vcc
	s_xor_b64 s[94:95], exec, s[94:95]
; %bb.1908:                             ;   in Loop: Header=BB12_1455 Depth=4
	v_bfe_u32 v52, v53, 16, 1
	v_add3_u32 v52, v53, v52, s46
                                        ; implicit-def: $vgpr53
; %bb.1909:                             ;   in Loop: Header=BB12_1455 Depth=4
	s_andn2_saveexec_b64 s[94:95], s[94:95]
	s_cbranch_execz .LBB12_1911
; %bb.1910:                             ;   in Loop: Header=BB12_1455 Depth=4
	buffer_load_dword v54, off, s[0:3], s33 offset:128 ; 4-byte Folded Reload
	buffer_load_dword v55, off, s[0:3], s33 offset:132 ; 4-byte Folded Reload
	v_or_b32_e32 v52, 0x10000, v53
	s_waitcnt vmcnt(1)
	v_cmp_eq_u32_sdwa vcc, v53, v54 src0_sel:WORD_0 src1_sel:DWORD
	v_cndmask_b32_e32 v52, v52, v53, vcc
.LBB12_1911:                            ;   in Loop: Header=BB12_1455 Depth=4
	s_or_b64 exec, exec, s[94:95]
	buffer_load_dword v53, off, s[0:3], s33 offset:352 ; 4-byte Folded Reload
	v_and_b32_e32 v36, 0xffff0000, v36
	s_waitcnt vmcnt(0)
	v_and_b32_e32 v53, 0xffff0000, v53
	v_add_f32_e32 v53, v36, v53
	v_and_b32_e32 v36, 0x7f800000, v53
	v_cmp_ne_u32_e32 vcc, s97, v36
                                        ; implicit-def: $vgpr36
	s_and_saveexec_b64 s[94:95], vcc
	s_xor_b64 s[94:95], exec, s[94:95]
; %bb.1912:                             ;   in Loop: Header=BB12_1455 Depth=4
	v_bfe_u32 v36, v53, 16, 1
	v_add3_u32 v36, v53, v36, s46
                                        ; implicit-def: $vgpr53
; %bb.1913:                             ;   in Loop: Header=BB12_1455 Depth=4
	s_andn2_saveexec_b64 s[94:95], s[94:95]
	s_cbranch_execz .LBB12_1915
; %bb.1914:                             ;   in Loop: Header=BB12_1455 Depth=4
	buffer_load_dword v54, off, s[0:3], s33 offset:128 ; 4-byte Folded Reload
	buffer_load_dword v55, off, s[0:3], s33 offset:132 ; 4-byte Folded Reload
	v_or_b32_e32 v36, 0x10000, v53
	s_waitcnt vmcnt(1)
	v_cmp_eq_u32_sdwa vcc, v53, v54 src0_sel:WORD_0 src1_sel:DWORD
	v_cndmask_b32_e32 v36, v36, v53, vcc
.LBB12_1915:                            ;   in Loop: Header=BB12_1455 Depth=4
	s_or_b64 exec, exec, s[94:95]
	v_and_b32_e32 v2, 0xffff0000, v2
	v_lshlrev_b32_e32 v53, 16, v37
	v_add_f32_e32 v53, v53, v2
	v_and_b32_e32 v2, 0x7f800000, v53
	v_cmp_ne_u32_e32 vcc, s97, v2
                                        ; implicit-def: $vgpr2
	s_and_saveexec_b64 s[94:95], vcc
	s_xor_b64 s[94:95], exec, s[94:95]
; %bb.1916:                             ;   in Loop: Header=BB12_1455 Depth=4
	v_bfe_u32 v2, v53, 16, 1
	v_add3_u32 v2, v53, v2, s46
                                        ; implicit-def: $vgpr53
; %bb.1917:                             ;   in Loop: Header=BB12_1455 Depth=4
	s_andn2_saveexec_b64 s[94:95], s[94:95]
	s_cbranch_execz .LBB12_1919
; %bb.1918:                             ;   in Loop: Header=BB12_1455 Depth=4
	buffer_load_dword v54, off, s[0:3], s33 offset:128 ; 4-byte Folded Reload
	buffer_load_dword v55, off, s[0:3], s33 offset:132 ; 4-byte Folded Reload
	v_or_b32_e32 v2, 0x10000, v53
	s_waitcnt vmcnt(1)
	v_cmp_eq_u32_sdwa vcc, v53, v54 src0_sel:WORD_0 src1_sel:DWORD
	v_cndmask_b32_e32 v2, v2, v53, vcc
.LBB12_1919:                            ;   in Loop: Header=BB12_1455 Depth=4
	s_or_b64 exec, exec, s[94:95]
	buffer_load_dword v53, off, s[0:3], s33 offset:344 ; 4-byte Folded Reload
	v_and_b32_e32 v37, 0xffff0000, v37
	s_waitcnt vmcnt(0)
	v_and_b32_e32 v53, 0xffff0000, v53
	v_add_f32_e32 v53, v37, v53
	v_and_b32_e32 v37, 0x7f800000, v53
	v_cmp_ne_u32_e32 vcc, s97, v37
                                        ; implicit-def: $vgpr37
	s_and_saveexec_b64 s[94:95], vcc
	s_xor_b64 s[94:95], exec, s[94:95]
; %bb.1920:                             ;   in Loop: Header=BB12_1455 Depth=4
	v_bfe_u32 v37, v53, 16, 1
	v_add3_u32 v37, v53, v37, s46
                                        ; implicit-def: $vgpr53
; %bb.1921:                             ;   in Loop: Header=BB12_1455 Depth=4
	s_andn2_saveexec_b64 s[94:95], s[94:95]
	s_cbranch_execz .LBB12_1923
; %bb.1922:                             ;   in Loop: Header=BB12_1455 Depth=4
	buffer_load_dword v54, off, s[0:3], s33 offset:128 ; 4-byte Folded Reload
	buffer_load_dword v55, off, s[0:3], s33 offset:132 ; 4-byte Folded Reload
	v_or_b32_e32 v37, 0x10000, v53
	s_waitcnt vmcnt(1)
	v_cmp_eq_u32_sdwa vcc, v53, v54 src0_sel:WORD_0 src1_sel:DWORD
	v_cndmask_b32_e32 v37, v37, v53, vcc
.LBB12_1923:                            ;   in Loop: Header=BB12_1455 Depth=4
	s_or_b64 exec, exec, s[94:95]
	v_and_b32_e32 v3, 0xffff0000, v3
	v_lshlrev_b32_e32 v53, 16, v38
	v_add_f32_e32 v53, v53, v3
	v_and_b32_e32 v3, 0x7f800000, v53
	v_cmp_ne_u32_e32 vcc, s97, v3
                                        ; implicit-def: $vgpr3
	s_and_saveexec_b64 s[94:95], vcc
	s_xor_b64 s[94:95], exec, s[94:95]
; %bb.1924:                             ;   in Loop: Header=BB12_1455 Depth=4
	v_bfe_u32 v3, v53, 16, 1
	v_add3_u32 v3, v53, v3, s46
                                        ; implicit-def: $vgpr53
; %bb.1925:                             ;   in Loop: Header=BB12_1455 Depth=4
	s_andn2_saveexec_b64 s[94:95], s[94:95]
	s_cbranch_execz .LBB12_1927
; %bb.1926:                             ;   in Loop: Header=BB12_1455 Depth=4
	buffer_load_dword v54, off, s[0:3], s33 offset:128 ; 4-byte Folded Reload
	buffer_load_dword v55, off, s[0:3], s33 offset:132 ; 4-byte Folded Reload
	v_or_b32_e32 v3, 0x10000, v53
	s_waitcnt vmcnt(1)
	v_cmp_eq_u32_sdwa vcc, v53, v54 src0_sel:WORD_0 src1_sel:DWORD
	v_cndmask_b32_e32 v3, v3, v53, vcc
.LBB12_1927:                            ;   in Loop: Header=BB12_1455 Depth=4
	s_or_b64 exec, exec, s[94:95]
	v_and_b32_e32 v38, 0xffff0000, v38
	v_and_b32_e32 v4, 0xffff0000, v4
	v_add_f32_e32 v38, v38, v4
	v_and_b32_e32 v4, 0x7f800000, v38
	v_cmp_ne_u32_e32 vcc, s97, v4
                                        ; implicit-def: $vgpr4
	s_and_saveexec_b64 s[94:95], vcc
	s_xor_b64 s[94:95], exec, s[94:95]
; %bb.1928:                             ;   in Loop: Header=BB12_1455 Depth=4
	v_bfe_u32 v4, v38, 16, 1
	v_add3_u32 v4, v38, v4, s46
                                        ; implicit-def: $vgpr38
; %bb.1929:                             ;   in Loop: Header=BB12_1455 Depth=4
	s_andn2_saveexec_b64 s[94:95], s[94:95]
	s_cbranch_execz .LBB12_1931
; %bb.1930:                             ;   in Loop: Header=BB12_1455 Depth=4
	buffer_load_dword v53, off, s[0:3], s33 offset:128 ; 4-byte Folded Reload
	buffer_load_dword v54, off, s[0:3], s33 offset:132 ; 4-byte Folded Reload
	v_or_b32_e32 v4, 0x10000, v38
	s_waitcnt vmcnt(1)
	v_cmp_eq_u32_sdwa vcc, v38, v53 src0_sel:WORD_0 src1_sel:DWORD
	v_cndmask_b32_e32 v4, v4, v38, vcc
.LBB12_1931:                            ;   in Loop: Header=BB12_1455 Depth=4
	s_or_b64 exec, exec, s[94:95]
	buffer_load_dword v38, off, s[0:3], s33 offset:340 ; 4-byte Folded Reload
	v_lshlrev_b32_e32 v53, 16, v39
	s_waitcnt vmcnt(0)
	v_and_b32_e32 v38, 0xffff0000, v38
	v_add_f32_e32 v53, v53, v38
	v_and_b32_e32 v38, 0x7f800000, v53
	v_cmp_ne_u32_e32 vcc, s97, v38
                                        ; implicit-def: $vgpr38
	s_and_saveexec_b64 s[94:95], vcc
	s_xor_b64 s[94:95], exec, s[94:95]
; %bb.1932:                             ;   in Loop: Header=BB12_1455 Depth=4
	v_bfe_u32 v38, v53, 16, 1
	v_add3_u32 v38, v53, v38, s46
                                        ; implicit-def: $vgpr53
; %bb.1933:                             ;   in Loop: Header=BB12_1455 Depth=4
	s_andn2_saveexec_b64 s[94:95], s[94:95]
	s_cbranch_execz .LBB12_1935
; %bb.1934:                             ;   in Loop: Header=BB12_1455 Depth=4
	buffer_load_dword v54, off, s[0:3], s33 offset:128 ; 4-byte Folded Reload
	buffer_load_dword v55, off, s[0:3], s33 offset:132 ; 4-byte Folded Reload
	v_or_b32_e32 v38, 0x10000, v53
	s_waitcnt vmcnt(1)
	v_cmp_eq_u32_sdwa vcc, v53, v54 src0_sel:WORD_0 src1_sel:DWORD
	v_cndmask_b32_e32 v38, v38, v53, vcc
.LBB12_1935:                            ;   in Loop: Header=BB12_1455 Depth=4
	s_or_b64 exec, exec, s[94:95]
	v_and_b32_e32 v39, 0xffff0000, v39
	v_and_b32_e32 v5, 0xffff0000, v5
	v_add_f32_e32 v39, v39, v5
	v_and_b32_e32 v5, 0x7f800000, v39
	v_cmp_ne_u32_e32 vcc, s97, v5
                                        ; implicit-def: $vgpr5
	s_and_saveexec_b64 s[94:95], vcc
	s_xor_b64 s[94:95], exec, s[94:95]
; %bb.1936:                             ;   in Loop: Header=BB12_1455 Depth=4
	v_bfe_u32 v5, v39, 16, 1
	v_add3_u32 v5, v39, v5, s46
                                        ; implicit-def: $vgpr39
; %bb.1937:                             ;   in Loop: Header=BB12_1455 Depth=4
	s_andn2_saveexec_b64 s[94:95], s[94:95]
	s_cbranch_execz .LBB12_1939
; %bb.1938:                             ;   in Loop: Header=BB12_1455 Depth=4
	buffer_load_dword v53, off, s[0:3], s33 offset:128 ; 4-byte Folded Reload
	buffer_load_dword v54, off, s[0:3], s33 offset:132 ; 4-byte Folded Reload
	v_or_b32_e32 v5, 0x10000, v39
	s_waitcnt vmcnt(1)
	v_cmp_eq_u32_sdwa vcc, v39, v53 src0_sel:WORD_0 src1_sel:DWORD
	v_cndmask_b32_e32 v5, v5, v39, vcc
.LBB12_1939:                            ;   in Loop: Header=BB12_1455 Depth=4
	s_or_b64 exec, exec, s[94:95]
	buffer_load_dword v39, off, s[0:3], s33 offset:332 ; 4-byte Folded Reload
	v_lshlrev_b32_e32 v53, 16, v32
	s_waitcnt vmcnt(0)
	v_and_b32_e32 v39, 0xffff0000, v39
	v_add_f32_e32 v53, v53, v39
	v_and_b32_e32 v39, 0x7f800000, v53
	v_cmp_ne_u32_e32 vcc, s97, v39
                                        ; implicit-def: $vgpr39
	s_and_saveexec_b64 s[94:95], vcc
	s_xor_b64 s[94:95], exec, s[94:95]
; %bb.1940:                             ;   in Loop: Header=BB12_1455 Depth=4
	v_bfe_u32 v39, v53, 16, 1
	v_add3_u32 v39, v53, v39, s46
                                        ; implicit-def: $vgpr53
; %bb.1941:                             ;   in Loop: Header=BB12_1455 Depth=4
	s_andn2_saveexec_b64 s[94:95], s[94:95]
	s_cbranch_execz .LBB12_1943
; %bb.1942:                             ;   in Loop: Header=BB12_1455 Depth=4
	buffer_load_dword v54, off, s[0:3], s33 offset:128 ; 4-byte Folded Reload
	buffer_load_dword v55, off, s[0:3], s33 offset:132 ; 4-byte Folded Reload
	v_or_b32_e32 v39, 0x10000, v53
	s_waitcnt vmcnt(1)
	v_cmp_eq_u32_sdwa vcc, v53, v54 src0_sel:WORD_0 src1_sel:DWORD
	v_cndmask_b32_e32 v39, v39, v53, vcc
.LBB12_1943:                            ;   in Loop: Header=BB12_1455 Depth=4
	s_or_b64 exec, exec, s[94:95]
	buffer_load_dword v53, off, s[0:3], s33 offset:324 ; 4-byte Folded Reload
	v_and_b32_e32 v32, 0xffff0000, v32
	s_waitcnt vmcnt(0)
	v_and_b32_e32 v53, 0xffff0000, v53
	v_add_f32_e32 v53, v32, v53
	v_and_b32_e32 v32, 0x7f800000, v53
	v_cmp_ne_u32_e32 vcc, s97, v32
                                        ; implicit-def: $vgpr32
	s_and_saveexec_b64 s[94:95], vcc
	s_xor_b64 s[94:95], exec, s[94:95]
; %bb.1944:                             ;   in Loop: Header=BB12_1455 Depth=4
	v_bfe_u32 v32, v53, 16, 1
	v_add3_u32 v32, v53, v32, s46
                                        ; implicit-def: $vgpr53
; %bb.1945:                             ;   in Loop: Header=BB12_1455 Depth=4
	s_andn2_saveexec_b64 s[94:95], s[94:95]
	s_cbranch_execz .LBB12_1947
; %bb.1946:                             ;   in Loop: Header=BB12_1455 Depth=4
	buffer_load_dword v54, off, s[0:3], s33 offset:128 ; 4-byte Folded Reload
	buffer_load_dword v55, off, s[0:3], s33 offset:132 ; 4-byte Folded Reload
	v_or_b32_e32 v32, 0x10000, v53
	s_waitcnt vmcnt(1)
	v_cmp_eq_u32_sdwa vcc, v53, v54 src0_sel:WORD_0 src1_sel:DWORD
	v_cndmask_b32_e32 v32, v32, v53, vcc
.LBB12_1947:                            ;   in Loop: Header=BB12_1455 Depth=4
	s_or_b64 exec, exec, s[94:95]
	v_and_b32_e32 v53, 0xffff0000, v56
	v_lshlrev_b32_e32 v54, 16, v33
	v_add_f32_e32 v54, v54, v53
	v_and_b32_e32 v53, 0x7f800000, v54
	v_cmp_ne_u32_e32 vcc, s97, v53
                                        ; implicit-def: $vgpr53
	s_and_saveexec_b64 s[94:95], vcc
	s_xor_b64 s[94:95], exec, s[94:95]
; %bb.1948:                             ;   in Loop: Header=BB12_1455 Depth=4
	v_bfe_u32 v53, v54, 16, 1
	v_add3_u32 v53, v54, v53, s46
                                        ; implicit-def: $vgpr54
; %bb.1949:                             ;   in Loop: Header=BB12_1455 Depth=4
	s_andn2_saveexec_b64 s[94:95], s[94:95]
	s_cbranch_execz .LBB12_1951
; %bb.1950:                             ;   in Loop: Header=BB12_1455 Depth=4
	buffer_load_dword v41, off, s[0:3], s33 offset:128 ; 4-byte Folded Reload
	buffer_load_dword v42, off, s[0:3], s33 offset:132 ; 4-byte Folded Reload
	v_or_b32_e32 v53, 0x10000, v54
	s_waitcnt vmcnt(1)
	v_cmp_eq_u32_sdwa vcc, v54, v41 src0_sel:WORD_0 src1_sel:DWORD
	v_cndmask_b32_e32 v53, v53, v54, vcc
.LBB12_1951:                            ;   in Loop: Header=BB12_1455 Depth=4
	s_or_b64 exec, exec, s[94:95]
	buffer_load_dword v54, off, s[0:3], s33 offset:316 ; 4-byte Folded Reload
	v_and_b32_e32 v33, 0xffff0000, v33
	s_waitcnt vmcnt(0)
	v_and_b32_e32 v54, 0xffff0000, v54
	v_add_f32_e32 v54, v33, v54
	v_and_b32_e32 v33, 0x7f800000, v54
	v_cmp_ne_u32_e32 vcc, s97, v33
                                        ; implicit-def: $vgpr33
	s_and_saveexec_b64 s[94:95], vcc
	s_xor_b64 s[94:95], exec, s[94:95]
; %bb.1952:                             ;   in Loop: Header=BB12_1455 Depth=4
	v_bfe_u32 v33, v54, 16, 1
	v_add3_u32 v33, v54, v33, s46
                                        ; implicit-def: $vgpr54
; %bb.1953:                             ;   in Loop: Header=BB12_1455 Depth=4
	s_andn2_saveexec_b64 s[94:95], s[94:95]
	s_cbranch_execz .LBB12_1955
; %bb.1954:                             ;   in Loop: Header=BB12_1455 Depth=4
	buffer_load_dword v41, off, s[0:3], s33 offset:128 ; 4-byte Folded Reload
	buffer_load_dword v42, off, s[0:3], s33 offset:132 ; 4-byte Folded Reload
	v_or_b32_e32 v33, 0x10000, v54
	s_waitcnt vmcnt(1)
	v_cmp_eq_u32_sdwa vcc, v54, v41 src0_sel:WORD_0 src1_sel:DWORD
	v_cndmask_b32_e32 v33, v33, v54, vcc
.LBB12_1955:                            ;   in Loop: Header=BB12_1455 Depth=4
	s_or_b64 exec, exec, s[94:95]
	v_and_b32_e32 v54, 0xffff0000, v57
	v_lshlrev_b32_e32 v55, 16, v34
	v_add_f32_e32 v55, v55, v54
	v_and_b32_e32 v54, 0x7f800000, v55
	v_cmp_ne_u32_e32 vcc, s97, v54
                                        ; implicit-def: $vgpr54
	s_and_saveexec_b64 s[94:95], vcc
	s_xor_b64 s[94:95], exec, s[94:95]
; %bb.1956:                             ;   in Loop: Header=BB12_1455 Depth=4
	v_bfe_u32 v54, v55, 16, 1
	v_add3_u32 v54, v55, v54, s46
                                        ; implicit-def: $vgpr55
; %bb.1957:                             ;   in Loop: Header=BB12_1455 Depth=4
	s_andn2_saveexec_b64 s[94:95], s[94:95]
	s_cbranch_execz .LBB12_1959
; %bb.1958:                             ;   in Loop: Header=BB12_1455 Depth=4
	buffer_load_dword v41, off, s[0:3], s33 offset:128 ; 4-byte Folded Reload
	buffer_load_dword v42, off, s[0:3], s33 offset:132 ; 4-byte Folded Reload
	v_or_b32_e32 v54, 0x10000, v55
	s_waitcnt vmcnt(1)
	v_cmp_eq_u32_sdwa vcc, v55, v41 src0_sel:WORD_0 src1_sel:DWORD
	v_cndmask_b32_e32 v54, v54, v55, vcc
.LBB12_1959:                            ;   in Loop: Header=BB12_1455 Depth=4
	s_or_b64 exec, exec, s[94:95]
	v_and_b32_e32 v34, 0xffff0000, v34
	v_and_b32_e32 v55, 0xffff0000, v58
	v_add_f32_e32 v55, v34, v55
	v_and_b32_e32 v34, 0x7f800000, v55
	v_cmp_ne_u32_e32 vcc, s97, v34
                                        ; implicit-def: $vgpr34
	s_and_saveexec_b64 s[94:95], vcc
	s_xor_b64 s[94:95], exec, s[94:95]
; %bb.1960:                             ;   in Loop: Header=BB12_1455 Depth=4
	v_bfe_u32 v34, v55, 16, 1
	v_add3_u32 v34, v55, v34, s46
                                        ; implicit-def: $vgpr55
; %bb.1961:                             ;   in Loop: Header=BB12_1455 Depth=4
	s_andn2_saveexec_b64 s[94:95], s[94:95]
	s_cbranch_execz .LBB12_1963
; %bb.1962:                             ;   in Loop: Header=BB12_1455 Depth=4
	buffer_load_dword v41, off, s[0:3], s33 offset:128 ; 4-byte Folded Reload
	buffer_load_dword v42, off, s[0:3], s33 offset:132 ; 4-byte Folded Reload
	v_or_b32_e32 v34, 0x10000, v55
	s_waitcnt vmcnt(1)
	v_cmp_eq_u32_sdwa vcc, v55, v41 src0_sel:WORD_0 src1_sel:DWORD
	v_cndmask_b32_e32 v34, v34, v55, vcc
.LBB12_1963:                            ;   in Loop: Header=BB12_1455 Depth=4
	s_or_b64 exec, exec, s[94:95]
	buffer_load_dword v55, off, s[0:3], s33 offset:300 ; 4-byte Folded Reload
	v_lshlrev_b32_e32 v41, 16, v35
	s_waitcnt vmcnt(0)
	v_and_b32_e32 v55, 0xffff0000, v55
	v_add_f32_e32 v41, v41, v55
	v_and_b32_e32 v55, 0x7f800000, v41
	v_cmp_ne_u32_e32 vcc, s97, v55
                                        ; implicit-def: $vgpr55
	s_and_saveexec_b64 s[94:95], vcc
	s_xor_b64 s[94:95], exec, s[94:95]
; %bb.1964:                             ;   in Loop: Header=BB12_1455 Depth=4
	v_bfe_u32 v55, v41, 16, 1
	v_add3_u32 v55, v41, v55, s46
                                        ; implicit-def: $vgpr41
; %bb.1965:                             ;   in Loop: Header=BB12_1455 Depth=4
	s_andn2_saveexec_b64 s[94:95], s[94:95]
	s_cbranch_execz .LBB12_1967
; %bb.1966:                             ;   in Loop: Header=BB12_1455 Depth=4
	buffer_load_dword v42, off, s[0:3], s33 offset:128 ; 4-byte Folded Reload
	buffer_load_dword v43, off, s[0:3], s33 offset:132 ; 4-byte Folded Reload
	v_or_b32_e32 v55, 0x10000, v41
	s_waitcnt vmcnt(1)
	v_cmp_eq_u32_sdwa vcc, v41, v42 src0_sel:WORD_0 src1_sel:DWORD
	v_cndmask_b32_e32 v55, v55, v41, vcc
.LBB12_1967:                            ;   in Loop: Header=BB12_1455 Depth=4
	s_or_b64 exec, exec, s[94:95]
	v_and_b32_e32 v35, 0xffff0000, v35
	v_and_b32_e32 v41, 0xffff0000, v59
	v_add_f32_e32 v41, v35, v41
	v_and_b32_e32 v35, 0x7f800000, v41
	v_cmp_ne_u32_e32 vcc, s97, v35
                                        ; implicit-def: $vgpr35
	s_and_saveexec_b64 s[94:95], vcc
	s_xor_b64 s[94:95], exec, s[94:95]
; %bb.1968:                             ;   in Loop: Header=BB12_1455 Depth=4
	v_bfe_u32 v35, v41, 16, 1
	v_add3_u32 v35, v41, v35, s46
                                        ; implicit-def: $vgpr41
; %bb.1969:                             ;   in Loop: Header=BB12_1455 Depth=4
	s_andn2_saveexec_b64 s[94:95], s[94:95]
	s_cbranch_execz .LBB12_1971
; %bb.1970:                             ;   in Loop: Header=BB12_1455 Depth=4
	buffer_load_dword v42, off, s[0:3], s33 offset:128 ; 4-byte Folded Reload
	buffer_load_dword v43, off, s[0:3], s33 offset:132 ; 4-byte Folded Reload
	v_or_b32_e32 v35, 0x10000, v41
	s_waitcnt vmcnt(1)
	v_cmp_eq_u32_sdwa vcc, v41, v42 src0_sel:WORD_0 src1_sel:DWORD
	v_cndmask_b32_e32 v35, v35, v41, vcc
.LBB12_1971:                            ;   in Loop: Header=BB12_1455 Depth=4
	s_or_b64 exec, exec, s[94:95]
	v_lshrrev_b32_e32 v2, 16, v2
	v_and_or_b32 v57, v37, s47, v2
	v_lshrrev_b32_e32 v2, 16, v52
	v_and_or_b32 v56, v36, s47, v2
	;; [unrolled: 2-line block ×4, first 2 shown]
	v_lshrrev_b32_e32 v2, 16, v12
	v_lshrrev_b32_e32 v4, 16, v6
	;; [unrolled: 1-line block ×3, first 2 shown]
	v_and_or_b32 v3, v7, s47, v2
	v_and_or_b32 v7, v21, s47, v6
	buffer_load_dword v6, off, s[0:3], s33 offset:284 ; 4-byte Folded Reload
	v_lshrrev_b32_e32 v5, 16, v23
	v_lshrrev_b32_e32 v2, 16, v10
	v_and_or_b32 v4, v8, s47, v4
	v_and_or_b32 v5, v9, s47, v5
	v_lshrrev_b32_e32 v8, 16, v22
	v_lshrrev_b32_e32 v9, 16, v20
	;; [unrolled: 1-line block ×3, first 2 shown]
	v_and_or_b32 v2, v11, s47, v2
	v_and_or_b32 v8, v19, s47, v8
	;; [unrolled: 1-line block ×4, first 2 shown]
	v_lshrrev_b32_e32 v10, 16, v39
	v_lshrrev_b32_e32 v12, 16, v54
	v_lshrrev_b32_e32 v13, 16, v55
	v_and_or_b32 v10, v32, s47, v10
	v_and_or_b32 v12, v34, s47, v12
	;; [unrolled: 1-line block ×3, first 2 shown]
	s_waitcnt vmcnt(0)
	v_lshrrev_b32_e32 v6, 16, v6
	v_and_or_b32 v6, v40, s47, v6
	global_store_dwordx4 v[0:1], v[6:9], off glc slc
	global_store_dwordx4 v[0:1], v[2:5], off offset:1024 glc slc
	global_store_dwordx4 v[0:1], v[56:59], off offset:2048 glc slc
	global_store_dwordx4 v[0:1], v[10:13], off offset:3072 glc slc
	v_add_co_u32_e32 v0, vcc, 0x1000, v0
	v_addc_co_u32_e32 v1, vcc, 0, v1, vcc
	s_and_saveexec_b64 s[94:95], s[92:93]
	s_cbranch_execz .LBB12_1454
; %bb.1972:                             ;   in Loop: Header=BB12_1455 Depth=4
	buffer_load_dword v2, off, s[0:3], s33 offset:152 ; 4-byte Folded Reload
	buffer_load_dword v3, off, s[0:3], s33 offset:240 ; 4-byte Folded Reload
	s_waitcnt vmcnt(0)
	v_sub_u32_e32 v3, v3, v2
	buffer_store_dword v3, off, s[0:3], s33 offset:240 ; 4-byte Folded Spill
	buffer_load_dword v2, off, s[0:3], s33 offset:404 ; 4-byte Folded Reload
	s_nop 0
	buffer_load_dword v3, off, s[0:3], s33 offset:408 ; 4-byte Folded Reload
	s_waitcnt vmcnt(1)
	v_add_co_u32_e32 v0, vcc, v0, v2
	s_waitcnt vmcnt(0)
	v_addc_co_u32_e32 v1, vcc, v1, v3, vcc
	v_add_co_u32_e32 v14, vcc, v14, v2
	v_addc_co_u32_e32 v15, vcc, v15, v3, vcc
	v_add_co_u32_e32 v16, vcc, v16, v2
	v_addc_co_u32_e32 v17, vcc, v17, v3, vcc
	s_branch .LBB12_1454
.LBB12_1973:                            ;   in Loop: Header=BB12_1371 Depth=3
	buffer_load_dword v0, off, s[0:3], s33 offset:596 ; 4-byte Folded Reload
	buffer_load_dword v7, off, s[0:3], s33 offset:580 ; 4-byte Folded Reload
	s_and_saveexec_b64 s[40:41], s[88:89]
	s_cbranch_execnz .LBB12_2445
	s_branch .LBB12_2876
.LBB12_1974:                            ;   in Loop: Header=BB12_1371 Depth=3
	s_or_b64 exec, exec, s[40:41]
	buffer_load_dword v39, off, s[0:3], s33 offset:644 ; 4-byte Folded Reload
	buffer_load_dword v52, off, s[0:3], s33 offset:604 ; 4-byte Folded Reload
	;; [unrolled: 1-line block ×12, first 2 shown]
	s_and_b64 s[40:41], s[90:91], exec
.LBB12_1975:                            ;   in Loop: Header=BB12_1371 Depth=3
	s_or_b64 exec, exec, s[28:29]
	s_and_saveexec_b64 s[28:29], s[40:41]
	s_cbranch_execz .LBB12_2233
; %bb.1976:                             ;   in Loop: Header=BB12_1371 Depth=3
	s_trap 2
	ds_read_b32 v2, v0
	s_waitcnt lgkmcnt(0)
	v_lshlrev_b32_e32 v3, 16, v2
	v_lshlrev_b32_e32 v2, 16, v28
	v_mul_f32_e32 v4, v2, v3
	v_and_b32_e32 v2, 0x7f800000, v4
	v_cmp_ne_u32_e32 vcc, s97, v2
                                        ; implicit-def: $vgpr2
	s_and_saveexec_b64 s[40:41], vcc
	s_xor_b64 s[40:41], exec, s[40:41]
; %bb.1977:                             ;   in Loop: Header=BB12_1371 Depth=3
	v_bfe_u32 v2, v4, 16, 1
	v_add3_u32 v2, v4, v2, s46
                                        ; implicit-def: $vgpr4
; %bb.1978:                             ;   in Loop: Header=BB12_1371 Depth=3
	s_andn2_saveexec_b64 s[40:41], s[40:41]
	s_cbranch_execz .LBB12_1980
; %bb.1979:                             ;   in Loop: Header=BB12_1371 Depth=3
	buffer_load_dword v5, off, s[0:3], s33 offset:128 ; 4-byte Folded Reload
	buffer_load_dword v6, off, s[0:3], s33 offset:132 ; 4-byte Folded Reload
	v_or_b32_e32 v2, 0x10000, v4
	s_waitcnt vmcnt(1)
	v_cmp_eq_u32_sdwa vcc, v4, v5 src0_sel:WORD_0 src1_sel:DWORD
	v_cndmask_b32_e32 v2, v2, v4, vcc
.LBB12_1980:                            ;   in Loop: Header=BB12_1371 Depth=3
	s_or_b64 exec, exec, s[40:41]
	v_and_b32_e32 v4, 0xffff0000, v28
	v_mul_f32_e32 v4, v4, v3
	v_and_b32_e32 v5, 0x7f800000, v4
	v_cmp_ne_u32_e32 vcc, s97, v5
                                        ; implicit-def: $vgpr22
	s_and_saveexec_b64 s[40:41], vcc
	s_xor_b64 s[40:41], exec, s[40:41]
; %bb.1981:                             ;   in Loop: Header=BB12_1371 Depth=3
	v_bfe_u32 v5, v4, 16, 1
	v_add3_u32 v22, v4, v5, s46
                                        ; implicit-def: $vgpr4
; %bb.1982:                             ;   in Loop: Header=BB12_1371 Depth=3
	s_andn2_saveexec_b64 s[40:41], s[40:41]
	s_cbranch_execz .LBB12_1984
; %bb.1983:                             ;   in Loop: Header=BB12_1371 Depth=3
	buffer_load_dword v6, off, s[0:3], s33 offset:128 ; 4-byte Folded Reload
	buffer_load_dword v7, off, s[0:3], s33 offset:132 ; 4-byte Folded Reload
	v_or_b32_e32 v5, 0x10000, v4
	s_waitcnt vmcnt(1)
	v_cmp_eq_u32_sdwa vcc, v4, v6 src0_sel:WORD_0 src1_sel:DWORD
	v_cndmask_b32_e32 v22, v5, v4, vcc
.LBB12_1984:                            ;   in Loop: Header=BB12_1371 Depth=3
	s_or_b64 exec, exec, s[40:41]
	v_lshlrev_b32_e32 v4, 16, v29
	v_mul_f32_e32 v4, v4, v3
	v_and_b32_e32 v5, 0x7f800000, v4
	v_cmp_ne_u32_e32 vcc, s97, v5
                                        ; implicit-def: $vgpr37
	s_and_saveexec_b64 s[40:41], vcc
	s_xor_b64 s[40:41], exec, s[40:41]
; %bb.1985:                             ;   in Loop: Header=BB12_1371 Depth=3
	v_bfe_u32 v5, v4, 16, 1
	v_add3_u32 v37, v4, v5, s46
                                        ; implicit-def: $vgpr4
; %bb.1986:                             ;   in Loop: Header=BB12_1371 Depth=3
	s_andn2_saveexec_b64 s[40:41], s[40:41]
	s_cbranch_execz .LBB12_1988
; %bb.1987:                             ;   in Loop: Header=BB12_1371 Depth=3
	buffer_load_dword v6, off, s[0:3], s33 offset:128 ; 4-byte Folded Reload
	buffer_load_dword v7, off, s[0:3], s33 offset:132 ; 4-byte Folded Reload
	v_or_b32_e32 v5, 0x10000, v4
	s_waitcnt vmcnt(1)
	v_cmp_eq_u32_sdwa vcc, v4, v6 src0_sel:WORD_0 src1_sel:DWORD
	v_cndmask_b32_e32 v37, v5, v4, vcc
.LBB12_1988:                            ;   in Loop: Header=BB12_1371 Depth=3
	s_or_b64 exec, exec, s[40:41]
	v_and_b32_e32 v4, 0xffff0000, v29
	v_mul_f32_e32 v4, v4, v3
	v_and_b32_e32 v5, 0x7f800000, v4
	v_cmp_ne_u32_e32 vcc, s97, v5
                                        ; implicit-def: $vgpr35
	s_and_saveexec_b64 s[40:41], vcc
	s_xor_b64 s[40:41], exec, s[40:41]
; %bb.1989:                             ;   in Loop: Header=BB12_1371 Depth=3
	v_bfe_u32 v5, v4, 16, 1
	v_add3_u32 v35, v4, v5, s46
                                        ; implicit-def: $vgpr4
; %bb.1990:                             ;   in Loop: Header=BB12_1371 Depth=3
	s_andn2_saveexec_b64 s[40:41], s[40:41]
	s_cbranch_execz .LBB12_1992
; %bb.1991:                             ;   in Loop: Header=BB12_1371 Depth=3
	buffer_load_dword v6, off, s[0:3], s33 offset:128 ; 4-byte Folded Reload
	buffer_load_dword v7, off, s[0:3], s33 offset:132 ; 4-byte Folded Reload
	v_or_b32_e32 v5, 0x10000, v4
	s_waitcnt vmcnt(1)
	v_cmp_eq_u32_sdwa vcc, v4, v6 src0_sel:WORD_0 src1_sel:DWORD
	v_cndmask_b32_e32 v35, v5, v4, vcc
.LBB12_1992:                            ;   in Loop: Header=BB12_1371 Depth=3
	s_or_b64 exec, exec, s[40:41]
	v_lshlrev_b32_e32 v4, 16, v30
	v_mul_f32_e32 v4, v4, v3
	v_and_b32_e32 v5, 0x7f800000, v4
	v_cmp_ne_u32_e32 vcc, s97, v5
                                        ; implicit-def: $vgpr36
	s_and_saveexec_b64 s[40:41], vcc
	s_xor_b64 s[40:41], exec, s[40:41]
; %bb.1993:                             ;   in Loop: Header=BB12_1371 Depth=3
	v_bfe_u32 v5, v4, 16, 1
	v_add3_u32 v36, v4, v5, s46
                                        ; implicit-def: $vgpr4
; %bb.1994:                             ;   in Loop: Header=BB12_1371 Depth=3
	s_andn2_saveexec_b64 s[40:41], s[40:41]
	s_cbranch_execz .LBB12_1996
; %bb.1995:                             ;   in Loop: Header=BB12_1371 Depth=3
	buffer_load_dword v6, off, s[0:3], s33 offset:128 ; 4-byte Folded Reload
	buffer_load_dword v7, off, s[0:3], s33 offset:132 ; 4-byte Folded Reload
	v_or_b32_e32 v5, 0x10000, v4
	s_waitcnt vmcnt(1)
	v_cmp_eq_u32_sdwa vcc, v4, v6 src0_sel:WORD_0 src1_sel:DWORD
	v_cndmask_b32_e32 v36, v5, v4, vcc
.LBB12_1996:                            ;   in Loop: Header=BB12_1371 Depth=3
	s_or_b64 exec, exec, s[40:41]
	v_and_b32_e32 v4, 0xffff0000, v30
	v_mul_f32_e32 v4, v4, v3
	v_and_b32_e32 v5, 0x7f800000, v4
	v_cmp_ne_u32_e32 vcc, s97, v5
                                        ; implicit-def: $vgpr33
	s_and_saveexec_b64 s[40:41], vcc
	s_xor_b64 s[40:41], exec, s[40:41]
; %bb.1997:                             ;   in Loop: Header=BB12_1371 Depth=3
	v_bfe_u32 v5, v4, 16, 1
	v_add3_u32 v33, v4, v5, s46
                                        ; implicit-def: $vgpr4
; %bb.1998:                             ;   in Loop: Header=BB12_1371 Depth=3
	s_andn2_saveexec_b64 s[40:41], s[40:41]
	s_cbranch_execz .LBB12_2000
; %bb.1999:                             ;   in Loop: Header=BB12_1371 Depth=3
	buffer_load_dword v6, off, s[0:3], s33 offset:128 ; 4-byte Folded Reload
	buffer_load_dword v7, off, s[0:3], s33 offset:132 ; 4-byte Folded Reload
	v_or_b32_e32 v5, 0x10000, v4
	s_waitcnt vmcnt(1)
	v_cmp_eq_u32_sdwa vcc, v4, v6 src0_sel:WORD_0 src1_sel:DWORD
	v_cndmask_b32_e32 v33, v5, v4, vcc
.LBB12_2000:                            ;   in Loop: Header=BB12_1371 Depth=3
	s_or_b64 exec, exec, s[40:41]
	v_lshlrev_b32_e32 v4, 16, v31
	v_mul_f32_e32 v4, v4, v3
	v_and_b32_e32 v5, 0x7f800000, v4
	v_cmp_ne_u32_e32 vcc, s97, v5
                                        ; implicit-def: $vgpr34
	s_and_saveexec_b64 s[40:41], vcc
	s_xor_b64 s[40:41], exec, s[40:41]
; %bb.2001:                             ;   in Loop: Header=BB12_1371 Depth=3
	v_bfe_u32 v5, v4, 16, 1
	v_add3_u32 v34, v4, v5, s46
                                        ; implicit-def: $vgpr4
; %bb.2002:                             ;   in Loop: Header=BB12_1371 Depth=3
	s_andn2_saveexec_b64 s[40:41], s[40:41]
	s_cbranch_execz .LBB12_2004
; %bb.2003:                             ;   in Loop: Header=BB12_1371 Depth=3
	buffer_load_dword v6, off, s[0:3], s33 offset:128 ; 4-byte Folded Reload
	buffer_load_dword v7, off, s[0:3], s33 offset:132 ; 4-byte Folded Reload
	v_or_b32_e32 v5, 0x10000, v4
	s_waitcnt vmcnt(1)
	v_cmp_eq_u32_sdwa vcc, v4, v6 src0_sel:WORD_0 src1_sel:DWORD
	v_cndmask_b32_e32 v34, v5, v4, vcc
.LBB12_2004:                            ;   in Loop: Header=BB12_1371 Depth=3
	s_or_b64 exec, exec, s[40:41]
	v_and_b32_e32 v4, 0xffff0000, v31
	v_mul_f32_e32 v4, v4, v3
	v_and_b32_e32 v5, 0x7f800000, v4
	v_cmp_ne_u32_e32 vcc, s97, v5
                                        ; implicit-def: $vgpr31
	s_and_saveexec_b64 s[40:41], vcc
	s_xor_b64 s[40:41], exec, s[40:41]
; %bb.2005:                             ;   in Loop: Header=BB12_1371 Depth=3
	v_bfe_u32 v5, v4, 16, 1
	v_add3_u32 v31, v4, v5, s46
                                        ; implicit-def: $vgpr4
; %bb.2006:                             ;   in Loop: Header=BB12_1371 Depth=3
	s_andn2_saveexec_b64 s[40:41], s[40:41]
	s_cbranch_execz .LBB12_2008
; %bb.2007:                             ;   in Loop: Header=BB12_1371 Depth=3
	buffer_load_dword v6, off, s[0:3], s33 offset:128 ; 4-byte Folded Reload
	buffer_load_dword v7, off, s[0:3], s33 offset:132 ; 4-byte Folded Reload
	v_or_b32_e32 v5, 0x10000, v4
	s_waitcnt vmcnt(1)
	v_cmp_eq_u32_sdwa vcc, v4, v6 src0_sel:WORD_0 src1_sel:DWORD
	v_cndmask_b32_e32 v31, v5, v4, vcc
.LBB12_2008:                            ;   in Loop: Header=BB12_1371 Depth=3
	s_or_b64 exec, exec, s[40:41]
	v_lshlrev_b32_e32 v4, 16, v44
	v_mul_f32_e32 v4, v4, v3
	v_and_b32_e32 v5, 0x7f800000, v4
	v_cmp_ne_u32_e32 vcc, s97, v5
                                        ; implicit-def: $vgpr32
	s_and_saveexec_b64 s[40:41], vcc
	s_xor_b64 s[40:41], exec, s[40:41]
; %bb.2009:                             ;   in Loop: Header=BB12_1371 Depth=3
	v_bfe_u32 v5, v4, 16, 1
	v_add3_u32 v32, v4, v5, s46
                                        ; implicit-def: $vgpr4
; %bb.2010:                             ;   in Loop: Header=BB12_1371 Depth=3
	s_andn2_saveexec_b64 s[40:41], s[40:41]
	s_cbranch_execz .LBB12_2012
; %bb.2011:                             ;   in Loop: Header=BB12_1371 Depth=3
	buffer_load_dword v6, off, s[0:3], s33 offset:128 ; 4-byte Folded Reload
	buffer_load_dword v7, off, s[0:3], s33 offset:132 ; 4-byte Folded Reload
	v_or_b32_e32 v5, 0x10000, v4
	s_waitcnt vmcnt(1)
	v_cmp_eq_u32_sdwa vcc, v4, v6 src0_sel:WORD_0 src1_sel:DWORD
	v_cndmask_b32_e32 v32, v5, v4, vcc
.LBB12_2012:                            ;   in Loop: Header=BB12_1371 Depth=3
	s_or_b64 exec, exec, s[40:41]
	v_and_b32_e32 v4, 0xffff0000, v44
	v_mul_f32_e32 v4, v4, v3
	v_and_b32_e32 v5, 0x7f800000, v4
	v_cmp_ne_u32_e32 vcc, s97, v5
                                        ; implicit-def: $vgpr29
	s_and_saveexec_b64 s[40:41], vcc
	s_xor_b64 s[40:41], exec, s[40:41]
; %bb.2013:                             ;   in Loop: Header=BB12_1371 Depth=3
	v_bfe_u32 v5, v4, 16, 1
	v_add3_u32 v29, v4, v5, s46
                                        ; implicit-def: $vgpr4
; %bb.2014:                             ;   in Loop: Header=BB12_1371 Depth=3
	s_andn2_saveexec_b64 s[40:41], s[40:41]
	s_cbranch_execz .LBB12_2016
; %bb.2015:                             ;   in Loop: Header=BB12_1371 Depth=3
	buffer_load_dword v6, off, s[0:3], s33 offset:128 ; 4-byte Folded Reload
	buffer_load_dword v7, off, s[0:3], s33 offset:132 ; 4-byte Folded Reload
	v_or_b32_e32 v5, 0x10000, v4
	s_waitcnt vmcnt(1)
	v_cmp_eq_u32_sdwa vcc, v4, v6 src0_sel:WORD_0 src1_sel:DWORD
	v_cndmask_b32_e32 v29, v5, v4, vcc
.LBB12_2016:                            ;   in Loop: Header=BB12_1371 Depth=3
	s_or_b64 exec, exec, s[40:41]
	v_lshlrev_b32_e32 v4, 16, v45
	v_mul_f32_e32 v4, v4, v3
	v_and_b32_e32 v5, 0x7f800000, v4
	v_cmp_ne_u32_e32 vcc, s97, v5
                                        ; implicit-def: $vgpr30
	s_and_saveexec_b64 s[40:41], vcc
	s_xor_b64 s[40:41], exec, s[40:41]
; %bb.2017:                             ;   in Loop: Header=BB12_1371 Depth=3
	v_bfe_u32 v5, v4, 16, 1
	v_add3_u32 v30, v4, v5, s46
                                        ; implicit-def: $vgpr4
; %bb.2018:                             ;   in Loop: Header=BB12_1371 Depth=3
	s_andn2_saveexec_b64 s[40:41], s[40:41]
	s_cbranch_execz .LBB12_2020
; %bb.2019:                             ;   in Loop: Header=BB12_1371 Depth=3
	buffer_load_dword v6, off, s[0:3], s33 offset:128 ; 4-byte Folded Reload
	buffer_load_dword v7, off, s[0:3], s33 offset:132 ; 4-byte Folded Reload
	v_or_b32_e32 v5, 0x10000, v4
	s_waitcnt vmcnt(1)
	v_cmp_eq_u32_sdwa vcc, v4, v6 src0_sel:WORD_0 src1_sel:DWORD
	v_cndmask_b32_e32 v30, v5, v4, vcc
.LBB12_2020:                            ;   in Loop: Header=BB12_1371 Depth=3
	s_or_b64 exec, exec, s[40:41]
	v_and_b32_e32 v4, 0xffff0000, v45
	v_mul_f32_e32 v4, v4, v3
	v_and_b32_e32 v5, 0x7f800000, v4
	v_cmp_ne_u32_e32 vcc, s97, v5
                                        ; implicit-def: $vgpr23
	s_and_saveexec_b64 s[40:41], vcc
	s_xor_b64 s[40:41], exec, s[40:41]
; %bb.2021:                             ;   in Loop: Header=BB12_1371 Depth=3
	v_bfe_u32 v5, v4, 16, 1
	v_add3_u32 v23, v4, v5, s46
                                        ; implicit-def: $vgpr4
; %bb.2022:                             ;   in Loop: Header=BB12_1371 Depth=3
	s_andn2_saveexec_b64 s[40:41], s[40:41]
	s_cbranch_execz .LBB12_2024
; %bb.2023:                             ;   in Loop: Header=BB12_1371 Depth=3
	buffer_load_dword v6, off, s[0:3], s33 offset:128 ; 4-byte Folded Reload
	buffer_load_dword v7, off, s[0:3], s33 offset:132 ; 4-byte Folded Reload
	v_or_b32_e32 v5, 0x10000, v4
	s_waitcnt vmcnt(1)
	v_cmp_eq_u32_sdwa vcc, v4, v6 src0_sel:WORD_0 src1_sel:DWORD
	v_cndmask_b32_e32 v23, v5, v4, vcc
.LBB12_2024:                            ;   in Loop: Header=BB12_1371 Depth=3
	s_or_b64 exec, exec, s[40:41]
	v_lshlrev_b32_e32 v4, 16, v46
	v_mul_f32_e32 v4, v4, v3
	v_and_b32_e32 v5, 0x7f800000, v4
	v_cmp_ne_u32_e32 vcc, s97, v5
                                        ; implicit-def: $vgpr28
	s_and_saveexec_b64 s[40:41], vcc
	s_xor_b64 s[40:41], exec, s[40:41]
; %bb.2025:                             ;   in Loop: Header=BB12_1371 Depth=3
	v_bfe_u32 v5, v4, 16, 1
	v_add3_u32 v28, v4, v5, s46
                                        ; implicit-def: $vgpr4
; %bb.2026:                             ;   in Loop: Header=BB12_1371 Depth=3
	s_andn2_saveexec_b64 s[40:41], s[40:41]
	s_cbranch_execz .LBB12_2028
; %bb.2027:                             ;   in Loop: Header=BB12_1371 Depth=3
	buffer_load_dword v6, off, s[0:3], s33 offset:128 ; 4-byte Folded Reload
	buffer_load_dword v7, off, s[0:3], s33 offset:132 ; 4-byte Folded Reload
	v_or_b32_e32 v5, 0x10000, v4
	s_waitcnt vmcnt(1)
	v_cmp_eq_u32_sdwa vcc, v4, v6 src0_sel:WORD_0 src1_sel:DWORD
	v_cndmask_b32_e32 v28, v5, v4, vcc
.LBB12_2028:                            ;   in Loop: Header=BB12_1371 Depth=3
	s_or_b64 exec, exec, s[40:41]
	v_and_b32_e32 v4, 0xffff0000, v46
	v_mul_f32_e32 v4, v4, v3
	v_and_b32_e32 v5, 0x7f800000, v4
	v_cmp_ne_u32_e32 vcc, s97, v5
                                        ; implicit-def: $vgpr20
	s_and_saveexec_b64 s[40:41], vcc
	s_xor_b64 s[40:41], exec, s[40:41]
; %bb.2029:                             ;   in Loop: Header=BB12_1371 Depth=3
	v_bfe_u32 v5, v4, 16, 1
	v_add3_u32 v20, v4, v5, s46
                                        ; implicit-def: $vgpr4
; %bb.2030:                             ;   in Loop: Header=BB12_1371 Depth=3
	s_andn2_saveexec_b64 s[40:41], s[40:41]
	s_cbranch_execz .LBB12_2032
; %bb.2031:                             ;   in Loop: Header=BB12_1371 Depth=3
	buffer_load_dword v6, off, s[0:3], s33 offset:128 ; 4-byte Folded Reload
	buffer_load_dword v7, off, s[0:3], s33 offset:132 ; 4-byte Folded Reload
	v_or_b32_e32 v5, 0x10000, v4
	s_waitcnt vmcnt(1)
	v_cmp_eq_u32_sdwa vcc, v4, v6 src0_sel:WORD_0 src1_sel:DWORD
	v_cndmask_b32_e32 v20, v5, v4, vcc
.LBB12_2032:                            ;   in Loop: Header=BB12_1371 Depth=3
	s_or_b64 exec, exec, s[40:41]
	v_lshlrev_b32_e32 v4, 16, v47
	v_mul_f32_e32 v4, v4, v3
	v_and_b32_e32 v5, 0x7f800000, v4
	v_cmp_ne_u32_e32 vcc, s97, v5
                                        ; implicit-def: $vgpr21
	s_and_saveexec_b64 s[40:41], vcc
	s_xor_b64 s[40:41], exec, s[40:41]
; %bb.2033:                             ;   in Loop: Header=BB12_1371 Depth=3
	v_bfe_u32 v5, v4, 16, 1
	v_add3_u32 v21, v4, v5, s46
                                        ; implicit-def: $vgpr4
; %bb.2034:                             ;   in Loop: Header=BB12_1371 Depth=3
	s_andn2_saveexec_b64 s[40:41], s[40:41]
	s_cbranch_execz .LBB12_2036
; %bb.2035:                             ;   in Loop: Header=BB12_1371 Depth=3
	buffer_load_dword v6, off, s[0:3], s33 offset:128 ; 4-byte Folded Reload
	buffer_load_dword v7, off, s[0:3], s33 offset:132 ; 4-byte Folded Reload
	v_or_b32_e32 v5, 0x10000, v4
	s_waitcnt vmcnt(1)
	v_cmp_eq_u32_sdwa vcc, v4, v6 src0_sel:WORD_0 src1_sel:DWORD
	v_cndmask_b32_e32 v21, v5, v4, vcc
.LBB12_2036:                            ;   in Loop: Header=BB12_1371 Depth=3
	s_or_b64 exec, exec, s[40:41]
	v_and_b32_e32 v4, 0xffff0000, v47
	v_mul_f32_e32 v4, v4, v3
	v_and_b32_e32 v5, 0x7f800000, v4
	v_cmp_ne_u32_e32 vcc, s97, v5
                                        ; implicit-def: $vgpr18
	s_and_saveexec_b64 s[40:41], vcc
	s_xor_b64 s[40:41], exec, s[40:41]
; %bb.2037:                             ;   in Loop: Header=BB12_1371 Depth=3
	v_bfe_u32 v5, v4, 16, 1
	v_add3_u32 v18, v4, v5, s46
                                        ; implicit-def: $vgpr4
; %bb.2038:                             ;   in Loop: Header=BB12_1371 Depth=3
	s_andn2_saveexec_b64 s[40:41], s[40:41]
	s_cbranch_execz .LBB12_2040
; %bb.2039:                             ;   in Loop: Header=BB12_1371 Depth=3
	buffer_load_dword v6, off, s[0:3], s33 offset:128 ; 4-byte Folded Reload
	buffer_load_dword v7, off, s[0:3], s33 offset:132 ; 4-byte Folded Reload
	v_or_b32_e32 v5, 0x10000, v4
	s_waitcnt vmcnt(1)
	v_cmp_eq_u32_sdwa vcc, v4, v6 src0_sel:WORD_0 src1_sel:DWORD
	v_cndmask_b32_e32 v18, v5, v4, vcc
.LBB12_2040:                            ;   in Loop: Header=BB12_1371 Depth=3
	s_or_b64 exec, exec, s[40:41]
	v_lshlrev_b32_e32 v4, 16, v48
	v_mul_f32_e32 v4, v4, v3
	v_and_b32_e32 v5, 0x7f800000, v4
	v_cmp_ne_u32_e32 vcc, s97, v5
                                        ; implicit-def: $vgpr19
	s_and_saveexec_b64 s[40:41], vcc
	s_xor_b64 s[40:41], exec, s[40:41]
; %bb.2041:                             ;   in Loop: Header=BB12_1371 Depth=3
	v_bfe_u32 v5, v4, 16, 1
	v_add3_u32 v19, v4, v5, s46
                                        ; implicit-def: $vgpr4
; %bb.2042:                             ;   in Loop: Header=BB12_1371 Depth=3
	s_andn2_saveexec_b64 s[40:41], s[40:41]
	s_cbranch_execz .LBB12_2044
; %bb.2043:                             ;   in Loop: Header=BB12_1371 Depth=3
	buffer_load_dword v6, off, s[0:3], s33 offset:128 ; 4-byte Folded Reload
	buffer_load_dword v7, off, s[0:3], s33 offset:132 ; 4-byte Folded Reload
	v_or_b32_e32 v5, 0x10000, v4
	s_waitcnt vmcnt(1)
	v_cmp_eq_u32_sdwa vcc, v4, v6 src0_sel:WORD_0 src1_sel:DWORD
	v_cndmask_b32_e32 v19, v5, v4, vcc
.LBB12_2044:                            ;   in Loop: Header=BB12_1371 Depth=3
	s_or_b64 exec, exec, s[40:41]
	v_and_b32_e32 v4, 0xffff0000, v48
	v_mul_f32_e32 v4, v4, v3
	v_and_b32_e32 v5, 0x7f800000, v4
	v_cmp_ne_u32_e32 vcc, s97, v5
                                        ; implicit-def: $vgpr16
	s_and_saveexec_b64 s[40:41], vcc
	s_xor_b64 s[40:41], exec, s[40:41]
; %bb.2045:                             ;   in Loop: Header=BB12_1371 Depth=3
	v_bfe_u32 v5, v4, 16, 1
	v_add3_u32 v16, v4, v5, s46
                                        ; implicit-def: $vgpr4
; %bb.2046:                             ;   in Loop: Header=BB12_1371 Depth=3
	s_andn2_saveexec_b64 s[40:41], s[40:41]
	s_cbranch_execz .LBB12_2048
; %bb.2047:                             ;   in Loop: Header=BB12_1371 Depth=3
	buffer_load_dword v6, off, s[0:3], s33 offset:128 ; 4-byte Folded Reload
	buffer_load_dword v7, off, s[0:3], s33 offset:132 ; 4-byte Folded Reload
	v_or_b32_e32 v5, 0x10000, v4
	s_waitcnt vmcnt(1)
	v_cmp_eq_u32_sdwa vcc, v4, v6 src0_sel:WORD_0 src1_sel:DWORD
	v_cndmask_b32_e32 v16, v5, v4, vcc
.LBB12_2048:                            ;   in Loop: Header=BB12_1371 Depth=3
	s_or_b64 exec, exec, s[40:41]
	v_lshlrev_b32_e32 v4, 16, v49
	v_mul_f32_e32 v4, v4, v3
	v_and_b32_e32 v5, 0x7f800000, v4
	v_cmp_ne_u32_e32 vcc, s97, v5
                                        ; implicit-def: $vgpr17
	s_and_saveexec_b64 s[40:41], vcc
	s_xor_b64 s[40:41], exec, s[40:41]
; %bb.2049:                             ;   in Loop: Header=BB12_1371 Depth=3
	v_bfe_u32 v5, v4, 16, 1
	v_add3_u32 v17, v4, v5, s46
                                        ; implicit-def: $vgpr4
; %bb.2050:                             ;   in Loop: Header=BB12_1371 Depth=3
	s_andn2_saveexec_b64 s[40:41], s[40:41]
	s_cbranch_execz .LBB12_2052
; %bb.2051:                             ;   in Loop: Header=BB12_1371 Depth=3
	buffer_load_dword v6, off, s[0:3], s33 offset:128 ; 4-byte Folded Reload
	buffer_load_dword v7, off, s[0:3], s33 offset:132 ; 4-byte Folded Reload
	v_or_b32_e32 v5, 0x10000, v4
	s_waitcnt vmcnt(1)
	v_cmp_eq_u32_sdwa vcc, v4, v6 src0_sel:WORD_0 src1_sel:DWORD
	v_cndmask_b32_e32 v17, v5, v4, vcc
.LBB12_2052:                            ;   in Loop: Header=BB12_1371 Depth=3
	s_or_b64 exec, exec, s[40:41]
	v_and_b32_e32 v4, 0xffff0000, v49
	v_mul_f32_e32 v4, v4, v3
	v_and_b32_e32 v5, 0x7f800000, v4
	v_cmp_ne_u32_e32 vcc, s97, v5
                                        ; implicit-def: $vgpr14
	s_and_saveexec_b64 s[40:41], vcc
	s_xor_b64 s[40:41], exec, s[40:41]
; %bb.2053:                             ;   in Loop: Header=BB12_1371 Depth=3
	v_bfe_u32 v5, v4, 16, 1
	v_add3_u32 v14, v4, v5, s46
                                        ; implicit-def: $vgpr4
; %bb.2054:                             ;   in Loop: Header=BB12_1371 Depth=3
	s_andn2_saveexec_b64 s[40:41], s[40:41]
	s_cbranch_execz .LBB12_2056
; %bb.2055:                             ;   in Loop: Header=BB12_1371 Depth=3
	buffer_load_dword v6, off, s[0:3], s33 offset:128 ; 4-byte Folded Reload
	buffer_load_dword v7, off, s[0:3], s33 offset:132 ; 4-byte Folded Reload
	v_or_b32_e32 v5, 0x10000, v4
	s_waitcnt vmcnt(1)
	v_cmp_eq_u32_sdwa vcc, v4, v6 src0_sel:WORD_0 src1_sel:DWORD
	v_cndmask_b32_e32 v14, v5, v4, vcc
.LBB12_2056:                            ;   in Loop: Header=BB12_1371 Depth=3
	s_or_b64 exec, exec, s[40:41]
	v_lshlrev_b32_e32 v4, 16, v50
	v_mul_f32_e32 v4, v4, v3
	v_and_b32_e32 v5, 0x7f800000, v4
	v_cmp_ne_u32_e32 vcc, s97, v5
                                        ; implicit-def: $vgpr15
	s_and_saveexec_b64 s[40:41], vcc
	s_xor_b64 s[40:41], exec, s[40:41]
; %bb.2057:                             ;   in Loop: Header=BB12_1371 Depth=3
	v_bfe_u32 v5, v4, 16, 1
	v_add3_u32 v15, v4, v5, s46
                                        ; implicit-def: $vgpr4
; %bb.2058:                             ;   in Loop: Header=BB12_1371 Depth=3
	s_andn2_saveexec_b64 s[40:41], s[40:41]
	s_cbranch_execz .LBB12_2060
; %bb.2059:                             ;   in Loop: Header=BB12_1371 Depth=3
	buffer_load_dword v6, off, s[0:3], s33 offset:128 ; 4-byte Folded Reload
	buffer_load_dword v7, off, s[0:3], s33 offset:132 ; 4-byte Folded Reload
	v_or_b32_e32 v5, 0x10000, v4
	s_waitcnt vmcnt(1)
	v_cmp_eq_u32_sdwa vcc, v4, v6 src0_sel:WORD_0 src1_sel:DWORD
	v_cndmask_b32_e32 v15, v5, v4, vcc
.LBB12_2060:                            ;   in Loop: Header=BB12_1371 Depth=3
	s_or_b64 exec, exec, s[40:41]
	v_and_b32_e32 v4, 0xffff0000, v50
	v_mul_f32_e32 v4, v4, v3
	v_and_b32_e32 v5, 0x7f800000, v4
	v_cmp_ne_u32_e32 vcc, s97, v5
                                        ; implicit-def: $vgpr12
	s_and_saveexec_b64 s[40:41], vcc
	s_xor_b64 s[40:41], exec, s[40:41]
; %bb.2061:                             ;   in Loop: Header=BB12_1371 Depth=3
	v_bfe_u32 v5, v4, 16, 1
	v_add3_u32 v12, v4, v5, s46
                                        ; implicit-def: $vgpr4
; %bb.2062:                             ;   in Loop: Header=BB12_1371 Depth=3
	s_andn2_saveexec_b64 s[40:41], s[40:41]
	s_cbranch_execz .LBB12_2064
; %bb.2063:                             ;   in Loop: Header=BB12_1371 Depth=3
	buffer_load_dword v6, off, s[0:3], s33 offset:128 ; 4-byte Folded Reload
	buffer_load_dword v7, off, s[0:3], s33 offset:132 ; 4-byte Folded Reload
	v_or_b32_e32 v5, 0x10000, v4
	s_waitcnt vmcnt(1)
	v_cmp_eq_u32_sdwa vcc, v4, v6 src0_sel:WORD_0 src1_sel:DWORD
	v_cndmask_b32_e32 v12, v5, v4, vcc
.LBB12_2064:                            ;   in Loop: Header=BB12_1371 Depth=3
	s_or_b64 exec, exec, s[40:41]
	v_lshlrev_b32_e32 v4, 16, v51
	v_mul_f32_e32 v4, v4, v3
	v_and_b32_e32 v5, 0x7f800000, v4
	v_cmp_ne_u32_e32 vcc, s97, v5
                                        ; implicit-def: $vgpr13
	s_and_saveexec_b64 s[40:41], vcc
	s_xor_b64 s[40:41], exec, s[40:41]
; %bb.2065:                             ;   in Loop: Header=BB12_1371 Depth=3
	v_bfe_u32 v5, v4, 16, 1
	v_add3_u32 v13, v4, v5, s46
                                        ; implicit-def: $vgpr4
; %bb.2066:                             ;   in Loop: Header=BB12_1371 Depth=3
	s_andn2_saveexec_b64 s[40:41], s[40:41]
	s_cbranch_execz .LBB12_2068
; %bb.2067:                             ;   in Loop: Header=BB12_1371 Depth=3
	buffer_load_dword v6, off, s[0:3], s33 offset:128 ; 4-byte Folded Reload
	buffer_load_dword v7, off, s[0:3], s33 offset:132 ; 4-byte Folded Reload
	v_or_b32_e32 v5, 0x10000, v4
	s_waitcnt vmcnt(1)
	v_cmp_eq_u32_sdwa vcc, v4, v6 src0_sel:WORD_0 src1_sel:DWORD
	v_cndmask_b32_e32 v13, v5, v4, vcc
.LBB12_2068:                            ;   in Loop: Header=BB12_1371 Depth=3
	s_or_b64 exec, exec, s[40:41]
	v_and_b32_e32 v4, 0xffff0000, v51
	v_mul_f32_e32 v4, v4, v3
	v_and_b32_e32 v5, 0x7f800000, v4
	v_cmp_ne_u32_e32 vcc, s97, v5
                                        ; implicit-def: $vgpr10
	s_and_saveexec_b64 s[40:41], vcc
	s_xor_b64 s[40:41], exec, s[40:41]
; %bb.2069:                             ;   in Loop: Header=BB12_1371 Depth=3
	v_bfe_u32 v5, v4, 16, 1
	v_add3_u32 v10, v4, v5, s46
                                        ; implicit-def: $vgpr4
; %bb.2070:                             ;   in Loop: Header=BB12_1371 Depth=3
	s_andn2_saveexec_b64 s[40:41], s[40:41]
	s_cbranch_execz .LBB12_2072
; %bb.2071:                             ;   in Loop: Header=BB12_1371 Depth=3
	buffer_load_dword v6, off, s[0:3], s33 offset:128 ; 4-byte Folded Reload
	buffer_load_dword v7, off, s[0:3], s33 offset:132 ; 4-byte Folded Reload
	v_or_b32_e32 v5, 0x10000, v4
	s_waitcnt vmcnt(1)
	v_cmp_eq_u32_sdwa vcc, v4, v6 src0_sel:WORD_0 src1_sel:DWORD
	v_cndmask_b32_e32 v10, v5, v4, vcc
.LBB12_2072:                            ;   in Loop: Header=BB12_1371 Depth=3
	s_or_b64 exec, exec, s[40:41]
	v_lshlrev_b32_e32 v4, 16, v24
	v_mul_f32_e32 v4, v4, v3
	v_and_b32_e32 v5, 0x7f800000, v4
	v_cmp_ne_u32_e32 vcc, s97, v5
                                        ; implicit-def: $vgpr11
	s_and_saveexec_b64 s[40:41], vcc
	s_xor_b64 s[40:41], exec, s[40:41]
; %bb.2073:                             ;   in Loop: Header=BB12_1371 Depth=3
	v_bfe_u32 v5, v4, 16, 1
	v_add3_u32 v11, v4, v5, s46
                                        ; implicit-def: $vgpr4
; %bb.2074:                             ;   in Loop: Header=BB12_1371 Depth=3
	s_andn2_saveexec_b64 s[40:41], s[40:41]
	s_cbranch_execz .LBB12_2076
; %bb.2075:                             ;   in Loop: Header=BB12_1371 Depth=3
	buffer_load_dword v6, off, s[0:3], s33 offset:128 ; 4-byte Folded Reload
	buffer_load_dword v7, off, s[0:3], s33 offset:132 ; 4-byte Folded Reload
	v_or_b32_e32 v5, 0x10000, v4
	s_waitcnt vmcnt(1)
	v_cmp_eq_u32_sdwa vcc, v4, v6 src0_sel:WORD_0 src1_sel:DWORD
	v_cndmask_b32_e32 v11, v5, v4, vcc
.LBB12_2076:                            ;   in Loop: Header=BB12_1371 Depth=3
	s_or_b64 exec, exec, s[40:41]
	v_and_b32_e32 v4, 0xffff0000, v24
	v_mul_f32_e32 v4, v4, v3
	v_and_b32_e32 v5, 0x7f800000, v4
	v_cmp_ne_u32_e32 vcc, s97, v5
                                        ; implicit-def: $vgpr8
	s_and_saveexec_b64 s[40:41], vcc
	s_xor_b64 s[40:41], exec, s[40:41]
; %bb.2077:                             ;   in Loop: Header=BB12_1371 Depth=3
	v_bfe_u32 v5, v4, 16, 1
	v_add3_u32 v8, v4, v5, s46
                                        ; implicit-def: $vgpr4
; %bb.2078:                             ;   in Loop: Header=BB12_1371 Depth=3
	s_andn2_saveexec_b64 s[40:41], s[40:41]
	s_cbranch_execz .LBB12_2080
; %bb.2079:                             ;   in Loop: Header=BB12_1371 Depth=3
	buffer_load_dword v6, off, s[0:3], s33 offset:128 ; 4-byte Folded Reload
	buffer_load_dword v7, off, s[0:3], s33 offset:132 ; 4-byte Folded Reload
	v_or_b32_e32 v5, 0x10000, v4
	s_waitcnt vmcnt(1)
	v_cmp_eq_u32_sdwa vcc, v4, v6 src0_sel:WORD_0 src1_sel:DWORD
	v_cndmask_b32_e32 v8, v5, v4, vcc
.LBB12_2080:                            ;   in Loop: Header=BB12_1371 Depth=3
	s_or_b64 exec, exec, s[40:41]
	v_lshlrev_b32_e32 v4, 16, v25
	v_mul_f32_e32 v4, v4, v3
	v_and_b32_e32 v5, 0x7f800000, v4
	v_cmp_ne_u32_e32 vcc, s97, v5
                                        ; implicit-def: $vgpr9
	s_and_saveexec_b64 s[40:41], vcc
	s_xor_b64 s[40:41], exec, s[40:41]
; %bb.2081:                             ;   in Loop: Header=BB12_1371 Depth=3
	v_bfe_u32 v5, v4, 16, 1
	v_add3_u32 v9, v4, v5, s46
                                        ; implicit-def: $vgpr4
; %bb.2082:                             ;   in Loop: Header=BB12_1371 Depth=3
	s_andn2_saveexec_b64 s[40:41], s[40:41]
	s_cbranch_execz .LBB12_2084
; %bb.2083:                             ;   in Loop: Header=BB12_1371 Depth=3
	buffer_load_dword v6, off, s[0:3], s33 offset:128 ; 4-byte Folded Reload
	buffer_load_dword v7, off, s[0:3], s33 offset:132 ; 4-byte Folded Reload
	v_or_b32_e32 v5, 0x10000, v4
	s_waitcnt vmcnt(1)
	v_cmp_eq_u32_sdwa vcc, v4, v6 src0_sel:WORD_0 src1_sel:DWORD
	v_cndmask_b32_e32 v9, v5, v4, vcc
.LBB12_2084:                            ;   in Loop: Header=BB12_1371 Depth=3
	s_or_b64 exec, exec, s[40:41]
	v_and_b32_e32 v4, 0xffff0000, v25
	v_mul_f32_e32 v4, v4, v3
	v_and_b32_e32 v5, 0x7f800000, v4
	v_cmp_ne_u32_e32 vcc, s97, v5
                                        ; implicit-def: $vgpr6
	s_and_saveexec_b64 s[40:41], vcc
	s_xor_b64 s[40:41], exec, s[40:41]
	s_cbranch_execz .LBB12_2086
; %bb.2085:                             ;   in Loop: Header=BB12_1371 Depth=3
	v_bfe_u32 v5, v4, 16, 1
	s_waitcnt vmcnt(0)
	v_add3_u32 v6, v4, v5, s46
                                        ; implicit-def: $vgpr4
.LBB12_2086:                            ;   in Loop: Header=BB12_1371 Depth=3
	s_andn2_saveexec_b64 s[40:41], s[40:41]
	s_cbranch_execz .LBB12_2088
; %bb.2087:                             ;   in Loop: Header=BB12_1371 Depth=3
	buffer_load_dword v6, off, s[0:3], s33 offset:128 ; 4-byte Folded Reload
	buffer_load_dword v7, off, s[0:3], s33 offset:132 ; 4-byte Folded Reload
	v_or_b32_e32 v5, 0x10000, v4
	s_waitcnt vmcnt(1)
	v_cmp_eq_u32_sdwa vcc, v4, v6 src0_sel:WORD_0 src1_sel:DWORD
	v_cndmask_b32_e32 v6, v5, v4, vcc
.LBB12_2088:                            ;   in Loop: Header=BB12_1371 Depth=3
	s_or_b64 exec, exec, s[40:41]
	v_lshlrev_b32_e32 v4, 16, v26
	v_mul_f32_e32 v4, v4, v3
	v_and_b32_e32 v5, 0x7f800000, v4
	v_cmp_ne_u32_e32 vcc, s97, v5
                                        ; implicit-def: $vgpr7
	s_and_saveexec_b64 s[40:41], vcc
	s_xor_b64 s[40:41], exec, s[40:41]
	s_cbranch_execz .LBB12_2090
; %bb.2089:                             ;   in Loop: Header=BB12_1371 Depth=3
	v_bfe_u32 v5, v4, 16, 1
	s_waitcnt vmcnt(0)
	v_add3_u32 v7, v4, v5, s46
                                        ; implicit-def: $vgpr4
.LBB12_2090:                            ;   in Loop: Header=BB12_1371 Depth=3
	s_andn2_saveexec_b64 s[40:41], s[40:41]
	s_cbranch_execz .LBB12_2092
; %bb.2091:                             ;   in Loop: Header=BB12_1371 Depth=3
	buffer_load_dword v24, off, s[0:3], s33 offset:128 ; 4-byte Folded Reload
	buffer_load_dword v25, off, s[0:3], s33 offset:132 ; 4-byte Folded Reload
	v_or_b32_e32 v5, 0x10000, v4
	s_waitcnt vmcnt(1)
	v_cmp_eq_u32_sdwa vcc, v4, v24 src0_sel:WORD_0 src1_sel:DWORD
	v_cndmask_b32_e32 v7, v5, v4, vcc
.LBB12_2092:                            ;   in Loop: Header=BB12_1371 Depth=3
	s_or_b64 exec, exec, s[40:41]
	v_and_b32_e32 v4, 0xffff0000, v26
	v_mul_f32_e32 v5, v4, v3
	v_and_b32_e32 v4, 0x7f800000, v5
	v_cmp_ne_u32_e32 vcc, s97, v4
                                        ; implicit-def: $vgpr4
	s_and_saveexec_b64 s[40:41], vcc
	s_xor_b64 s[40:41], exec, s[40:41]
; %bb.2093:                             ;   in Loop: Header=BB12_1371 Depth=3
	v_bfe_u32 v4, v5, 16, 1
	v_add3_u32 v4, v5, v4, s46
                                        ; implicit-def: $vgpr5
; %bb.2094:                             ;   in Loop: Header=BB12_1371 Depth=3
	s_andn2_saveexec_b64 s[40:41], s[40:41]
	s_cbranch_execz .LBB12_2096
; %bb.2095:                             ;   in Loop: Header=BB12_1371 Depth=3
	buffer_load_dword v24, off, s[0:3], s33 offset:128 ; 4-byte Folded Reload
	buffer_load_dword v25, off, s[0:3], s33 offset:132 ; 4-byte Folded Reload
	v_or_b32_e32 v4, 0x10000, v5
	s_waitcnt vmcnt(1)
	v_cmp_eq_u32_sdwa vcc, v5, v24 src0_sel:WORD_0 src1_sel:DWORD
	v_cndmask_b32_e32 v4, v4, v5, vcc
.LBB12_2096:                            ;   in Loop: Header=BB12_1371 Depth=3
	s_or_b64 exec, exec, s[40:41]
	v_lshlrev_b32_e32 v5, 16, v27
	v_mul_f32_e32 v24, v5, v3
	v_and_b32_e32 v5, 0x7f800000, v24
	v_cmp_ne_u32_e32 vcc, s97, v5
                                        ; implicit-def: $vgpr5
	s_and_saveexec_b64 s[40:41], vcc
	s_xor_b64 s[40:41], exec, s[40:41]
; %bb.2097:                             ;   in Loop: Header=BB12_1371 Depth=3
	v_bfe_u32 v5, v24, 16, 1
	v_add3_u32 v5, v24, v5, s46
                                        ; implicit-def: $vgpr24
; %bb.2098:                             ;   in Loop: Header=BB12_1371 Depth=3
	s_andn2_saveexec_b64 s[40:41], s[40:41]
	s_cbranch_execz .LBB12_2100
; %bb.2099:                             ;   in Loop: Header=BB12_1371 Depth=3
	buffer_load_dword v25, off, s[0:3], s33 offset:128 ; 4-byte Folded Reload
	buffer_load_dword v26, off, s[0:3], s33 offset:132 ; 4-byte Folded Reload
	v_or_b32_e32 v5, 0x10000, v24
	s_waitcnt vmcnt(1)
	v_cmp_eq_u32_sdwa vcc, v24, v25 src0_sel:WORD_0 src1_sel:DWORD
	v_cndmask_b32_e32 v5, v5, v24, vcc
.LBB12_2100:                            ;   in Loop: Header=BB12_1371 Depth=3
	s_or_b64 exec, exec, s[40:41]
	v_and_b32_e32 v24, 0xffff0000, v27
	v_mul_f32_e32 v24, v24, v3
	v_and_b32_e32 v3, 0x7f800000, v24
	v_cmp_ne_u32_e32 vcc, s97, v3
                                        ; implicit-def: $vgpr3
	s_and_saveexec_b64 s[40:41], vcc
	s_xor_b64 s[40:41], exec, s[40:41]
; %bb.2101:                             ;   in Loop: Header=BB12_1371 Depth=3
	v_bfe_u32 v3, v24, 16, 1
	v_add3_u32 v3, v24, v3, s46
                                        ; implicit-def: $vgpr24
; %bb.2102:                             ;   in Loop: Header=BB12_1371 Depth=3
	s_andn2_saveexec_b64 s[40:41], s[40:41]
	s_cbranch_execz .LBB12_2104
; %bb.2103:                             ;   in Loop: Header=BB12_1371 Depth=3
	buffer_load_dword v25, off, s[0:3], s33 offset:128 ; 4-byte Folded Reload
	buffer_load_dword v26, off, s[0:3], s33 offset:132 ; 4-byte Folded Reload
	v_or_b32_e32 v3, 0x10000, v24
	s_waitcnt vmcnt(1)
	v_cmp_eq_u32_sdwa vcc, v24, v25 src0_sel:WORD_0 src1_sel:DWORD
	v_cndmask_b32_e32 v3, v3, v24, vcc
.LBB12_2104:                            ;   in Loop: Header=BB12_1371 Depth=3
	s_or_b64 exec, exec, s[40:41]
	buffer_load_dword v24, off, s[0:3], s33 offset:216 ; 4-byte Folded Reload
	buffer_load_dword v25, off, s[0:3], s33 offset:220 ; 4-byte Folded Reload
	;; [unrolled: 1-line block ×4, first 2 shown]
	v_and_b32_e32 v2, 0xffff0000, v2
	s_waitcnt vmcnt(3)
	v_lshlrev_b32_e32 v24, 16, v24
	v_add_f32_e32 v24, v24, v2
	v_and_b32_e32 v2, 0x7f800000, v24
	v_cmp_ne_u32_e32 vcc, s97, v2
                                        ; implicit-def: $vgpr2
	s_and_saveexec_b64 s[40:41], vcc
	s_xor_b64 s[40:41], exec, s[40:41]
; %bb.2105:                             ;   in Loop: Header=BB12_1371 Depth=3
	v_bfe_u32 v2, v24, 16, 1
	v_add3_u32 v2, v24, v2, s46
                                        ; implicit-def: $vgpr24
; %bb.2106:                             ;   in Loop: Header=BB12_1371 Depth=3
	s_andn2_saveexec_b64 s[40:41], s[40:41]
	s_cbranch_execz .LBB12_2108
; %bb.2107:                             ;   in Loop: Header=BB12_1371 Depth=3
	buffer_load_dword v25, off, s[0:3], s33 offset:128 ; 4-byte Folded Reload
	buffer_load_dword v26, off, s[0:3], s33 offset:132 ; 4-byte Folded Reload
	v_or_b32_e32 v2, 0x10000, v24
	s_waitcnt vmcnt(1)
	v_cmp_eq_u32_sdwa vcc, v24, v25 src0_sel:WORD_0 src1_sel:DWORD
	v_cndmask_b32_e32 v2, v2, v24, vcc
.LBB12_2108:                            ;   in Loop: Header=BB12_1371 Depth=3
	s_or_b64 exec, exec, s[40:41]
	buffer_load_dword v24, off, s[0:3], s33 offset:216 ; 4-byte Folded Reload
	buffer_load_dword v25, off, s[0:3], s33 offset:220 ; 4-byte Folded Reload
	;; [unrolled: 1-line block ×4, first 2 shown]
	v_and_b32_e32 v22, 0xffff0000, v22
	s_waitcnt vmcnt(3)
	v_and_b32_e32 v24, 0xffff0000, v24
	v_add_f32_e32 v24, v24, v22
	v_and_b32_e32 v22, 0x7f800000, v24
	v_cmp_ne_u32_e32 vcc, s97, v22
                                        ; implicit-def: $vgpr22
	s_and_saveexec_b64 s[40:41], vcc
	s_xor_b64 s[40:41], exec, s[40:41]
; %bb.2109:                             ;   in Loop: Header=BB12_1371 Depth=3
	v_bfe_u32 v22, v24, 16, 1
	v_add3_u32 v22, v24, v22, s46
                                        ; implicit-def: $vgpr24
; %bb.2110:                             ;   in Loop: Header=BB12_1371 Depth=3
	s_andn2_saveexec_b64 s[40:41], s[40:41]
	s_cbranch_execz .LBB12_2112
; %bb.2111:                             ;   in Loop: Header=BB12_1371 Depth=3
	buffer_load_dword v25, off, s[0:3], s33 offset:128 ; 4-byte Folded Reload
	buffer_load_dword v26, off, s[0:3], s33 offset:132 ; 4-byte Folded Reload
	v_or_b32_e32 v22, 0x10000, v24
	s_waitcnt vmcnt(1)
	v_cmp_eq_u32_sdwa vcc, v24, v25 src0_sel:WORD_0 src1_sel:DWORD
	v_cndmask_b32_e32 v22, v22, v24, vcc
.LBB12_2112:                            ;   in Loop: Header=BB12_1371 Depth=3
	s_or_b64 exec, exec, s[40:41]
	buffer_load_dword v48, off, s[0:3], s33 offset:216 ; 4-byte Folded Reload
	buffer_load_dword v49, off, s[0:3], s33 offset:220 ; 4-byte Folded Reload
	;; [unrolled: 1-line block ×4, first 2 shown]
	v_and_b32_e32 v24, 0xffff0000, v37
	s_waitcnt vmcnt(2)
	v_lshlrev_b32_e32 v25, 16, v49
	v_add_f32_e32 v25, v25, v24
	v_and_b32_e32 v24, 0x7f800000, v25
	v_cmp_ne_u32_e32 vcc, s97, v24
                                        ; implicit-def: $vgpr24
	s_and_saveexec_b64 s[40:41], vcc
	s_xor_b64 s[40:41], exec, s[40:41]
; %bb.2113:                             ;   in Loop: Header=BB12_1371 Depth=3
	v_bfe_u32 v24, v25, 16, 1
	v_add3_u32 v24, v25, v24, s46
                                        ; implicit-def: $vgpr25
; %bb.2114:                             ;   in Loop: Header=BB12_1371 Depth=3
	s_andn2_saveexec_b64 s[40:41], s[40:41]
	s_cbranch_execz .LBB12_2116
; %bb.2115:                             ;   in Loop: Header=BB12_1371 Depth=3
	buffer_load_dword v26, off, s[0:3], s33 offset:128 ; 4-byte Folded Reload
	buffer_load_dword v27, off, s[0:3], s33 offset:132 ; 4-byte Folded Reload
	v_or_b32_e32 v24, 0x10000, v25
	s_waitcnt vmcnt(1)
	v_cmp_eq_u32_sdwa vcc, v25, v26 src0_sel:WORD_0 src1_sel:DWORD
	v_cndmask_b32_e32 v24, v24, v25, vcc
.LBB12_2116:                            ;   in Loop: Header=BB12_1371 Depth=3
	s_or_b64 exec, exec, s[40:41]
	buffer_load_dword v48, off, s[0:3], s33 offset:216 ; 4-byte Folded Reload
	buffer_load_dword v49, off, s[0:3], s33 offset:220 ; 4-byte Folded Reload
	;; [unrolled: 1-line block ×4, first 2 shown]
	v_and_b32_e32 v26, 0xffff0000, v35
	s_waitcnt vmcnt(2)
	v_and_b32_e32 v25, 0xffff0000, v49
	v_add_f32_e32 v26, v25, v26
	v_and_b32_e32 v25, 0x7f800000, v26
	v_cmp_ne_u32_e32 vcc, s97, v25
                                        ; implicit-def: $vgpr25
	s_and_saveexec_b64 s[40:41], vcc
	s_xor_b64 s[40:41], exec, s[40:41]
; %bb.2117:                             ;   in Loop: Header=BB12_1371 Depth=3
	v_bfe_u32 v25, v26, 16, 1
	v_add3_u32 v25, v26, v25, s46
                                        ; implicit-def: $vgpr26
; %bb.2118:                             ;   in Loop: Header=BB12_1371 Depth=3
	s_andn2_saveexec_b64 s[40:41], s[40:41]
	s_cbranch_execz .LBB12_2120
; %bb.2119:                             ;   in Loop: Header=BB12_1371 Depth=3
	buffer_load_dword v37, off, s[0:3], s33 offset:128 ; 4-byte Folded Reload
	buffer_load_dword v38, off, s[0:3], s33 offset:132 ; 4-byte Folded Reload
	v_or_b32_e32 v25, 0x10000, v26
	s_waitcnt vmcnt(1)
	v_cmp_eq_u32_sdwa vcc, v26, v37 src0_sel:WORD_0 src1_sel:DWORD
	v_cndmask_b32_e32 v25, v25, v26, vcc
.LBB12_2120:                            ;   in Loop: Header=BB12_1371 Depth=3
	s_or_b64 exec, exec, s[40:41]
	v_and_b32_e32 v26, 0xffff0000, v36
	buffer_load_dword v35, off, s[0:3], s33 offset:216 ; 4-byte Folded Reload
	buffer_load_dword v36, off, s[0:3], s33 offset:220 ; 4-byte Folded Reload
	;; [unrolled: 1-line block ×4, first 2 shown]
	s_waitcnt vmcnt(1)
	v_lshlrev_b32_e32 v27, 16, v37
	v_add_f32_e32 v27, v27, v26
	v_and_b32_e32 v26, 0x7f800000, v27
	v_cmp_ne_u32_e32 vcc, s97, v26
                                        ; implicit-def: $vgpr26
	s_and_saveexec_b64 s[40:41], vcc
	s_xor_b64 s[40:41], exec, s[40:41]
; %bb.2121:                             ;   in Loop: Header=BB12_1371 Depth=3
	v_bfe_u32 v26, v27, 16, 1
	v_add3_u32 v26, v27, v26, s46
                                        ; implicit-def: $vgpr27
; %bb.2122:                             ;   in Loop: Header=BB12_1371 Depth=3
	s_andn2_saveexec_b64 s[40:41], s[40:41]
	s_cbranch_execz .LBB12_2124
; %bb.2123:                             ;   in Loop: Header=BB12_1371 Depth=3
	buffer_load_dword v35, off, s[0:3], s33 offset:128 ; 4-byte Folded Reload
	buffer_load_dword v36, off, s[0:3], s33 offset:132 ; 4-byte Folded Reload
	v_or_b32_e32 v26, 0x10000, v27
	s_waitcnt vmcnt(1)
	v_cmp_eq_u32_sdwa vcc, v27, v35 src0_sel:WORD_0 src1_sel:DWORD
	v_cndmask_b32_e32 v26, v26, v27, vcc
.LBB12_2124:                            ;   in Loop: Header=BB12_1371 Depth=3
	s_or_b64 exec, exec, s[40:41]
	buffer_load_dword v35, off, s[0:3], s33 offset:216 ; 4-byte Folded Reload
	buffer_load_dword v36, off, s[0:3], s33 offset:220 ; 4-byte Folded Reload
	;; [unrolled: 1-line block ×4, first 2 shown]
	v_and_b32_e32 v33, 0xffff0000, v33
	s_waitcnt vmcnt(1)
	v_and_b32_e32 v27, 0xffff0000, v37
	v_add_f32_e32 v33, v27, v33
	v_and_b32_e32 v27, 0x7f800000, v33
	v_cmp_ne_u32_e32 vcc, s97, v27
                                        ; implicit-def: $vgpr27
	s_and_saveexec_b64 s[40:41], vcc
	s_xor_b64 s[40:41], exec, s[40:41]
; %bb.2125:                             ;   in Loop: Header=BB12_1371 Depth=3
	v_bfe_u32 v27, v33, 16, 1
	v_add3_u32 v27, v33, v27, s46
                                        ; implicit-def: $vgpr33
; %bb.2126:                             ;   in Loop: Header=BB12_1371 Depth=3
	s_andn2_saveexec_b64 s[40:41], s[40:41]
	s_cbranch_execz .LBB12_2128
; %bb.2127:                             ;   in Loop: Header=BB12_1371 Depth=3
	buffer_load_dword v35, off, s[0:3], s33 offset:128 ; 4-byte Folded Reload
	buffer_load_dword v36, off, s[0:3], s33 offset:132 ; 4-byte Folded Reload
	v_or_b32_e32 v27, 0x10000, v33
	s_waitcnt vmcnt(1)
	v_cmp_eq_u32_sdwa vcc, v33, v35 src0_sel:WORD_0 src1_sel:DWORD
	v_cndmask_b32_e32 v27, v27, v33, vcc
.LBB12_2128:                            ;   in Loop: Header=BB12_1371 Depth=3
	s_or_b64 exec, exec, s[40:41]
	v_and_b32_e32 v33, 0xffff0000, v34
	buffer_load_dword v34, off, s[0:3], s33 offset:216 ; 4-byte Folded Reload
	buffer_load_dword v35, off, s[0:3], s33 offset:220 ; 4-byte Folded Reload
	;; [unrolled: 1-line block ×4, first 2 shown]
	s_waitcnt vmcnt(0)
	v_lshlrev_b32_e32 v34, 16, v37
	v_add_f32_e32 v34, v34, v33
	v_and_b32_e32 v33, 0x7f800000, v34
	v_cmp_ne_u32_e32 vcc, s97, v33
                                        ; implicit-def: $vgpr33
	s_and_saveexec_b64 s[40:41], vcc
	s_xor_b64 s[40:41], exec, s[40:41]
; %bb.2129:                             ;   in Loop: Header=BB12_1371 Depth=3
	v_bfe_u32 v33, v34, 16, 1
	v_add3_u32 v33, v34, v33, s46
                                        ; implicit-def: $vgpr34
; %bb.2130:                             ;   in Loop: Header=BB12_1371 Depth=3
	s_andn2_saveexec_b64 s[40:41], s[40:41]
	s_cbranch_execz .LBB12_2132
; %bb.2131:                             ;   in Loop: Header=BB12_1371 Depth=3
	buffer_load_dword v35, off, s[0:3], s33 offset:128 ; 4-byte Folded Reload
	buffer_load_dword v36, off, s[0:3], s33 offset:132 ; 4-byte Folded Reload
	v_or_b32_e32 v33, 0x10000, v34
	s_waitcnt vmcnt(1)
	v_cmp_eq_u32_sdwa vcc, v34, v35 src0_sel:WORD_0 src1_sel:DWORD
	v_cndmask_b32_e32 v33, v33, v34, vcc
.LBB12_2132:                            ;   in Loop: Header=BB12_1371 Depth=3
	s_or_b64 exec, exec, s[40:41]
	buffer_load_dword v34, off, s[0:3], s33 offset:216 ; 4-byte Folded Reload
	buffer_load_dword v35, off, s[0:3], s33 offset:220 ; 4-byte Folded Reload
	;; [unrolled: 1-line block ×4, first 2 shown]
	v_and_b32_e32 v31, 0xffff0000, v31
	s_waitcnt vmcnt(0)
	v_and_b32_e32 v34, 0xffff0000, v37
	v_add_f32_e32 v34, v34, v31
	v_and_b32_e32 v31, 0x7f800000, v34
	v_cmp_ne_u32_e32 vcc, s97, v31
                                        ; implicit-def: $vgpr31
	s_and_saveexec_b64 s[40:41], vcc
	s_xor_b64 s[40:41], exec, s[40:41]
; %bb.2133:                             ;   in Loop: Header=BB12_1371 Depth=3
	v_bfe_u32 v31, v34, 16, 1
	v_add3_u32 v31, v34, v31, s46
                                        ; implicit-def: $vgpr34
; %bb.2134:                             ;   in Loop: Header=BB12_1371 Depth=3
	s_andn2_saveexec_b64 s[40:41], s[40:41]
	s_cbranch_execz .LBB12_2136
; %bb.2135:                             ;   in Loop: Header=BB12_1371 Depth=3
	buffer_load_dword v35, off, s[0:3], s33 offset:128 ; 4-byte Folded Reload
	buffer_load_dword v36, off, s[0:3], s33 offset:132 ; 4-byte Folded Reload
	v_or_b32_e32 v31, 0x10000, v34
	s_waitcnt vmcnt(1)
	v_cmp_eq_u32_sdwa vcc, v34, v35 src0_sel:WORD_0 src1_sel:DWORD
	v_cndmask_b32_e32 v31, v31, v34, vcc
.LBB12_2136:                            ;   in Loop: Header=BB12_1371 Depth=3
	s_or_b64 exec, exec, s[40:41]
	buffer_load_dword v34, off, s[0:3], s33 offset:200 ; 4-byte Folded Reload
	buffer_load_dword v35, off, s[0:3], s33 offset:204 ; 4-byte Folded Reload
	;; [unrolled: 1-line block ×4, first 2 shown]
	v_and_b32_e32 v32, 0xffff0000, v32
	s_waitcnt vmcnt(3)
	v_lshlrev_b32_e32 v34, 16, v34
	v_add_f32_e32 v34, v34, v32
	v_and_b32_e32 v32, 0x7f800000, v34
	v_cmp_ne_u32_e32 vcc, s97, v32
                                        ; implicit-def: $vgpr32
	s_and_saveexec_b64 s[40:41], vcc
	s_xor_b64 s[40:41], exec, s[40:41]
; %bb.2137:                             ;   in Loop: Header=BB12_1371 Depth=3
	v_bfe_u32 v32, v34, 16, 1
	v_add3_u32 v32, v34, v32, s46
                                        ; implicit-def: $vgpr34
; %bb.2138:                             ;   in Loop: Header=BB12_1371 Depth=3
	s_andn2_saveexec_b64 s[40:41], s[40:41]
	s_cbranch_execz .LBB12_2140
; %bb.2139:                             ;   in Loop: Header=BB12_1371 Depth=3
	buffer_load_dword v35, off, s[0:3], s33 offset:128 ; 4-byte Folded Reload
	buffer_load_dword v36, off, s[0:3], s33 offset:132 ; 4-byte Folded Reload
	v_or_b32_e32 v32, 0x10000, v34
	s_waitcnt vmcnt(1)
	v_cmp_eq_u32_sdwa vcc, v34, v35 src0_sel:WORD_0 src1_sel:DWORD
	v_cndmask_b32_e32 v32, v32, v34, vcc
.LBB12_2140:                            ;   in Loop: Header=BB12_1371 Depth=3
	s_or_b64 exec, exec, s[40:41]
	buffer_load_dword v34, off, s[0:3], s33 offset:200 ; 4-byte Folded Reload
	buffer_load_dword v35, off, s[0:3], s33 offset:204 ; 4-byte Folded Reload
	;; [unrolled: 1-line block ×4, first 2 shown]
	v_and_b32_e32 v29, 0xffff0000, v29
	s_waitcnt vmcnt(3)
	v_and_b32_e32 v34, 0xffff0000, v34
	v_add_f32_e32 v34, v34, v29
	v_and_b32_e32 v29, 0x7f800000, v34
	v_cmp_ne_u32_e32 vcc, s97, v29
                                        ; implicit-def: $vgpr29
	s_and_saveexec_b64 s[40:41], vcc
	s_xor_b64 s[40:41], exec, s[40:41]
; %bb.2141:                             ;   in Loop: Header=BB12_1371 Depth=3
	v_bfe_u32 v29, v34, 16, 1
	v_add3_u32 v29, v34, v29, s46
                                        ; implicit-def: $vgpr34
; %bb.2142:                             ;   in Loop: Header=BB12_1371 Depth=3
	s_andn2_saveexec_b64 s[40:41], s[40:41]
	s_cbranch_execz .LBB12_2144
; %bb.2143:                             ;   in Loop: Header=BB12_1371 Depth=3
	buffer_load_dword v35, off, s[0:3], s33 offset:128 ; 4-byte Folded Reload
	buffer_load_dword v36, off, s[0:3], s33 offset:132 ; 4-byte Folded Reload
	v_or_b32_e32 v29, 0x10000, v34
	s_waitcnt vmcnt(1)
	v_cmp_eq_u32_sdwa vcc, v34, v35 src0_sel:WORD_0 src1_sel:DWORD
	v_cndmask_b32_e32 v29, v29, v34, vcc
.LBB12_2144:                            ;   in Loop: Header=BB12_1371 Depth=3
	s_or_b64 exec, exec, s[40:41]
	buffer_load_dword v34, off, s[0:3], s33 offset:200 ; 4-byte Folded Reload
	buffer_load_dword v35, off, s[0:3], s33 offset:204 ; 4-byte Folded Reload
	;; [unrolled: 1-line block ×4, first 2 shown]
	v_and_b32_e32 v30, 0xffff0000, v30
	s_waitcnt vmcnt(2)
	v_lshlrev_b32_e32 v34, 16, v35
	v_add_f32_e32 v34, v34, v30
	v_and_b32_e32 v30, 0x7f800000, v34
	v_cmp_ne_u32_e32 vcc, s97, v30
                                        ; implicit-def: $vgpr30
	s_and_saveexec_b64 s[40:41], vcc
	s_xor_b64 s[40:41], exec, s[40:41]
; %bb.2145:                             ;   in Loop: Header=BB12_1371 Depth=3
	v_bfe_u32 v30, v34, 16, 1
	v_add3_u32 v30, v34, v30, s46
                                        ; implicit-def: $vgpr34
; %bb.2146:                             ;   in Loop: Header=BB12_1371 Depth=3
	s_andn2_saveexec_b64 s[40:41], s[40:41]
	s_cbranch_execz .LBB12_2148
; %bb.2147:                             ;   in Loop: Header=BB12_1371 Depth=3
	buffer_load_dword v35, off, s[0:3], s33 offset:128 ; 4-byte Folded Reload
	buffer_load_dword v36, off, s[0:3], s33 offset:132 ; 4-byte Folded Reload
	v_or_b32_e32 v30, 0x10000, v34
	s_waitcnt vmcnt(1)
	v_cmp_eq_u32_sdwa vcc, v34, v35 src0_sel:WORD_0 src1_sel:DWORD
	v_cndmask_b32_e32 v30, v30, v34, vcc
.LBB12_2148:                            ;   in Loop: Header=BB12_1371 Depth=3
	s_or_b64 exec, exec, s[40:41]
	buffer_load_dword v34, off, s[0:3], s33 offset:200 ; 4-byte Folded Reload
	buffer_load_dword v35, off, s[0:3], s33 offset:204 ; 4-byte Folded Reload
	;; [unrolled: 1-line block ×4, first 2 shown]
	v_and_b32_e32 v23, 0xffff0000, v23
	s_waitcnt vmcnt(2)
	v_and_b32_e32 v34, 0xffff0000, v35
	v_add_f32_e32 v34, v34, v23
	v_and_b32_e32 v23, 0x7f800000, v34
	v_cmp_ne_u32_e32 vcc, s97, v23
                                        ; implicit-def: $vgpr23
	s_and_saveexec_b64 s[40:41], vcc
	s_xor_b64 s[40:41], exec, s[40:41]
; %bb.2149:                             ;   in Loop: Header=BB12_1371 Depth=3
	v_bfe_u32 v23, v34, 16, 1
	v_add3_u32 v23, v34, v23, s46
                                        ; implicit-def: $vgpr34
; %bb.2150:                             ;   in Loop: Header=BB12_1371 Depth=3
	s_andn2_saveexec_b64 s[40:41], s[40:41]
	s_cbranch_execz .LBB12_2152
; %bb.2151:                             ;   in Loop: Header=BB12_1371 Depth=3
	buffer_load_dword v35, off, s[0:3], s33 offset:128 ; 4-byte Folded Reload
	buffer_load_dword v36, off, s[0:3], s33 offset:132 ; 4-byte Folded Reload
	v_or_b32_e32 v23, 0x10000, v34
	s_waitcnt vmcnt(1)
	v_cmp_eq_u32_sdwa vcc, v34, v35 src0_sel:WORD_0 src1_sel:DWORD
	v_cndmask_b32_e32 v23, v23, v34, vcc
.LBB12_2152:                            ;   in Loop: Header=BB12_1371 Depth=3
	s_or_b64 exec, exec, s[40:41]
	buffer_load_dword v34, off, s[0:3], s33 offset:200 ; 4-byte Folded Reload
	buffer_load_dword v35, off, s[0:3], s33 offset:204 ; 4-byte Folded Reload
	;; [unrolled: 1-line block ×4, first 2 shown]
	v_and_b32_e32 v28, 0xffff0000, v28
	s_waitcnt vmcnt(1)
	v_lshlrev_b32_e32 v34, 16, v36
	v_add_f32_e32 v34, v34, v28
	v_and_b32_e32 v28, 0x7f800000, v34
	v_cmp_ne_u32_e32 vcc, s97, v28
                                        ; implicit-def: $vgpr28
	s_and_saveexec_b64 s[40:41], vcc
	s_xor_b64 s[40:41], exec, s[40:41]
; %bb.2153:                             ;   in Loop: Header=BB12_1371 Depth=3
	v_bfe_u32 v28, v34, 16, 1
	v_add3_u32 v28, v34, v28, s46
                                        ; implicit-def: $vgpr34
; %bb.2154:                             ;   in Loop: Header=BB12_1371 Depth=3
	s_andn2_saveexec_b64 s[40:41], s[40:41]
	s_cbranch_execz .LBB12_2156
; %bb.2155:                             ;   in Loop: Header=BB12_1371 Depth=3
	buffer_load_dword v35, off, s[0:3], s33 offset:128 ; 4-byte Folded Reload
	buffer_load_dword v36, off, s[0:3], s33 offset:132 ; 4-byte Folded Reload
	v_or_b32_e32 v28, 0x10000, v34
	s_waitcnt vmcnt(1)
	v_cmp_eq_u32_sdwa vcc, v34, v35 src0_sel:WORD_0 src1_sel:DWORD
	v_cndmask_b32_e32 v28, v28, v34, vcc
.LBB12_2156:                            ;   in Loop: Header=BB12_1371 Depth=3
	s_or_b64 exec, exec, s[40:41]
	buffer_load_dword v34, off, s[0:3], s33 offset:200 ; 4-byte Folded Reload
	buffer_load_dword v35, off, s[0:3], s33 offset:204 ; 4-byte Folded Reload
	;; [unrolled: 1-line block ×4, first 2 shown]
	v_and_b32_e32 v20, 0xffff0000, v20
	s_waitcnt vmcnt(1)
	v_and_b32_e32 v34, 0xffff0000, v36
	v_add_f32_e32 v34, v34, v20
	v_and_b32_e32 v20, 0x7f800000, v34
	v_cmp_ne_u32_e32 vcc, s97, v20
                                        ; implicit-def: $vgpr20
	s_and_saveexec_b64 s[40:41], vcc
	s_xor_b64 s[40:41], exec, s[40:41]
; %bb.2157:                             ;   in Loop: Header=BB12_1371 Depth=3
	v_bfe_u32 v20, v34, 16, 1
	v_add3_u32 v20, v34, v20, s46
                                        ; implicit-def: $vgpr34
; %bb.2158:                             ;   in Loop: Header=BB12_1371 Depth=3
	s_andn2_saveexec_b64 s[40:41], s[40:41]
	s_cbranch_execz .LBB12_2160
; %bb.2159:                             ;   in Loop: Header=BB12_1371 Depth=3
	buffer_load_dword v35, off, s[0:3], s33 offset:128 ; 4-byte Folded Reload
	buffer_load_dword v36, off, s[0:3], s33 offset:132 ; 4-byte Folded Reload
	v_or_b32_e32 v20, 0x10000, v34
	s_waitcnt vmcnt(1)
	v_cmp_eq_u32_sdwa vcc, v34, v35 src0_sel:WORD_0 src1_sel:DWORD
	v_cndmask_b32_e32 v20, v20, v34, vcc
.LBB12_2160:                            ;   in Loop: Header=BB12_1371 Depth=3
	s_or_b64 exec, exec, s[40:41]
	buffer_load_dword v34, off, s[0:3], s33 offset:200 ; 4-byte Folded Reload
	buffer_load_dword v35, off, s[0:3], s33 offset:204 ; 4-byte Folded Reload
	buffer_load_dword v36, off, s[0:3], s33 offset:208 ; 4-byte Folded Reload
	buffer_load_dword v37, off, s[0:3], s33 offset:212 ; 4-byte Folded Reload
	v_and_b32_e32 v21, 0xffff0000, v21
	s_waitcnt vmcnt(0)
	v_lshlrev_b32_e32 v34, 16, v37
	v_add_f32_e32 v34, v34, v21
	v_and_b32_e32 v21, 0x7f800000, v34
	v_cmp_ne_u32_e32 vcc, s97, v21
                                        ; implicit-def: $vgpr21
	s_and_saveexec_b64 s[40:41], vcc
	s_xor_b64 s[40:41], exec, s[40:41]
; %bb.2161:                             ;   in Loop: Header=BB12_1371 Depth=3
	v_bfe_u32 v21, v34, 16, 1
	v_add3_u32 v21, v34, v21, s46
                                        ; implicit-def: $vgpr34
; %bb.2162:                             ;   in Loop: Header=BB12_1371 Depth=3
	s_andn2_saveexec_b64 s[40:41], s[40:41]
	s_cbranch_execz .LBB12_2164
; %bb.2163:                             ;   in Loop: Header=BB12_1371 Depth=3
	buffer_load_dword v35, off, s[0:3], s33 offset:128 ; 4-byte Folded Reload
	buffer_load_dword v36, off, s[0:3], s33 offset:132 ; 4-byte Folded Reload
	v_or_b32_e32 v21, 0x10000, v34
	s_waitcnt vmcnt(1)
	v_cmp_eq_u32_sdwa vcc, v34, v35 src0_sel:WORD_0 src1_sel:DWORD
	v_cndmask_b32_e32 v21, v21, v34, vcc
.LBB12_2164:                            ;   in Loop: Header=BB12_1371 Depth=3
	s_or_b64 exec, exec, s[40:41]
	buffer_load_dword v34, off, s[0:3], s33 offset:200 ; 4-byte Folded Reload
	buffer_load_dword v35, off, s[0:3], s33 offset:204 ; 4-byte Folded Reload
	;; [unrolled: 1-line block ×4, first 2 shown]
	v_and_b32_e32 v18, 0xffff0000, v18
	s_waitcnt vmcnt(0)
	v_and_b32_e32 v34, 0xffff0000, v37
	v_add_f32_e32 v34, v34, v18
	v_and_b32_e32 v18, 0x7f800000, v34
	v_cmp_ne_u32_e32 vcc, s97, v18
                                        ; implicit-def: $vgpr18
	s_and_saveexec_b64 s[40:41], vcc
	s_xor_b64 s[40:41], exec, s[40:41]
; %bb.2165:                             ;   in Loop: Header=BB12_1371 Depth=3
	v_bfe_u32 v18, v34, 16, 1
	v_add3_u32 v18, v34, v18, s46
                                        ; implicit-def: $vgpr34
; %bb.2166:                             ;   in Loop: Header=BB12_1371 Depth=3
	s_andn2_saveexec_b64 s[40:41], s[40:41]
	s_cbranch_execz .LBB12_2168
; %bb.2167:                             ;   in Loop: Header=BB12_1371 Depth=3
	buffer_load_dword v35, off, s[0:3], s33 offset:128 ; 4-byte Folded Reload
	buffer_load_dword v36, off, s[0:3], s33 offset:132 ; 4-byte Folded Reload
	v_or_b32_e32 v18, 0x10000, v34
	s_waitcnt vmcnt(1)
	v_cmp_eq_u32_sdwa vcc, v34, v35 src0_sel:WORD_0 src1_sel:DWORD
	v_cndmask_b32_e32 v18, v18, v34, vcc
.LBB12_2168:                            ;   in Loop: Header=BB12_1371 Depth=3
	s_or_b64 exec, exec, s[40:41]
	buffer_load_dword v34, off, s[0:3], s33 offset:184 ; 4-byte Folded Reload
	buffer_load_dword v35, off, s[0:3], s33 offset:188 ; 4-byte Folded Reload
	;; [unrolled: 1-line block ×4, first 2 shown]
	v_and_b32_e32 v19, 0xffff0000, v19
	s_waitcnt vmcnt(3)
	v_lshlrev_b32_e32 v34, 16, v34
	v_add_f32_e32 v34, v34, v19
	v_and_b32_e32 v19, 0x7f800000, v34
	v_cmp_ne_u32_e32 vcc, s97, v19
                                        ; implicit-def: $vgpr19
	s_and_saveexec_b64 s[40:41], vcc
	s_xor_b64 s[40:41], exec, s[40:41]
; %bb.2169:                             ;   in Loop: Header=BB12_1371 Depth=3
	v_bfe_u32 v19, v34, 16, 1
	v_add3_u32 v19, v34, v19, s46
                                        ; implicit-def: $vgpr34
; %bb.2170:                             ;   in Loop: Header=BB12_1371 Depth=3
	s_andn2_saveexec_b64 s[40:41], s[40:41]
	s_cbranch_execz .LBB12_2172
; %bb.2171:                             ;   in Loop: Header=BB12_1371 Depth=3
	buffer_load_dword v35, off, s[0:3], s33 offset:128 ; 4-byte Folded Reload
	buffer_load_dword v36, off, s[0:3], s33 offset:132 ; 4-byte Folded Reload
	v_or_b32_e32 v19, 0x10000, v34
	s_waitcnt vmcnt(1)
	v_cmp_eq_u32_sdwa vcc, v34, v35 src0_sel:WORD_0 src1_sel:DWORD
	v_cndmask_b32_e32 v19, v19, v34, vcc
.LBB12_2172:                            ;   in Loop: Header=BB12_1371 Depth=3
	s_or_b64 exec, exec, s[40:41]
	buffer_load_dword v34, off, s[0:3], s33 offset:184 ; 4-byte Folded Reload
	buffer_load_dword v35, off, s[0:3], s33 offset:188 ; 4-byte Folded Reload
	;; [unrolled: 1-line block ×4, first 2 shown]
	v_and_b32_e32 v16, 0xffff0000, v16
	s_waitcnt vmcnt(3)
	v_and_b32_e32 v34, 0xffff0000, v34
	v_add_f32_e32 v34, v34, v16
	v_and_b32_e32 v16, 0x7f800000, v34
	v_cmp_ne_u32_e32 vcc, s97, v16
                                        ; implicit-def: $vgpr16
	s_and_saveexec_b64 s[40:41], vcc
	s_xor_b64 s[40:41], exec, s[40:41]
; %bb.2173:                             ;   in Loop: Header=BB12_1371 Depth=3
	v_bfe_u32 v16, v34, 16, 1
	v_add3_u32 v16, v34, v16, s46
                                        ; implicit-def: $vgpr34
; %bb.2174:                             ;   in Loop: Header=BB12_1371 Depth=3
	s_andn2_saveexec_b64 s[40:41], s[40:41]
	s_cbranch_execz .LBB12_2176
; %bb.2175:                             ;   in Loop: Header=BB12_1371 Depth=3
	buffer_load_dword v35, off, s[0:3], s33 offset:128 ; 4-byte Folded Reload
	buffer_load_dword v36, off, s[0:3], s33 offset:132 ; 4-byte Folded Reload
	v_or_b32_e32 v16, 0x10000, v34
	s_waitcnt vmcnt(1)
	v_cmp_eq_u32_sdwa vcc, v34, v35 src0_sel:WORD_0 src1_sel:DWORD
	v_cndmask_b32_e32 v16, v16, v34, vcc
.LBB12_2176:                            ;   in Loop: Header=BB12_1371 Depth=3
	s_or_b64 exec, exec, s[40:41]
	buffer_load_dword v34, off, s[0:3], s33 offset:184 ; 4-byte Folded Reload
	buffer_load_dword v35, off, s[0:3], s33 offset:188 ; 4-byte Folded Reload
	;; [unrolled: 1-line block ×4, first 2 shown]
	v_and_b32_e32 v17, 0xffff0000, v17
	s_waitcnt vmcnt(2)
	v_lshlrev_b32_e32 v34, 16, v35
	v_add_f32_e32 v34, v34, v17
	v_and_b32_e32 v17, 0x7f800000, v34
	v_cmp_ne_u32_e32 vcc, s97, v17
                                        ; implicit-def: $vgpr17
	s_and_saveexec_b64 s[40:41], vcc
	s_xor_b64 s[40:41], exec, s[40:41]
; %bb.2177:                             ;   in Loop: Header=BB12_1371 Depth=3
	v_bfe_u32 v17, v34, 16, 1
	v_add3_u32 v17, v34, v17, s46
                                        ; implicit-def: $vgpr34
; %bb.2178:                             ;   in Loop: Header=BB12_1371 Depth=3
	s_andn2_saveexec_b64 s[40:41], s[40:41]
	s_cbranch_execz .LBB12_2180
; %bb.2179:                             ;   in Loop: Header=BB12_1371 Depth=3
	buffer_load_dword v35, off, s[0:3], s33 offset:128 ; 4-byte Folded Reload
	buffer_load_dword v36, off, s[0:3], s33 offset:132 ; 4-byte Folded Reload
	v_or_b32_e32 v17, 0x10000, v34
	s_waitcnt vmcnt(1)
	v_cmp_eq_u32_sdwa vcc, v34, v35 src0_sel:WORD_0 src1_sel:DWORD
	v_cndmask_b32_e32 v17, v17, v34, vcc
.LBB12_2180:                            ;   in Loop: Header=BB12_1371 Depth=3
	s_or_b64 exec, exec, s[40:41]
	buffer_load_dword v34, off, s[0:3], s33 offset:184 ; 4-byte Folded Reload
	buffer_load_dword v35, off, s[0:3], s33 offset:188 ; 4-byte Folded Reload
	;; [unrolled: 1-line block ×4, first 2 shown]
	v_and_b32_e32 v14, 0xffff0000, v14
	s_waitcnt vmcnt(2)
	v_and_b32_e32 v34, 0xffff0000, v35
	v_add_f32_e32 v34, v34, v14
	v_and_b32_e32 v14, 0x7f800000, v34
	v_cmp_ne_u32_e32 vcc, s97, v14
                                        ; implicit-def: $vgpr14
	s_and_saveexec_b64 s[40:41], vcc
	s_xor_b64 s[40:41], exec, s[40:41]
; %bb.2181:                             ;   in Loop: Header=BB12_1371 Depth=3
	v_bfe_u32 v14, v34, 16, 1
	v_add3_u32 v14, v34, v14, s46
                                        ; implicit-def: $vgpr34
; %bb.2182:                             ;   in Loop: Header=BB12_1371 Depth=3
	s_andn2_saveexec_b64 s[40:41], s[40:41]
	s_cbranch_execz .LBB12_2184
; %bb.2183:                             ;   in Loop: Header=BB12_1371 Depth=3
	buffer_load_dword v35, off, s[0:3], s33 offset:128 ; 4-byte Folded Reload
	buffer_load_dword v36, off, s[0:3], s33 offset:132 ; 4-byte Folded Reload
	v_or_b32_e32 v14, 0x10000, v34
	s_waitcnt vmcnt(1)
	v_cmp_eq_u32_sdwa vcc, v34, v35 src0_sel:WORD_0 src1_sel:DWORD
	v_cndmask_b32_e32 v14, v14, v34, vcc
.LBB12_2184:                            ;   in Loop: Header=BB12_1371 Depth=3
	s_or_b64 exec, exec, s[40:41]
	buffer_load_dword v34, off, s[0:3], s33 offset:184 ; 4-byte Folded Reload
	buffer_load_dword v35, off, s[0:3], s33 offset:188 ; 4-byte Folded Reload
	;; [unrolled: 1-line block ×4, first 2 shown]
	v_and_b32_e32 v15, 0xffff0000, v15
	s_waitcnt vmcnt(1)
	v_lshlrev_b32_e32 v34, 16, v36
	v_add_f32_e32 v34, v34, v15
	v_and_b32_e32 v15, 0x7f800000, v34
	v_cmp_ne_u32_e32 vcc, s97, v15
                                        ; implicit-def: $vgpr15
	s_and_saveexec_b64 s[40:41], vcc
	s_xor_b64 s[40:41], exec, s[40:41]
; %bb.2185:                             ;   in Loop: Header=BB12_1371 Depth=3
	v_bfe_u32 v15, v34, 16, 1
	v_add3_u32 v15, v34, v15, s46
                                        ; implicit-def: $vgpr34
; %bb.2186:                             ;   in Loop: Header=BB12_1371 Depth=3
	s_andn2_saveexec_b64 s[40:41], s[40:41]
	s_cbranch_execz .LBB12_2188
; %bb.2187:                             ;   in Loop: Header=BB12_1371 Depth=3
	buffer_load_dword v35, off, s[0:3], s33 offset:128 ; 4-byte Folded Reload
	buffer_load_dword v36, off, s[0:3], s33 offset:132 ; 4-byte Folded Reload
	v_or_b32_e32 v15, 0x10000, v34
	s_waitcnt vmcnt(1)
	v_cmp_eq_u32_sdwa vcc, v34, v35 src0_sel:WORD_0 src1_sel:DWORD
	v_cndmask_b32_e32 v15, v15, v34, vcc
.LBB12_2188:                            ;   in Loop: Header=BB12_1371 Depth=3
	s_or_b64 exec, exec, s[40:41]
	buffer_load_dword v34, off, s[0:3], s33 offset:184 ; 4-byte Folded Reload
	buffer_load_dword v35, off, s[0:3], s33 offset:188 ; 4-byte Folded Reload
	;; [unrolled: 1-line block ×4, first 2 shown]
	v_and_b32_e32 v12, 0xffff0000, v12
	s_waitcnt vmcnt(1)
	v_and_b32_e32 v34, 0xffff0000, v36
	v_add_f32_e32 v34, v34, v12
	v_and_b32_e32 v12, 0x7f800000, v34
	v_cmp_ne_u32_e32 vcc, s97, v12
                                        ; implicit-def: $vgpr12
	s_and_saveexec_b64 s[40:41], vcc
	s_xor_b64 s[40:41], exec, s[40:41]
; %bb.2189:                             ;   in Loop: Header=BB12_1371 Depth=3
	v_bfe_u32 v12, v34, 16, 1
	v_add3_u32 v12, v34, v12, s46
                                        ; implicit-def: $vgpr34
; %bb.2190:                             ;   in Loop: Header=BB12_1371 Depth=3
	s_andn2_saveexec_b64 s[40:41], s[40:41]
	s_cbranch_execz .LBB12_2192
; %bb.2191:                             ;   in Loop: Header=BB12_1371 Depth=3
	buffer_load_dword v35, off, s[0:3], s33 offset:128 ; 4-byte Folded Reload
	buffer_load_dword v36, off, s[0:3], s33 offset:132 ; 4-byte Folded Reload
	v_or_b32_e32 v12, 0x10000, v34
	s_waitcnt vmcnt(1)
	v_cmp_eq_u32_sdwa vcc, v34, v35 src0_sel:WORD_0 src1_sel:DWORD
	v_cndmask_b32_e32 v12, v12, v34, vcc
.LBB12_2192:                            ;   in Loop: Header=BB12_1371 Depth=3
	s_or_b64 exec, exec, s[40:41]
	buffer_load_dword v34, off, s[0:3], s33 offset:184 ; 4-byte Folded Reload
	buffer_load_dword v35, off, s[0:3], s33 offset:188 ; 4-byte Folded Reload
	;; [unrolled: 1-line block ×4, first 2 shown]
	v_and_b32_e32 v13, 0xffff0000, v13
	s_waitcnt vmcnt(0)
	v_lshlrev_b32_e32 v34, 16, v37
	v_add_f32_e32 v34, v34, v13
	v_and_b32_e32 v13, 0x7f800000, v34
	v_cmp_ne_u32_e32 vcc, s97, v13
                                        ; implicit-def: $vgpr13
	s_and_saveexec_b64 s[40:41], vcc
	s_xor_b64 s[40:41], exec, s[40:41]
; %bb.2193:                             ;   in Loop: Header=BB12_1371 Depth=3
	v_bfe_u32 v13, v34, 16, 1
	v_add3_u32 v13, v34, v13, s46
                                        ; implicit-def: $vgpr34
; %bb.2194:                             ;   in Loop: Header=BB12_1371 Depth=3
	s_andn2_saveexec_b64 s[40:41], s[40:41]
	s_cbranch_execz .LBB12_2196
; %bb.2195:                             ;   in Loop: Header=BB12_1371 Depth=3
	buffer_load_dword v35, off, s[0:3], s33 offset:128 ; 4-byte Folded Reload
	buffer_load_dword v36, off, s[0:3], s33 offset:132 ; 4-byte Folded Reload
	v_or_b32_e32 v13, 0x10000, v34
	s_waitcnt vmcnt(1)
	v_cmp_eq_u32_sdwa vcc, v34, v35 src0_sel:WORD_0 src1_sel:DWORD
	v_cndmask_b32_e32 v13, v13, v34, vcc
.LBB12_2196:                            ;   in Loop: Header=BB12_1371 Depth=3
	s_or_b64 exec, exec, s[40:41]
	buffer_load_dword v34, off, s[0:3], s33 offset:184 ; 4-byte Folded Reload
	buffer_load_dword v35, off, s[0:3], s33 offset:188 ; 4-byte Folded Reload
	;; [unrolled: 1-line block ×4, first 2 shown]
	v_and_b32_e32 v10, 0xffff0000, v10
	s_waitcnt vmcnt(0)
	v_and_b32_e32 v34, 0xffff0000, v37
	v_add_f32_e32 v34, v34, v10
	v_and_b32_e32 v10, 0x7f800000, v34
	v_cmp_ne_u32_e32 vcc, s97, v10
                                        ; implicit-def: $vgpr10
	s_and_saveexec_b64 s[40:41], vcc
	s_xor_b64 s[40:41], exec, s[40:41]
; %bb.2197:                             ;   in Loop: Header=BB12_1371 Depth=3
	v_bfe_u32 v10, v34, 16, 1
	v_add3_u32 v10, v34, v10, s46
                                        ; implicit-def: $vgpr34
; %bb.2198:                             ;   in Loop: Header=BB12_1371 Depth=3
	s_andn2_saveexec_b64 s[40:41], s[40:41]
	s_cbranch_execz .LBB12_2200
; %bb.2199:                             ;   in Loop: Header=BB12_1371 Depth=3
	buffer_load_dword v35, off, s[0:3], s33 offset:128 ; 4-byte Folded Reload
	buffer_load_dword v36, off, s[0:3], s33 offset:132 ; 4-byte Folded Reload
	v_or_b32_e32 v10, 0x10000, v34
	s_waitcnt vmcnt(1)
	v_cmp_eq_u32_sdwa vcc, v34, v35 src0_sel:WORD_0 src1_sel:DWORD
	v_cndmask_b32_e32 v10, v10, v34, vcc
.LBB12_2200:                            ;   in Loop: Header=BB12_1371 Depth=3
	s_or_b64 exec, exec, s[40:41]
	buffer_load_dword v34, off, s[0:3], s33 offset:168 ; 4-byte Folded Reload
	buffer_load_dword v35, off, s[0:3], s33 offset:172 ; 4-byte Folded Reload
	;; [unrolled: 1-line block ×4, first 2 shown]
	v_and_b32_e32 v11, 0xffff0000, v11
	s_waitcnt vmcnt(3)
	v_lshlrev_b32_e32 v34, 16, v34
	v_add_f32_e32 v34, v34, v11
	v_and_b32_e32 v11, 0x7f800000, v34
	v_cmp_ne_u32_e32 vcc, s97, v11
                                        ; implicit-def: $vgpr11
	s_and_saveexec_b64 s[40:41], vcc
	s_xor_b64 s[40:41], exec, s[40:41]
; %bb.2201:                             ;   in Loop: Header=BB12_1371 Depth=3
	v_bfe_u32 v11, v34, 16, 1
	v_add3_u32 v11, v34, v11, s46
                                        ; implicit-def: $vgpr34
; %bb.2202:                             ;   in Loop: Header=BB12_1371 Depth=3
	s_andn2_saveexec_b64 s[40:41], s[40:41]
	s_cbranch_execz .LBB12_2204
; %bb.2203:                             ;   in Loop: Header=BB12_1371 Depth=3
	buffer_load_dword v35, off, s[0:3], s33 offset:128 ; 4-byte Folded Reload
	buffer_load_dword v36, off, s[0:3], s33 offset:132 ; 4-byte Folded Reload
	v_or_b32_e32 v11, 0x10000, v34
	s_waitcnt vmcnt(1)
	v_cmp_eq_u32_sdwa vcc, v34, v35 src0_sel:WORD_0 src1_sel:DWORD
	v_cndmask_b32_e32 v11, v11, v34, vcc
.LBB12_2204:                            ;   in Loop: Header=BB12_1371 Depth=3
	s_or_b64 exec, exec, s[40:41]
	buffer_load_dword v34, off, s[0:3], s33 offset:168 ; 4-byte Folded Reload
	buffer_load_dword v35, off, s[0:3], s33 offset:172 ; 4-byte Folded Reload
	;; [unrolled: 1-line block ×4, first 2 shown]
	v_and_b32_e32 v8, 0xffff0000, v8
	s_waitcnt vmcnt(3)
	v_and_b32_e32 v34, 0xffff0000, v34
	v_add_f32_e32 v34, v34, v8
	v_and_b32_e32 v8, 0x7f800000, v34
	v_cmp_ne_u32_e32 vcc, s97, v8
                                        ; implicit-def: $vgpr8
	s_and_saveexec_b64 s[40:41], vcc
	s_xor_b64 s[40:41], exec, s[40:41]
; %bb.2205:                             ;   in Loop: Header=BB12_1371 Depth=3
	v_bfe_u32 v8, v34, 16, 1
	v_add3_u32 v8, v34, v8, s46
                                        ; implicit-def: $vgpr34
; %bb.2206:                             ;   in Loop: Header=BB12_1371 Depth=3
	s_andn2_saveexec_b64 s[40:41], s[40:41]
	s_cbranch_execz .LBB12_2208
; %bb.2207:                             ;   in Loop: Header=BB12_1371 Depth=3
	buffer_load_dword v35, off, s[0:3], s33 offset:128 ; 4-byte Folded Reload
	buffer_load_dword v36, off, s[0:3], s33 offset:132 ; 4-byte Folded Reload
	v_or_b32_e32 v8, 0x10000, v34
	s_waitcnt vmcnt(1)
	v_cmp_eq_u32_sdwa vcc, v34, v35 src0_sel:WORD_0 src1_sel:DWORD
	v_cndmask_b32_e32 v8, v8, v34, vcc
.LBB12_2208:                            ;   in Loop: Header=BB12_1371 Depth=3
	s_or_b64 exec, exec, s[40:41]
	buffer_load_dword v34, off, s[0:3], s33 offset:168 ; 4-byte Folded Reload
	buffer_load_dword v35, off, s[0:3], s33 offset:172 ; 4-byte Folded Reload
	buffer_load_dword v36, off, s[0:3], s33 offset:176 ; 4-byte Folded Reload
	buffer_load_dword v37, off, s[0:3], s33 offset:180 ; 4-byte Folded Reload
	v_and_b32_e32 v9, 0xffff0000, v9
	s_waitcnt vmcnt(2)
	v_lshlrev_b32_e32 v34, 16, v35
	v_add_f32_e32 v34, v34, v9
	v_and_b32_e32 v9, 0x7f800000, v34
	v_cmp_ne_u32_e32 vcc, s97, v9
                                        ; implicit-def: $vgpr9
	s_and_saveexec_b64 s[40:41], vcc
	s_xor_b64 s[40:41], exec, s[40:41]
; %bb.2209:                             ;   in Loop: Header=BB12_1371 Depth=3
	v_bfe_u32 v9, v34, 16, 1
	v_add3_u32 v9, v34, v9, s46
                                        ; implicit-def: $vgpr34
; %bb.2210:                             ;   in Loop: Header=BB12_1371 Depth=3
	s_andn2_saveexec_b64 s[40:41], s[40:41]
	s_cbranch_execz .LBB12_2212
; %bb.2211:                             ;   in Loop: Header=BB12_1371 Depth=3
	buffer_load_dword v35, off, s[0:3], s33 offset:128 ; 4-byte Folded Reload
	buffer_load_dword v36, off, s[0:3], s33 offset:132 ; 4-byte Folded Reload
	v_or_b32_e32 v9, 0x10000, v34
	s_waitcnt vmcnt(1)
	v_cmp_eq_u32_sdwa vcc, v34, v35 src0_sel:WORD_0 src1_sel:DWORD
	v_cndmask_b32_e32 v9, v9, v34, vcc
.LBB12_2212:                            ;   in Loop: Header=BB12_1371 Depth=3
	s_or_b64 exec, exec, s[40:41]
	buffer_load_dword v34, off, s[0:3], s33 offset:168 ; 4-byte Folded Reload
	buffer_load_dword v35, off, s[0:3], s33 offset:172 ; 4-byte Folded Reload
	;; [unrolled: 1-line block ×4, first 2 shown]
	v_and_b32_e32 v6, 0xffff0000, v6
	s_waitcnt vmcnt(2)
	v_and_b32_e32 v34, 0xffff0000, v35
	v_add_f32_e32 v34, v34, v6
	v_and_b32_e32 v6, 0x7f800000, v34
	v_cmp_ne_u32_e32 vcc, s97, v6
                                        ; implicit-def: $vgpr6
	s_and_saveexec_b64 s[40:41], vcc
	s_xor_b64 s[40:41], exec, s[40:41]
; %bb.2213:                             ;   in Loop: Header=BB12_1371 Depth=3
	v_bfe_u32 v6, v34, 16, 1
	v_add3_u32 v6, v34, v6, s46
                                        ; implicit-def: $vgpr34
; %bb.2214:                             ;   in Loop: Header=BB12_1371 Depth=3
	s_andn2_saveexec_b64 s[40:41], s[40:41]
	s_cbranch_execz .LBB12_2216
; %bb.2215:                             ;   in Loop: Header=BB12_1371 Depth=3
	buffer_load_dword v35, off, s[0:3], s33 offset:128 ; 4-byte Folded Reload
	buffer_load_dword v36, off, s[0:3], s33 offset:132 ; 4-byte Folded Reload
	v_or_b32_e32 v6, 0x10000, v34
	s_waitcnt vmcnt(1)
	v_cmp_eq_u32_sdwa vcc, v34, v35 src0_sel:WORD_0 src1_sel:DWORD
	v_cndmask_b32_e32 v6, v6, v34, vcc
.LBB12_2216:                            ;   in Loop: Header=BB12_1371 Depth=3
	s_or_b64 exec, exec, s[40:41]
	buffer_load_dword v34, off, s[0:3], s33 offset:168 ; 4-byte Folded Reload
	buffer_load_dword v35, off, s[0:3], s33 offset:172 ; 4-byte Folded Reload
	;; [unrolled: 1-line block ×4, first 2 shown]
	v_and_b32_e32 v7, 0xffff0000, v7
	s_waitcnt vmcnt(1)
	v_lshlrev_b32_e32 v34, 16, v36
	v_add_f32_e32 v34, v34, v7
	v_and_b32_e32 v7, 0x7f800000, v34
	v_cmp_ne_u32_e32 vcc, s97, v7
                                        ; implicit-def: $vgpr7
	s_and_saveexec_b64 s[40:41], vcc
	s_xor_b64 s[40:41], exec, s[40:41]
; %bb.2217:                             ;   in Loop: Header=BB12_1371 Depth=3
	v_bfe_u32 v7, v34, 16, 1
	v_add3_u32 v7, v34, v7, s46
                                        ; implicit-def: $vgpr34
; %bb.2218:                             ;   in Loop: Header=BB12_1371 Depth=3
	s_andn2_saveexec_b64 s[40:41], s[40:41]
	s_cbranch_execz .LBB12_2220
; %bb.2219:                             ;   in Loop: Header=BB12_1371 Depth=3
	buffer_load_dword v35, off, s[0:3], s33 offset:128 ; 4-byte Folded Reload
	buffer_load_dword v36, off, s[0:3], s33 offset:132 ; 4-byte Folded Reload
	v_or_b32_e32 v7, 0x10000, v34
	s_waitcnt vmcnt(1)
	v_cmp_eq_u32_sdwa vcc, v34, v35 src0_sel:WORD_0 src1_sel:DWORD
	v_cndmask_b32_e32 v7, v7, v34, vcc
.LBB12_2220:                            ;   in Loop: Header=BB12_1371 Depth=3
	s_or_b64 exec, exec, s[40:41]
	buffer_load_dword v34, off, s[0:3], s33 offset:168 ; 4-byte Folded Reload
	buffer_load_dword v35, off, s[0:3], s33 offset:172 ; 4-byte Folded Reload
	;; [unrolled: 1-line block ×4, first 2 shown]
	v_and_b32_e32 v4, 0xffff0000, v4
	s_waitcnt vmcnt(1)
	v_and_b32_e32 v34, 0xffff0000, v36
	v_add_f32_e32 v34, v34, v4
	v_and_b32_e32 v4, 0x7f800000, v34
	v_cmp_ne_u32_e32 vcc, s97, v4
                                        ; implicit-def: $vgpr4
	s_and_saveexec_b64 s[40:41], vcc
	s_xor_b64 s[40:41], exec, s[40:41]
; %bb.2221:                             ;   in Loop: Header=BB12_1371 Depth=3
	v_bfe_u32 v4, v34, 16, 1
	v_add3_u32 v4, v34, v4, s46
                                        ; implicit-def: $vgpr34
; %bb.2222:                             ;   in Loop: Header=BB12_1371 Depth=3
	s_andn2_saveexec_b64 s[40:41], s[40:41]
	s_cbranch_execz .LBB12_2224
; %bb.2223:                             ;   in Loop: Header=BB12_1371 Depth=3
	buffer_load_dword v35, off, s[0:3], s33 offset:128 ; 4-byte Folded Reload
	buffer_load_dword v36, off, s[0:3], s33 offset:132 ; 4-byte Folded Reload
	v_or_b32_e32 v4, 0x10000, v34
	s_waitcnt vmcnt(1)
	v_cmp_eq_u32_sdwa vcc, v34, v35 src0_sel:WORD_0 src1_sel:DWORD
	v_cndmask_b32_e32 v4, v4, v34, vcc
.LBB12_2224:                            ;   in Loop: Header=BB12_1371 Depth=3
	s_or_b64 exec, exec, s[40:41]
	buffer_load_dword v34, off, s[0:3], s33 offset:168 ; 4-byte Folded Reload
	buffer_load_dword v35, off, s[0:3], s33 offset:172 ; 4-byte Folded Reload
	;; [unrolled: 1-line block ×4, first 2 shown]
	v_and_b32_e32 v5, 0xffff0000, v5
	s_waitcnt vmcnt(0)
	v_lshlrev_b32_e32 v34, 16, v37
	v_add_f32_e32 v34, v34, v5
	v_and_b32_e32 v5, 0x7f800000, v34
	v_cmp_ne_u32_e32 vcc, s97, v5
                                        ; implicit-def: $vgpr5
	s_and_saveexec_b64 s[40:41], vcc
	s_xor_b64 s[40:41], exec, s[40:41]
; %bb.2225:                             ;   in Loop: Header=BB12_1371 Depth=3
	v_bfe_u32 v5, v34, 16, 1
	v_add3_u32 v5, v34, v5, s46
                                        ; implicit-def: $vgpr34
; %bb.2226:                             ;   in Loop: Header=BB12_1371 Depth=3
	s_andn2_saveexec_b64 s[40:41], s[40:41]
	s_cbranch_execz .LBB12_2228
; %bb.2227:                             ;   in Loop: Header=BB12_1371 Depth=3
	buffer_load_dword v35, off, s[0:3], s33 offset:128 ; 4-byte Folded Reload
	buffer_load_dword v36, off, s[0:3], s33 offset:132 ; 4-byte Folded Reload
	v_or_b32_e32 v5, 0x10000, v34
	s_waitcnt vmcnt(1)
	v_cmp_eq_u32_sdwa vcc, v34, v35 src0_sel:WORD_0 src1_sel:DWORD
	v_cndmask_b32_e32 v5, v5, v34, vcc
.LBB12_2228:                            ;   in Loop: Header=BB12_1371 Depth=3
	s_or_b64 exec, exec, s[40:41]
	buffer_load_dword v34, off, s[0:3], s33 offset:168 ; 4-byte Folded Reload
	buffer_load_dword v35, off, s[0:3], s33 offset:172 ; 4-byte Folded Reload
	;; [unrolled: 1-line block ×4, first 2 shown]
	v_and_b32_e32 v3, 0xffff0000, v3
	s_waitcnt vmcnt(0)
	v_and_b32_e32 v34, 0xffff0000, v37
	v_add_f32_e32 v34, v34, v3
	v_and_b32_e32 v3, 0x7f800000, v34
	v_cmp_ne_u32_e32 vcc, s97, v3
                                        ; implicit-def: $vgpr3
	s_and_saveexec_b64 s[40:41], vcc
	s_xor_b64 s[40:41], exec, s[40:41]
; %bb.2229:                             ;   in Loop: Header=BB12_1371 Depth=3
	v_bfe_u32 v3, v34, 16, 1
	v_add3_u32 v3, v34, v3, s46
                                        ; implicit-def: $vgpr34
; %bb.2230:                             ;   in Loop: Header=BB12_1371 Depth=3
	s_andn2_saveexec_b64 s[40:41], s[40:41]
	s_cbranch_execz .LBB12_2232
; %bb.2231:                             ;   in Loop: Header=BB12_1371 Depth=3
	buffer_load_dword v35, off, s[0:3], s33 offset:128 ; 4-byte Folded Reload
	buffer_load_dword v36, off, s[0:3], s33 offset:132 ; 4-byte Folded Reload
	v_or_b32_e32 v3, 0x10000, v34
	s_waitcnt vmcnt(1)
	v_cmp_eq_u32_sdwa vcc, v34, v35 src0_sel:WORD_0 src1_sel:DWORD
	v_cndmask_b32_e32 v3, v3, v34, vcc
.LBB12_2232:                            ;   in Loop: Header=BB12_1371 Depth=3
	s_or_b64 exec, exec, s[40:41]
	v_lshrrev_b32_e32 v17, 16, v17
	v_and_or_b32 v35, v14, s47, v17
	v_lshrrev_b32_e32 v14, 16, v19
	v_and_or_b32 v34, v16, s47, v14
	v_lshrrev_b32_e32 v14, 16, v15
	s_waitcnt vmcnt(0)
	v_and_or_b32 v36, v12, s47, v14
	v_lshrrev_b32_e32 v12, 16, v13
	v_and_or_b32 v37, v10, s47, v12
	v_lshrrev_b32_e32 v10, 16, v30
	;; [unrolled: 2-line block ×4, first 2 shown]
	v_lshrrev_b32_e32 v2, 16, v2
	v_and_or_b32 v14, v20, s47, v10
	v_lshrrev_b32_e32 v10, 16, v21
	v_and_or_b32 v16, v22, s47, v2
	v_lshrrev_b32_e32 v2, 16, v26
	v_and_or_b32 v15, v18, s47, v10
	v_and_or_b32 v18, v27, s47, v2
	v_lshrrev_b32_e32 v2, 16, v33
	v_and_or_b32 v19, v31, s47, v2
	v_lshrrev_b32_e32 v2, 16, v9
	;; [unrolled: 2-line block ×3, first 2 shown]
	v_lshrrev_b32_e32 v10, 16, v24
	v_and_or_b32 v8, v8, s47, v2
	v_lshrrev_b32_e32 v2, 16, v7
	v_and_or_b32 v17, v25, s47, v10
	v_and_or_b32 v10, v4, s47, v2
	v_lshrrev_b32_e32 v2, 16, v5
	v_and_or_b32 v11, v3, s47, v2
	global_store_dwordx4 v[0:1], v[16:19], off glc slc
	global_store_dwordx4 v[0:1], v[12:15], off offset:1024 glc slc
	global_store_dwordx4 v[0:1], v[34:37], off offset:2048 glc slc
	global_store_dwordx4 v[0:1], v[8:11], off offset:3072 glc slc
.LBB12_2233:                            ;   in Loop: Header=BB12_1371 Depth=3
	s_or_b64 exec, exec, s[28:29]
	s_waitcnt vmcnt(0)
	v_lshlrev_b32_e32 v2, 12, v56
	v_cmp_ne_u32_e32 vcc, v55, v2
                                        ; implicit-def: $vgpr6
                                        ; implicit-def: $vgpr0
                                        ; implicit-def: $vgpr7
	s_and_saveexec_b64 s[90:91], vcc
	s_cbranch_execz .LBB12_2444
; %bb.2234:                             ;   in Loop: Header=BB12_1371 Depth=3
	buffer_load_dword v1, off, s[0:3], s33 offset:240 ; 4-byte Folded Reload
	buffer_load_dword v3, off, s[0:3], s33 offset:580 ; 4-byte Folded Reload
	v_sub_u32_e32 v0, v55, v2
	s_mov_b64 s[94:95], 0
	s_waitcnt vmcnt(1)
	v_lshlrev_b32_e32 v1, 6, v1
	s_waitcnt vmcnt(0)
	v_sub_u32_e32 v1, v3, v1
	v_ashrrev_i32_e32 v3, 31, v1
	v_lshrrev_b32_e32 v3, 26, v3
	v_add_u32_e32 v3, v1, v3
	v_ashrrev_i32_e32 v7, 6, v3
	v_and_b32_e32 v3, 0xffffffc0, v3
	v_sub_u32_e32 v3, v1, v3
	v_lshlrev_b32_e32 v1, 4, v3
	v_lshl_add_u32 v1, v7, 10, v1
	v_add_u32_e32 v10, v1, v2
	v_sub_u32_e32 v6, v0, v1
	v_ashrrev_i32_e32 v1, 31, v0
	v_lshrrev_b32_e32 v1, 22, v1
	v_add_u32_e32 v1, v0, v1
	v_and_b32_e32 v4, 0xfffffc00, v1
	v_sub_u32_e32 v5, v0, v4
	v_ashrrev_i32_e32 v8, 10, v1
	v_cmp_lt_i32_e64 s[28:29], 15, v5
	v_addc_co_u32_e64 v0, vcc, 0, v8, s[28:29]
	v_ashrrev_i32_e32 v11, 31, v10
	v_sub_u32_e32 v8, v0, v7
	v_add_co_u32_e32 v0, vcc, v10, v42
	v_addc_co_u32_e32 v1, vcc, v11, v43, vcc
	v_cmp_lt_i32_e32 vcc, 15, v6
	s_and_saveexec_b64 s[92:93], vcc
	s_cbranch_execz .LBB12_2375
; %bb.2235:                             ;   in Loop: Header=BB12_1371 Depth=3
	s_trap 2
	ds_read_b64 v[12:13], v0
	buffer_load_dword v14, off, s[0:3], s33 offset:556 ; 4-byte Folded Reload
	buffer_load_dword v15, off, s[0:3], s33 offset:560 ; 4-byte Folded Reload
	s_mov_b64 s[34:35], 0
                                        ; implicit-def: $sgpr30_sgpr31
	s_waitcnt vmcnt(1)
	v_add_co_u32_e32 v7, vcc, v10, v14
	s_waitcnt vmcnt(0)
	v_addc_co_u32_e32 v9, vcc, v11, v15, vcc
	s_waitcnt lgkmcnt(0)
	v_add_co_u32_e32 v10, vcc, v12, v10
	ds_read_b32 v12, v0
	v_addc_co_u32_e32 v11, vcc, v13, v11, vcc
	s_waitcnt lgkmcnt(0)
	v_lshlrev_b32_e32 v12, 16, v12
	s_branch .LBB12_2237
.LBB12_2236:                            ;   in Loop: Header=BB12_2237 Depth=4
	s_or_b64 exec, exec, s[40:41]
	v_cmp_gt_i32_e32 vcc, 16, v6
	s_or_b64 s[94:95], vcc, s[94:95]
	s_andn2_b64 s[40:41], s[30:31], exec
	s_and_b64 vcc, s[34:35], exec
	s_or_b64 s[30:31], s[40:41], vcc
	s_andn2_b64 exec, exec, s[94:95]
	s_cbranch_execz .LBB12_2374
.LBB12_2237:                            ;   Parent Loop BB12_47 Depth=1
                                        ;     Parent Loop BB12_1368 Depth=2
                                        ;       Parent Loop BB12_1371 Depth=3
                                        ; =>      This Loop Header: Depth=4
                                        ;           Child Loop BB12_2238 Depth 5
                                        ;           Child Loop BB12_2307 Depth 5
	s_lshr_b32 s9, s33, 6
	s_add_i32 s9, s9, 64
	s_mov_b64 s[36:37], -1
	s_mov_b64 s[38:39], 0
.LBB12_2238:                            ;   Parent Loop BB12_47 Depth=1
                                        ;     Parent Loop BB12_1368 Depth=2
                                        ;       Parent Loop BB12_1371 Depth=3
                                        ;         Parent Loop BB12_2237 Depth=4
                                        ; =>        This Inner Loop Header: Depth=5
	s_cmp_eq_u32 s38, 1
	s_cselect_b64 s[40:41], -1, 0
	v_cndmask_b32_e64 v18, v9, v11, s[40:41]
	v_cndmask_b32_e64 v17, v7, v10, s[40:41]
	global_load_dwordx4 v[13:16], v[17:18], off glc slc
	v_mov_b32_e32 v19, s9
	s_cmp_eq_u32 s38, 0
	s_mov_b64 s[38:39], 1
	s_mov_b32 s9, s80
	s_waitcnt vmcnt(0)
	buffer_store_dword v14, v19, s[0:3], 0 offen offset:4
	buffer_store_dword v13, v19, s[0:3], 0 offen
	buffer_store_dword v16, v19, s[0:3], 0 offen offset:12
	buffer_store_dword v15, v19, s[0:3], 0 offen offset:8
	v_add_co_u32_e32 v13, vcc, s55, v17
	v_addc_co_u32_e32 v14, vcc, 0, v18, vcc
	s_cselect_b64 vcc, -1, 0
	v_cndmask_b32_e32 v9, v9, v14, vcc
	v_cndmask_b32_e32 v7, v7, v13, vcc
	v_cndmask_b32_e64 v11, v11, v14, s[40:41]
	v_cndmask_b32_e64 v10, v10, v13, s[40:41]
	s_and_b64 vcc, exec, s[36:37]
	s_mov_b64 s[36:37], 0
	s_cbranch_vccnz .LBB12_2238
; %bb.2239:                             ;   in Loop: Header=BB12_2237 Depth=4
	s_and_saveexec_b64 s[40:41], s[34:35]
	s_cbranch_execz .LBB12_2305
; %bb.2240:                             ;   in Loop: Header=BB12_2237 Depth=4
	buffer_load_dword v17, off, s[0:3], s33 offset:96
	buffer_load_dword v15, off, s[0:3], s33 offset:100
	;; [unrolled: 1-line block ×4, first 2 shown]
	s_waitcnt vmcnt(3)
	v_lshlrev_b32_e32 v16, 16, v17
	v_mul_f32_e32 v18, v12, v16
	v_and_b32_e32 v16, 0x7f800000, v18
	v_cmp_ne_u32_e32 vcc, s97, v16
                                        ; implicit-def: $vgpr16
	s_and_saveexec_b64 s[34:35], vcc
	s_xor_b64 vcc, exec, s[34:35]
; %bb.2241:                             ;   in Loop: Header=BB12_2237 Depth=4
	v_bfe_u32 v16, v18, 16, 1
	v_add3_u32 v16, v18, v16, s46
                                        ; implicit-def: $vgpr18
; %bb.2242:                             ;   in Loop: Header=BB12_2237 Depth=4
	s_andn2_saveexec_b64 s[34:35], vcc
	s_cbranch_execz .LBB12_2244
; %bb.2243:                             ;   in Loop: Header=BB12_2237 Depth=4
	buffer_load_dword v19, off, s[0:3], s33 offset:128 ; 4-byte Folded Reload
	buffer_load_dword v20, off, s[0:3], s33 offset:132 ; 4-byte Folded Reload
	v_or_b32_e32 v16, 0x10000, v18
	s_waitcnt vmcnt(1)
	v_cmp_eq_u32_sdwa vcc, v18, v19 src0_sel:WORD_0 src1_sel:DWORD
	v_cndmask_b32_e32 v16, v16, v18, vcc
.LBB12_2244:                            ;   in Loop: Header=BB12_2237 Depth=4
	s_or_b64 exec, exec, s[34:35]
	v_and_b32_e32 v17, 0xffff0000, v17
	v_mul_f32_e32 v17, v12, v17
	v_and_b32_e32 v18, 0x7f800000, v17
	v_cmp_ne_u32_e32 vcc, s97, v18
                                        ; implicit-def: $vgpr20
	s_and_saveexec_b64 s[34:35], vcc
	s_xor_b64 vcc, exec, s[34:35]
	s_cbranch_execz .LBB12_2246
; %bb.2245:                             ;   in Loop: Header=BB12_2237 Depth=4
	v_bfe_u32 v18, v17, 16, 1
	s_waitcnt vmcnt(0)
	v_add3_u32 v20, v17, v18, s46
                                        ; implicit-def: $vgpr17
.LBB12_2246:                            ;   in Loop: Header=BB12_2237 Depth=4
	s_andn2_saveexec_b64 s[34:35], vcc
	s_cbranch_execz .LBB12_2248
; %bb.2247:                             ;   in Loop: Header=BB12_2237 Depth=4
	buffer_load_dword v19, off, s[0:3], s33 offset:128 ; 4-byte Folded Reload
	buffer_load_dword v20, off, s[0:3], s33 offset:132 ; 4-byte Folded Reload
	v_or_b32_e32 v18, 0x10000, v17
	s_waitcnt vmcnt(1)
	v_cmp_eq_u32_sdwa vcc, v17, v19 src0_sel:WORD_0 src1_sel:DWORD
	s_waitcnt vmcnt(0)
	v_cndmask_b32_e32 v20, v18, v17, vcc
.LBB12_2248:                            ;   in Loop: Header=BB12_2237 Depth=4
	s_or_b64 exec, exec, s[34:35]
	s_waitcnt vmcnt(2)
	v_lshlrev_b32_e32 v17, 16, v15
	v_mul_f32_e32 v17, v12, v17
	v_and_b32_e32 v18, 0x7f800000, v17
	v_cmp_ne_u32_e32 vcc, s97, v18
                                        ; implicit-def: $vgpr19
	s_and_saveexec_b64 s[34:35], vcc
	s_xor_b64 vcc, exec, s[34:35]
; %bb.2249:                             ;   in Loop: Header=BB12_2237 Depth=4
	v_bfe_u32 v18, v17, 16, 1
	v_add3_u32 v19, v17, v18, s46
                                        ; implicit-def: $vgpr17
; %bb.2250:                             ;   in Loop: Header=BB12_2237 Depth=4
	s_andn2_saveexec_b64 s[34:35], vcc
	s_cbranch_execz .LBB12_2252
; %bb.2251:                             ;   in Loop: Header=BB12_2237 Depth=4
	buffer_load_dword v21, off, s[0:3], s33 offset:128 ; 4-byte Folded Reload
	buffer_load_dword v22, off, s[0:3], s33 offset:132 ; 4-byte Folded Reload
	v_or_b32_e32 v18, 0x10000, v17
	s_waitcnt vmcnt(1)
	v_cmp_eq_u32_sdwa vcc, v17, v21 src0_sel:WORD_0 src1_sel:DWORD
	v_cndmask_b32_e32 v19, v18, v17, vcc
.LBB12_2252:                            ;   in Loop: Header=BB12_2237 Depth=4
	s_or_b64 exec, exec, s[34:35]
	v_and_b32_e32 v15, 0xffff0000, v15
	v_mul_f32_e32 v15, v12, v15
	v_and_b32_e32 v17, 0x7f800000, v15
	v_cmp_ne_u32_e32 vcc, s97, v17
                                        ; implicit-def: $vgpr17
	s_and_saveexec_b64 s[34:35], vcc
	s_xor_b64 vcc, exec, s[34:35]
; %bb.2253:                             ;   in Loop: Header=BB12_2237 Depth=4
	v_bfe_u32 v17, v15, 16, 1
	v_add3_u32 v17, v15, v17, s46
                                        ; implicit-def: $vgpr15
; %bb.2254:                             ;   in Loop: Header=BB12_2237 Depth=4
	s_andn2_saveexec_b64 s[34:35], vcc
	s_cbranch_execz .LBB12_2256
; %bb.2255:                             ;   in Loop: Header=BB12_2237 Depth=4
	buffer_load_dword v21, off, s[0:3], s33 offset:128 ; 4-byte Folded Reload
	buffer_load_dword v22, off, s[0:3], s33 offset:132 ; 4-byte Folded Reload
	v_or_b32_e32 v17, 0x10000, v15
	s_waitcnt vmcnt(1)
	v_cmp_eq_u32_sdwa vcc, v15, v21 src0_sel:WORD_0 src1_sel:DWORD
	v_cndmask_b32_e32 v17, v17, v15, vcc
.LBB12_2256:                            ;   in Loop: Header=BB12_2237 Depth=4
	s_or_b64 exec, exec, s[34:35]
	s_waitcnt vmcnt(1)
	v_lshlrev_b32_e32 v15, 16, v14
	v_mul_f32_e32 v15, v12, v15
	v_and_b32_e32 v18, 0x7f800000, v15
	v_cmp_ne_u32_e32 vcc, s97, v18
                                        ; implicit-def: $vgpr18
	s_and_saveexec_b64 s[34:35], vcc
	s_xor_b64 vcc, exec, s[34:35]
; %bb.2257:                             ;   in Loop: Header=BB12_2237 Depth=4
	v_bfe_u32 v18, v15, 16, 1
	v_add3_u32 v18, v15, v18, s46
                                        ; implicit-def: $vgpr15
; %bb.2258:                             ;   in Loop: Header=BB12_2237 Depth=4
	s_andn2_saveexec_b64 s[34:35], vcc
	s_cbranch_execz .LBB12_2260
; %bb.2259:                             ;   in Loop: Header=BB12_2237 Depth=4
	buffer_load_dword v21, off, s[0:3], s33 offset:128 ; 4-byte Folded Reload
	buffer_load_dword v22, off, s[0:3], s33 offset:132 ; 4-byte Folded Reload
	v_or_b32_e32 v18, 0x10000, v15
	s_waitcnt vmcnt(1)
	v_cmp_eq_u32_sdwa vcc, v15, v21 src0_sel:WORD_0 src1_sel:DWORD
	v_cndmask_b32_e32 v18, v18, v15, vcc
.LBB12_2260:                            ;   in Loop: Header=BB12_2237 Depth=4
	s_or_b64 exec, exec, s[34:35]
	v_and_b32_e32 v14, 0xffff0000, v14
	v_mul_f32_e32 v15, v12, v14
	v_and_b32_e32 v14, 0x7f800000, v15
	v_cmp_ne_u32_e32 vcc, s97, v14
                                        ; implicit-def: $vgpr14
	s_and_saveexec_b64 s[34:35], vcc
	s_xor_b64 vcc, exec, s[34:35]
; %bb.2261:                             ;   in Loop: Header=BB12_2237 Depth=4
	v_bfe_u32 v14, v15, 16, 1
	v_add3_u32 v14, v15, v14, s46
                                        ; implicit-def: $vgpr15
; %bb.2262:                             ;   in Loop: Header=BB12_2237 Depth=4
	s_andn2_saveexec_b64 s[34:35], vcc
	s_cbranch_execz .LBB12_2264
; %bb.2263:                             ;   in Loop: Header=BB12_2237 Depth=4
	buffer_load_dword v21, off, s[0:3], s33 offset:128 ; 4-byte Folded Reload
	buffer_load_dword v22, off, s[0:3], s33 offset:132 ; 4-byte Folded Reload
	v_or_b32_e32 v14, 0x10000, v15
	s_waitcnt vmcnt(1)
	v_cmp_eq_u32_sdwa vcc, v15, v21 src0_sel:WORD_0 src1_sel:DWORD
	v_cndmask_b32_e32 v14, v14, v15, vcc
.LBB12_2264:                            ;   in Loop: Header=BB12_2237 Depth=4
	s_or_b64 exec, exec, s[34:35]
	s_waitcnt vmcnt(0)
	v_lshlrev_b32_e32 v15, 16, v13
	v_mul_f32_e32 v21, v12, v15
	v_and_b32_e32 v15, 0x7f800000, v21
	v_cmp_ne_u32_e32 vcc, s97, v15
                                        ; implicit-def: $vgpr15
	s_and_saveexec_b64 s[34:35], vcc
	s_xor_b64 vcc, exec, s[34:35]
; %bb.2265:                             ;   in Loop: Header=BB12_2237 Depth=4
	v_bfe_u32 v15, v21, 16, 1
	v_add3_u32 v15, v21, v15, s46
                                        ; implicit-def: $vgpr21
; %bb.2266:                             ;   in Loop: Header=BB12_2237 Depth=4
	s_andn2_saveexec_b64 s[34:35], vcc
	s_cbranch_execz .LBB12_2268
; %bb.2267:                             ;   in Loop: Header=BB12_2237 Depth=4
	buffer_load_dword v22, off, s[0:3], s33 offset:128 ; 4-byte Folded Reload
	buffer_load_dword v23, off, s[0:3], s33 offset:132 ; 4-byte Folded Reload
	v_or_b32_e32 v15, 0x10000, v21
	s_waitcnt vmcnt(1)
	v_cmp_eq_u32_sdwa vcc, v21, v22 src0_sel:WORD_0 src1_sel:DWORD
	v_cndmask_b32_e32 v15, v15, v21, vcc
.LBB12_2268:                            ;   in Loop: Header=BB12_2237 Depth=4
	s_or_b64 exec, exec, s[34:35]
	v_and_b32_e32 v13, 0xffff0000, v13
	v_mul_f32_e32 v21, v12, v13
	v_and_b32_e32 v13, 0x7f800000, v21
	v_cmp_ne_u32_e32 vcc, s97, v13
                                        ; implicit-def: $vgpr13
	s_and_saveexec_b64 s[34:35], vcc
	s_xor_b64 vcc, exec, s[34:35]
; %bb.2269:                             ;   in Loop: Header=BB12_2237 Depth=4
	v_bfe_u32 v13, v21, 16, 1
	v_add3_u32 v13, v21, v13, s46
                                        ; implicit-def: $vgpr21
; %bb.2270:                             ;   in Loop: Header=BB12_2237 Depth=4
	s_andn2_saveexec_b64 s[34:35], vcc
	s_cbranch_execz .LBB12_2272
; %bb.2271:                             ;   in Loop: Header=BB12_2237 Depth=4
	buffer_load_dword v22, off, s[0:3], s33 offset:128 ; 4-byte Folded Reload
	buffer_load_dword v23, off, s[0:3], s33 offset:132 ; 4-byte Folded Reload
	v_or_b32_e32 v13, 0x10000, v21
	s_waitcnt vmcnt(1)
	v_cmp_eq_u32_sdwa vcc, v21, v22 src0_sel:WORD_0 src1_sel:DWORD
	v_cndmask_b32_e32 v13, v13, v21, vcc
.LBB12_2272:                            ;   in Loop: Header=BB12_2237 Depth=4
	s_or_b64 exec, exec, s[34:35]
	buffer_load_dword v24, off, s[0:3], s33 offset:112
	buffer_load_dword v23, off, s[0:3], s33 offset:116
	;; [unrolled: 1-line block ×4, first 2 shown]
	v_and_b32_e32 v16, 0xffff0000, v16
	s_waitcnt vmcnt(3)
	v_lshlrev_b32_e32 v25, 16, v24
	v_add_f32_e32 v25, v16, v25
	v_and_b32_e32 v16, 0x7f800000, v25
	v_cmp_ne_u32_e32 vcc, s97, v16
                                        ; implicit-def: $vgpr16
	s_and_saveexec_b64 s[34:35], vcc
	s_xor_b64 vcc, exec, s[34:35]
; %bb.2273:                             ;   in Loop: Header=BB12_2237 Depth=4
	v_bfe_u32 v16, v25, 16, 1
	v_add3_u32 v16, v25, v16, s46
                                        ; implicit-def: $vgpr25
; %bb.2274:                             ;   in Loop: Header=BB12_2237 Depth=4
	s_andn2_saveexec_b64 s[34:35], vcc
	s_cbranch_execz .LBB12_2276
; %bb.2275:                             ;   in Loop: Header=BB12_2237 Depth=4
	buffer_load_dword v26, off, s[0:3], s33 offset:128 ; 4-byte Folded Reload
	buffer_load_dword v27, off, s[0:3], s33 offset:132 ; 4-byte Folded Reload
	v_or_b32_e32 v16, 0x10000, v25
	s_waitcnt vmcnt(1)
	v_cmp_eq_u32_sdwa vcc, v25, v26 src0_sel:WORD_0 src1_sel:DWORD
	v_cndmask_b32_e32 v16, v16, v25, vcc
.LBB12_2276:                            ;   in Loop: Header=BB12_2237 Depth=4
	s_or_b64 exec, exec, s[34:35]
	v_and_b32_e32 v20, 0xffff0000, v20
	v_and_b32_e32 v24, 0xffff0000, v24
	v_add_f32_e32 v24, v20, v24
	v_and_b32_e32 v20, 0x7f800000, v24
	v_cmp_ne_u32_e32 vcc, s97, v20
                                        ; implicit-def: $vgpr20
	s_and_saveexec_b64 s[34:35], vcc
	s_xor_b64 vcc, exec, s[34:35]
; %bb.2277:                             ;   in Loop: Header=BB12_2237 Depth=4
	v_bfe_u32 v20, v24, 16, 1
	v_add3_u32 v20, v24, v20, s46
                                        ; implicit-def: $vgpr24
; %bb.2278:                             ;   in Loop: Header=BB12_2237 Depth=4
	s_andn2_saveexec_b64 s[34:35], vcc
	s_cbranch_execz .LBB12_2280
; %bb.2279:                             ;   in Loop: Header=BB12_2237 Depth=4
	buffer_load_dword v25, off, s[0:3], s33 offset:128 ; 4-byte Folded Reload
	buffer_load_dword v26, off, s[0:3], s33 offset:132 ; 4-byte Folded Reload
	v_or_b32_e32 v20, 0x10000, v24
	s_waitcnt vmcnt(1)
	v_cmp_eq_u32_sdwa vcc, v24, v25 src0_sel:WORD_0 src1_sel:DWORD
	v_cndmask_b32_e32 v20, v20, v24, vcc
.LBB12_2280:                            ;   in Loop: Header=BB12_2237 Depth=4
	s_or_b64 exec, exec, s[34:35]
	v_and_b32_e32 v19, 0xffff0000, v19
	s_waitcnt vmcnt(2)
	v_lshlrev_b32_e32 v24, 16, v23
	v_add_f32_e32 v24, v19, v24
	v_and_b32_e32 v19, 0x7f800000, v24
	v_cmp_ne_u32_e32 vcc, s97, v19
                                        ; implicit-def: $vgpr19
	s_and_saveexec_b64 s[34:35], vcc
	s_xor_b64 vcc, exec, s[34:35]
; %bb.2281:                             ;   in Loop: Header=BB12_2237 Depth=4
	v_bfe_u32 v19, v24, 16, 1
	v_add3_u32 v19, v24, v19, s46
                                        ; implicit-def: $vgpr24
; %bb.2282:                             ;   in Loop: Header=BB12_2237 Depth=4
	s_andn2_saveexec_b64 s[34:35], vcc
	s_cbranch_execz .LBB12_2284
; %bb.2283:                             ;   in Loop: Header=BB12_2237 Depth=4
	buffer_load_dword v25, off, s[0:3], s33 offset:128 ; 4-byte Folded Reload
	buffer_load_dword v26, off, s[0:3], s33 offset:132 ; 4-byte Folded Reload
	v_or_b32_e32 v19, 0x10000, v24
	s_waitcnt vmcnt(1)
	v_cmp_eq_u32_sdwa vcc, v24, v25 src0_sel:WORD_0 src1_sel:DWORD
	v_cndmask_b32_e32 v19, v19, v24, vcc
.LBB12_2284:                            ;   in Loop: Header=BB12_2237 Depth=4
	s_or_b64 exec, exec, s[34:35]
	v_and_b32_e32 v23, 0xffff0000, v23
	v_and_b32_e32 v17, 0xffff0000, v17
	v_add_f32_e32 v23, v17, v23
	v_and_b32_e32 v17, 0x7f800000, v23
	v_cmp_ne_u32_e32 vcc, s97, v17
                                        ; implicit-def: $vgpr17
	s_and_saveexec_b64 s[34:35], vcc
	s_xor_b64 vcc, exec, s[34:35]
; %bb.2285:                             ;   in Loop: Header=BB12_2237 Depth=4
	v_bfe_u32 v17, v23, 16, 1
	v_add3_u32 v17, v23, v17, s46
                                        ; implicit-def: $vgpr23
; %bb.2286:                             ;   in Loop: Header=BB12_2237 Depth=4
	s_andn2_saveexec_b64 s[34:35], vcc
	s_cbranch_execz .LBB12_2288
; %bb.2287:                             ;   in Loop: Header=BB12_2237 Depth=4
	buffer_load_dword v24, off, s[0:3], s33 offset:128 ; 4-byte Folded Reload
	buffer_load_dword v25, off, s[0:3], s33 offset:132 ; 4-byte Folded Reload
	v_or_b32_e32 v17, 0x10000, v23
	s_waitcnt vmcnt(1)
	v_cmp_eq_u32_sdwa vcc, v23, v24 src0_sel:WORD_0 src1_sel:DWORD
	v_cndmask_b32_e32 v17, v17, v23, vcc
.LBB12_2288:                            ;   in Loop: Header=BB12_2237 Depth=4
	s_or_b64 exec, exec, s[34:35]
	v_and_b32_e32 v18, 0xffff0000, v18
	s_waitcnt vmcnt(1)
	v_lshlrev_b32_e32 v23, 16, v22
	v_add_f32_e32 v23, v18, v23
	v_and_b32_e32 v18, 0x7f800000, v23
	v_cmp_ne_u32_e32 vcc, s97, v18
                                        ; implicit-def: $vgpr18
	s_and_saveexec_b64 s[34:35], vcc
	s_xor_b64 vcc, exec, s[34:35]
; %bb.2289:                             ;   in Loop: Header=BB12_2237 Depth=4
	v_bfe_u32 v18, v23, 16, 1
	v_add3_u32 v18, v23, v18, s46
                                        ; implicit-def: $vgpr23
; %bb.2290:                             ;   in Loop: Header=BB12_2237 Depth=4
	s_andn2_saveexec_b64 s[34:35], vcc
	s_cbranch_execz .LBB12_2292
; %bb.2291:                             ;   in Loop: Header=BB12_2237 Depth=4
	buffer_load_dword v24, off, s[0:3], s33 offset:128 ; 4-byte Folded Reload
	buffer_load_dword v25, off, s[0:3], s33 offset:132 ; 4-byte Folded Reload
	v_or_b32_e32 v18, 0x10000, v23
	s_waitcnt vmcnt(1)
	v_cmp_eq_u32_sdwa vcc, v23, v24 src0_sel:WORD_0 src1_sel:DWORD
	v_cndmask_b32_e32 v18, v18, v23, vcc
.LBB12_2292:                            ;   in Loop: Header=BB12_2237 Depth=4
	s_or_b64 exec, exec, s[34:35]
	v_and_b32_e32 v22, 0xffff0000, v22
	v_and_b32_e32 v14, 0xffff0000, v14
	v_add_f32_e32 v22, v14, v22
	v_and_b32_e32 v14, 0x7f800000, v22
	v_cmp_ne_u32_e32 vcc, s97, v14
                                        ; implicit-def: $vgpr14
	s_and_saveexec_b64 s[34:35], vcc
	s_xor_b64 vcc, exec, s[34:35]
; %bb.2293:                             ;   in Loop: Header=BB12_2237 Depth=4
	v_bfe_u32 v14, v22, 16, 1
	v_add3_u32 v14, v22, v14, s46
                                        ; implicit-def: $vgpr22
; %bb.2294:                             ;   in Loop: Header=BB12_2237 Depth=4
	s_andn2_saveexec_b64 s[34:35], vcc
	s_cbranch_execz .LBB12_2296
; %bb.2295:                             ;   in Loop: Header=BB12_2237 Depth=4
	buffer_load_dword v23, off, s[0:3], s33 offset:128 ; 4-byte Folded Reload
	buffer_load_dword v24, off, s[0:3], s33 offset:132 ; 4-byte Folded Reload
	v_or_b32_e32 v14, 0x10000, v22
	s_waitcnt vmcnt(1)
	v_cmp_eq_u32_sdwa vcc, v22, v23 src0_sel:WORD_0 src1_sel:DWORD
	v_cndmask_b32_e32 v14, v14, v22, vcc
.LBB12_2296:                            ;   in Loop: Header=BB12_2237 Depth=4
	s_or_b64 exec, exec, s[34:35]
	v_and_b32_e32 v15, 0xffff0000, v15
	s_waitcnt vmcnt(0)
	v_lshlrev_b32_e32 v22, 16, v21
	v_add_f32_e32 v22, v15, v22
	v_and_b32_e32 v15, 0x7f800000, v22
	v_cmp_ne_u32_e32 vcc, s97, v15
                                        ; implicit-def: $vgpr15
	s_and_saveexec_b64 s[34:35], vcc
	s_xor_b64 vcc, exec, s[34:35]
; %bb.2297:                             ;   in Loop: Header=BB12_2237 Depth=4
	v_bfe_u32 v15, v22, 16, 1
	v_add3_u32 v15, v22, v15, s46
                                        ; implicit-def: $vgpr22
; %bb.2298:                             ;   in Loop: Header=BB12_2237 Depth=4
	s_andn2_saveexec_b64 s[34:35], vcc
	s_cbranch_execz .LBB12_2300
; %bb.2299:                             ;   in Loop: Header=BB12_2237 Depth=4
	buffer_load_dword v23, off, s[0:3], s33 offset:128 ; 4-byte Folded Reload
	buffer_load_dword v24, off, s[0:3], s33 offset:132 ; 4-byte Folded Reload
	v_or_b32_e32 v15, 0x10000, v22
	s_waitcnt vmcnt(1)
	v_cmp_eq_u32_sdwa vcc, v22, v23 src0_sel:WORD_0 src1_sel:DWORD
	v_cndmask_b32_e32 v15, v15, v22, vcc
.LBB12_2300:                            ;   in Loop: Header=BB12_2237 Depth=4
	s_or_b64 exec, exec, s[34:35]
	v_and_b32_e32 v21, 0xffff0000, v21
	v_and_b32_e32 v13, 0xffff0000, v13
	v_add_f32_e32 v21, v13, v21
	v_and_b32_e32 v13, 0x7f800000, v21
	v_cmp_ne_u32_e32 vcc, s97, v13
                                        ; implicit-def: $vgpr13
	s_and_saveexec_b64 s[34:35], vcc
	s_xor_b64 vcc, exec, s[34:35]
; %bb.2301:                             ;   in Loop: Header=BB12_2237 Depth=4
	v_bfe_u32 v13, v21, 16, 1
	v_add3_u32 v13, v21, v13, s46
                                        ; implicit-def: $vgpr21
; %bb.2302:                             ;   in Loop: Header=BB12_2237 Depth=4
	s_andn2_saveexec_b64 s[34:35], vcc
	s_cbranch_execz .LBB12_2304
; %bb.2303:                             ;   in Loop: Header=BB12_2237 Depth=4
	buffer_load_dword v22, off, s[0:3], s33 offset:128 ; 4-byte Folded Reload
	buffer_load_dword v23, off, s[0:3], s33 offset:132 ; 4-byte Folded Reload
	v_or_b32_e32 v13, 0x10000, v21
	s_waitcnt vmcnt(1)
	v_cmp_eq_u32_sdwa vcc, v21, v22 src0_sel:WORD_0 src1_sel:DWORD
	v_cndmask_b32_e32 v13, v13, v21, vcc
.LBB12_2304:                            ;   in Loop: Header=BB12_2237 Depth=4
	s_or_b64 exec, exec, s[34:35]
	v_lshrrev_b32_e32 v19, 16, v19
	v_lshrrev_b32_e32 v18, 16, v18
	v_and_or_b32 v17, v17, s47, v19
	v_lshrrev_b32_e32 v16, 16, v16
	v_and_or_b32 v18, v14, s47, v18
	;; [unrolled: 2-line block ×3, first 2 shown]
	v_and_or_b32 v19, v13, s47, v14
	buffer_store_dword v17, off, s[0:3], s33 offset:100
	buffer_store_dword v16, off, s[0:3], s33 offset:96
	;; [unrolled: 1-line block ×4, first 2 shown]
	buffer_load_dword v13, off, s[0:3], s33 offset:420 ; 4-byte Folded Reload
	s_nop 0
	global_store_dwordx4 v[0:1], v[16:19], off glc slc
	s_waitcnt vmcnt(1)
	v_add_co_u32_e32 v0, vcc, v13, v0
	buffer_load_dword v13, off, s[0:3], s33 offset:424 ; 4-byte Folded Reload
	s_waitcnt vmcnt(0)
	v_addc_co_u32_e32 v1, vcc, v13, v1, vcc
.LBB12_2305:                            ;   in Loop: Header=BB12_2237 Depth=4
	s_or_b64 exec, exec, s[40:41]
	buffer_load_dword v13, off, s[0:3], s33 offset:412 ; 4-byte Folded Reload
	buffer_load_dword v14, off, s[0:3], s33 offset:416 ; 4-byte Folded Reload
	s_waitcnt vmcnt(1)
	v_add_co_u32_e32 v7, vcc, v7, v13
	s_waitcnt vmcnt(0)
	v_addc_co_u32_e32 v9, vcc, v9, v14, vcc
	v_add_co_u32_e32 v10, vcc, v10, v13
	buffer_load_dword v13, off, s[0:3], s33 offset:384 ; 4-byte Folded Reload
	v_addc_co_u32_e32 v11, vcc, v11, v14, vcc
	s_waitcnt vmcnt(0)
	v_sub_u32_e32 v6, v6, v13
	v_cmp_lt_i32_e64 s[34:35], 15, v6
	s_and_saveexec_b64 s[36:37], s[34:35]
	s_cbranch_execz .LBB12_2308
; %bb.2306:                             ;   in Loop: Header=BB12_2237 Depth=4
	s_lshr_b32 s9, s33, 6
	s_addk_i32 s9, 0x60
	s_mov_b64 s[48:49], 0
	s_mov_b64 s[38:39], -1
.LBB12_2307:                            ;   Parent Loop BB12_47 Depth=1
                                        ;     Parent Loop BB12_1368 Depth=2
                                        ;       Parent Loop BB12_1371 Depth=3
                                        ;         Parent Loop BB12_2237 Depth=4
                                        ; =>        This Inner Loop Header: Depth=5
	s_cmp_eq_u32 s48, 1
	s_cselect_b64 s[40:41], -1, 0
	v_cndmask_b32_e64 v18, v9, v11, s[40:41]
	v_cndmask_b32_e64 v17, v7, v10, s[40:41]
	global_load_dwordx4 v[13:16], v[17:18], off glc slc
	v_mov_b32_e32 v19, s9
	s_cmp_eq_u32 s48, 0
	s_mov_b64 s[48:49], 1
	s_mov_b32 s9, s71
	s_waitcnt vmcnt(0)
	buffer_store_dword v14, v19, s[0:3], 0 offen offset:4
	buffer_store_dword v13, v19, s[0:3], 0 offen
	buffer_store_dword v16, v19, s[0:3], 0 offen offset:12
	buffer_store_dword v15, v19, s[0:3], 0 offen offset:8
	v_add_co_u32_e32 v13, vcc, s55, v17
	v_addc_co_u32_e32 v14, vcc, 0, v18, vcc
	s_cselect_b64 vcc, -1, 0
	v_cndmask_b32_e32 v9, v9, v14, vcc
	v_cndmask_b32_e32 v7, v7, v13, vcc
	v_cndmask_b32_e64 v11, v11, v14, s[40:41]
	v_cndmask_b32_e64 v10, v10, v13, s[40:41]
	s_and_b64 vcc, exec, s[38:39]
	s_mov_b64 s[38:39], 0
	s_cbranch_vccnz .LBB12_2307
.LBB12_2308:                            ;   in Loop: Header=BB12_2237 Depth=4
	s_or_b64 exec, exec, s[36:37]
	buffer_load_dword v17, off, s[0:3], s33 offset:64
	buffer_load_dword v15, off, s[0:3], s33 offset:68
	;; [unrolled: 1-line block ×4, first 2 shown]
	s_waitcnt vmcnt(3)
	v_lshlrev_b32_e32 v16, 16, v17
	v_mul_f32_e32 v18, v12, v16
	v_and_b32_e32 v16, 0x7f800000, v18
	v_cmp_ne_u32_e32 vcc, s97, v16
                                        ; implicit-def: $vgpr16
	s_and_saveexec_b64 s[40:41], vcc
	s_xor_b64 s[40:41], exec, s[40:41]
; %bb.2309:                             ;   in Loop: Header=BB12_2237 Depth=4
	v_bfe_u32 v16, v18, 16, 1
	v_add3_u32 v16, v18, v16, s46
                                        ; implicit-def: $vgpr18
; %bb.2310:                             ;   in Loop: Header=BB12_2237 Depth=4
	s_andn2_saveexec_b64 s[40:41], s[40:41]
	s_cbranch_execz .LBB12_2312
; %bb.2311:                             ;   in Loop: Header=BB12_2237 Depth=4
	buffer_load_dword v19, off, s[0:3], s33 offset:128 ; 4-byte Folded Reload
	buffer_load_dword v20, off, s[0:3], s33 offset:132 ; 4-byte Folded Reload
	v_or_b32_e32 v16, 0x10000, v18
	s_waitcnt vmcnt(1)
	v_cmp_eq_u32_sdwa vcc, v18, v19 src0_sel:WORD_0 src1_sel:DWORD
	v_cndmask_b32_e32 v16, v16, v18, vcc
.LBB12_2312:                            ;   in Loop: Header=BB12_2237 Depth=4
	s_or_b64 exec, exec, s[40:41]
	v_and_b32_e32 v17, 0xffff0000, v17
	v_mul_f32_e32 v17, v12, v17
	v_and_b32_e32 v18, 0x7f800000, v17
	v_cmp_ne_u32_e32 vcc, s97, v18
                                        ; implicit-def: $vgpr20
	s_and_saveexec_b64 s[40:41], vcc
	s_xor_b64 s[40:41], exec, s[40:41]
	s_cbranch_execz .LBB12_2314
; %bb.2313:                             ;   in Loop: Header=BB12_2237 Depth=4
	v_bfe_u32 v18, v17, 16, 1
	s_waitcnt vmcnt(0)
	v_add3_u32 v20, v17, v18, s46
                                        ; implicit-def: $vgpr17
.LBB12_2314:                            ;   in Loop: Header=BB12_2237 Depth=4
	s_andn2_saveexec_b64 s[40:41], s[40:41]
	s_cbranch_execz .LBB12_2316
; %bb.2315:                             ;   in Loop: Header=BB12_2237 Depth=4
	buffer_load_dword v19, off, s[0:3], s33 offset:128 ; 4-byte Folded Reload
	buffer_load_dword v20, off, s[0:3], s33 offset:132 ; 4-byte Folded Reload
	v_or_b32_e32 v18, 0x10000, v17
	s_waitcnt vmcnt(1)
	v_cmp_eq_u32_sdwa vcc, v17, v19 src0_sel:WORD_0 src1_sel:DWORD
	s_waitcnt vmcnt(0)
	v_cndmask_b32_e32 v20, v18, v17, vcc
.LBB12_2316:                            ;   in Loop: Header=BB12_2237 Depth=4
	s_or_b64 exec, exec, s[40:41]
	s_waitcnt vmcnt(2)
	v_lshlrev_b32_e32 v17, 16, v15
	v_mul_f32_e32 v17, v12, v17
	v_and_b32_e32 v18, 0x7f800000, v17
	v_cmp_ne_u32_e32 vcc, s97, v18
                                        ; implicit-def: $vgpr19
	s_and_saveexec_b64 s[40:41], vcc
	s_xor_b64 s[40:41], exec, s[40:41]
; %bb.2317:                             ;   in Loop: Header=BB12_2237 Depth=4
	v_bfe_u32 v18, v17, 16, 1
	v_add3_u32 v19, v17, v18, s46
                                        ; implicit-def: $vgpr17
; %bb.2318:                             ;   in Loop: Header=BB12_2237 Depth=4
	s_andn2_saveexec_b64 s[40:41], s[40:41]
	s_cbranch_execz .LBB12_2320
; %bb.2319:                             ;   in Loop: Header=BB12_2237 Depth=4
	buffer_load_dword v21, off, s[0:3], s33 offset:128 ; 4-byte Folded Reload
	buffer_load_dword v22, off, s[0:3], s33 offset:132 ; 4-byte Folded Reload
	v_or_b32_e32 v18, 0x10000, v17
	s_waitcnt vmcnt(1)
	v_cmp_eq_u32_sdwa vcc, v17, v21 src0_sel:WORD_0 src1_sel:DWORD
	v_cndmask_b32_e32 v19, v18, v17, vcc
.LBB12_2320:                            ;   in Loop: Header=BB12_2237 Depth=4
	s_or_b64 exec, exec, s[40:41]
	v_and_b32_e32 v15, 0xffff0000, v15
	v_mul_f32_e32 v15, v12, v15
	v_and_b32_e32 v17, 0x7f800000, v15
	v_cmp_ne_u32_e32 vcc, s97, v17
                                        ; implicit-def: $vgpr17
	s_and_saveexec_b64 s[40:41], vcc
	s_xor_b64 s[40:41], exec, s[40:41]
; %bb.2321:                             ;   in Loop: Header=BB12_2237 Depth=4
	v_bfe_u32 v17, v15, 16, 1
	v_add3_u32 v17, v15, v17, s46
                                        ; implicit-def: $vgpr15
; %bb.2322:                             ;   in Loop: Header=BB12_2237 Depth=4
	s_andn2_saveexec_b64 s[40:41], s[40:41]
	s_cbranch_execz .LBB12_2324
; %bb.2323:                             ;   in Loop: Header=BB12_2237 Depth=4
	buffer_load_dword v21, off, s[0:3], s33 offset:128 ; 4-byte Folded Reload
	buffer_load_dword v22, off, s[0:3], s33 offset:132 ; 4-byte Folded Reload
	v_or_b32_e32 v17, 0x10000, v15
	s_waitcnt vmcnt(1)
	v_cmp_eq_u32_sdwa vcc, v15, v21 src0_sel:WORD_0 src1_sel:DWORD
	v_cndmask_b32_e32 v17, v17, v15, vcc
.LBB12_2324:                            ;   in Loop: Header=BB12_2237 Depth=4
	s_or_b64 exec, exec, s[40:41]
	s_waitcnt vmcnt(1)
	v_lshlrev_b32_e32 v15, 16, v14
	v_mul_f32_e32 v15, v12, v15
	v_and_b32_e32 v18, 0x7f800000, v15
	v_cmp_ne_u32_e32 vcc, s97, v18
                                        ; implicit-def: $vgpr18
	s_and_saveexec_b64 s[40:41], vcc
	s_xor_b64 s[40:41], exec, s[40:41]
; %bb.2325:                             ;   in Loop: Header=BB12_2237 Depth=4
	v_bfe_u32 v18, v15, 16, 1
	v_add3_u32 v18, v15, v18, s46
                                        ; implicit-def: $vgpr15
; %bb.2326:                             ;   in Loop: Header=BB12_2237 Depth=4
	s_andn2_saveexec_b64 s[40:41], s[40:41]
	s_cbranch_execz .LBB12_2328
; %bb.2327:                             ;   in Loop: Header=BB12_2237 Depth=4
	buffer_load_dword v21, off, s[0:3], s33 offset:128 ; 4-byte Folded Reload
	buffer_load_dword v22, off, s[0:3], s33 offset:132 ; 4-byte Folded Reload
	v_or_b32_e32 v18, 0x10000, v15
	s_waitcnt vmcnt(1)
	v_cmp_eq_u32_sdwa vcc, v15, v21 src0_sel:WORD_0 src1_sel:DWORD
	v_cndmask_b32_e32 v18, v18, v15, vcc
.LBB12_2328:                            ;   in Loop: Header=BB12_2237 Depth=4
	s_or_b64 exec, exec, s[40:41]
	v_and_b32_e32 v14, 0xffff0000, v14
	v_mul_f32_e32 v15, v12, v14
	v_and_b32_e32 v14, 0x7f800000, v15
	v_cmp_ne_u32_e32 vcc, s97, v14
                                        ; implicit-def: $vgpr14
	s_and_saveexec_b64 s[40:41], vcc
	s_xor_b64 s[40:41], exec, s[40:41]
; %bb.2329:                             ;   in Loop: Header=BB12_2237 Depth=4
	v_bfe_u32 v14, v15, 16, 1
	v_add3_u32 v14, v15, v14, s46
                                        ; implicit-def: $vgpr15
; %bb.2330:                             ;   in Loop: Header=BB12_2237 Depth=4
	s_andn2_saveexec_b64 s[40:41], s[40:41]
	s_cbranch_execz .LBB12_2332
; %bb.2331:                             ;   in Loop: Header=BB12_2237 Depth=4
	buffer_load_dword v21, off, s[0:3], s33 offset:128 ; 4-byte Folded Reload
	buffer_load_dword v22, off, s[0:3], s33 offset:132 ; 4-byte Folded Reload
	v_or_b32_e32 v14, 0x10000, v15
	s_waitcnt vmcnt(1)
	v_cmp_eq_u32_sdwa vcc, v15, v21 src0_sel:WORD_0 src1_sel:DWORD
	v_cndmask_b32_e32 v14, v14, v15, vcc
.LBB12_2332:                            ;   in Loop: Header=BB12_2237 Depth=4
	s_or_b64 exec, exec, s[40:41]
	s_waitcnt vmcnt(0)
	v_lshlrev_b32_e32 v15, 16, v13
	v_mul_f32_e32 v21, v12, v15
	v_and_b32_e32 v15, 0x7f800000, v21
	v_cmp_ne_u32_e32 vcc, s97, v15
                                        ; implicit-def: $vgpr15
	s_and_saveexec_b64 s[40:41], vcc
	s_xor_b64 s[40:41], exec, s[40:41]
; %bb.2333:                             ;   in Loop: Header=BB12_2237 Depth=4
	v_bfe_u32 v15, v21, 16, 1
	v_add3_u32 v15, v21, v15, s46
                                        ; implicit-def: $vgpr21
; %bb.2334:                             ;   in Loop: Header=BB12_2237 Depth=4
	s_andn2_saveexec_b64 s[40:41], s[40:41]
	s_cbranch_execz .LBB12_2336
; %bb.2335:                             ;   in Loop: Header=BB12_2237 Depth=4
	buffer_load_dword v22, off, s[0:3], s33 offset:128 ; 4-byte Folded Reload
	buffer_load_dword v23, off, s[0:3], s33 offset:132 ; 4-byte Folded Reload
	v_or_b32_e32 v15, 0x10000, v21
	s_waitcnt vmcnt(1)
	v_cmp_eq_u32_sdwa vcc, v21, v22 src0_sel:WORD_0 src1_sel:DWORD
	v_cndmask_b32_e32 v15, v15, v21, vcc
.LBB12_2336:                            ;   in Loop: Header=BB12_2237 Depth=4
	s_or_b64 exec, exec, s[40:41]
	v_and_b32_e32 v13, 0xffff0000, v13
	v_mul_f32_e32 v21, v12, v13
	v_and_b32_e32 v13, 0x7f800000, v21
	v_cmp_ne_u32_e32 vcc, s97, v13
                                        ; implicit-def: $vgpr13
	s_and_saveexec_b64 s[40:41], vcc
	s_xor_b64 s[40:41], exec, s[40:41]
; %bb.2337:                             ;   in Loop: Header=BB12_2237 Depth=4
	v_bfe_u32 v13, v21, 16, 1
	v_add3_u32 v13, v21, v13, s46
                                        ; implicit-def: $vgpr21
; %bb.2338:                             ;   in Loop: Header=BB12_2237 Depth=4
	s_andn2_saveexec_b64 s[40:41], s[40:41]
	s_cbranch_execz .LBB12_2340
; %bb.2339:                             ;   in Loop: Header=BB12_2237 Depth=4
	buffer_load_dword v22, off, s[0:3], s33 offset:128 ; 4-byte Folded Reload
	buffer_load_dword v23, off, s[0:3], s33 offset:132 ; 4-byte Folded Reload
	v_or_b32_e32 v13, 0x10000, v21
	s_waitcnt vmcnt(1)
	v_cmp_eq_u32_sdwa vcc, v21, v22 src0_sel:WORD_0 src1_sel:DWORD
	v_cndmask_b32_e32 v13, v13, v21, vcc
.LBB12_2340:                            ;   in Loop: Header=BB12_2237 Depth=4
	s_or_b64 exec, exec, s[40:41]
	buffer_load_dword v24, off, s[0:3], s33 offset:80
	buffer_load_dword v23, off, s[0:3], s33 offset:84
	;; [unrolled: 1-line block ×4, first 2 shown]
	v_and_b32_e32 v16, 0xffff0000, v16
	s_waitcnt vmcnt(3)
	v_lshlrev_b32_e32 v25, 16, v24
	v_add_f32_e32 v25, v16, v25
	v_and_b32_e32 v16, 0x7f800000, v25
	v_cmp_ne_u32_e32 vcc, s97, v16
                                        ; implicit-def: $vgpr16
	s_and_saveexec_b64 s[40:41], vcc
	s_xor_b64 s[40:41], exec, s[40:41]
; %bb.2341:                             ;   in Loop: Header=BB12_2237 Depth=4
	v_bfe_u32 v16, v25, 16, 1
	v_add3_u32 v16, v25, v16, s46
                                        ; implicit-def: $vgpr25
; %bb.2342:                             ;   in Loop: Header=BB12_2237 Depth=4
	s_andn2_saveexec_b64 s[40:41], s[40:41]
	s_cbranch_execz .LBB12_2344
; %bb.2343:                             ;   in Loop: Header=BB12_2237 Depth=4
	buffer_load_dword v26, off, s[0:3], s33 offset:128 ; 4-byte Folded Reload
	buffer_load_dword v27, off, s[0:3], s33 offset:132 ; 4-byte Folded Reload
	v_or_b32_e32 v16, 0x10000, v25
	s_waitcnt vmcnt(1)
	v_cmp_eq_u32_sdwa vcc, v25, v26 src0_sel:WORD_0 src1_sel:DWORD
	v_cndmask_b32_e32 v16, v16, v25, vcc
.LBB12_2344:                            ;   in Loop: Header=BB12_2237 Depth=4
	s_or_b64 exec, exec, s[40:41]
	v_and_b32_e32 v20, 0xffff0000, v20
	v_and_b32_e32 v24, 0xffff0000, v24
	v_add_f32_e32 v24, v20, v24
	v_and_b32_e32 v20, 0x7f800000, v24
	v_cmp_ne_u32_e32 vcc, s97, v20
                                        ; implicit-def: $vgpr20
	s_and_saveexec_b64 s[40:41], vcc
	s_xor_b64 s[40:41], exec, s[40:41]
; %bb.2345:                             ;   in Loop: Header=BB12_2237 Depth=4
	v_bfe_u32 v20, v24, 16, 1
	v_add3_u32 v20, v24, v20, s46
                                        ; implicit-def: $vgpr24
; %bb.2346:                             ;   in Loop: Header=BB12_2237 Depth=4
	s_andn2_saveexec_b64 s[40:41], s[40:41]
	s_cbranch_execz .LBB12_2348
; %bb.2347:                             ;   in Loop: Header=BB12_2237 Depth=4
	buffer_load_dword v25, off, s[0:3], s33 offset:128 ; 4-byte Folded Reload
	buffer_load_dword v26, off, s[0:3], s33 offset:132 ; 4-byte Folded Reload
	v_or_b32_e32 v20, 0x10000, v24
	s_waitcnt vmcnt(1)
	v_cmp_eq_u32_sdwa vcc, v24, v25 src0_sel:WORD_0 src1_sel:DWORD
	v_cndmask_b32_e32 v20, v20, v24, vcc
.LBB12_2348:                            ;   in Loop: Header=BB12_2237 Depth=4
	s_or_b64 exec, exec, s[40:41]
	v_and_b32_e32 v19, 0xffff0000, v19
	s_waitcnt vmcnt(2)
	v_lshlrev_b32_e32 v24, 16, v23
	v_add_f32_e32 v24, v19, v24
	v_and_b32_e32 v19, 0x7f800000, v24
	v_cmp_ne_u32_e32 vcc, s97, v19
                                        ; implicit-def: $vgpr19
	s_and_saveexec_b64 s[40:41], vcc
	s_xor_b64 s[40:41], exec, s[40:41]
; %bb.2349:                             ;   in Loop: Header=BB12_2237 Depth=4
	v_bfe_u32 v19, v24, 16, 1
	v_add3_u32 v19, v24, v19, s46
                                        ; implicit-def: $vgpr24
; %bb.2350:                             ;   in Loop: Header=BB12_2237 Depth=4
	s_andn2_saveexec_b64 s[40:41], s[40:41]
	s_cbranch_execz .LBB12_2352
; %bb.2351:                             ;   in Loop: Header=BB12_2237 Depth=4
	buffer_load_dword v25, off, s[0:3], s33 offset:128 ; 4-byte Folded Reload
	buffer_load_dword v26, off, s[0:3], s33 offset:132 ; 4-byte Folded Reload
	v_or_b32_e32 v19, 0x10000, v24
	s_waitcnt vmcnt(1)
	v_cmp_eq_u32_sdwa vcc, v24, v25 src0_sel:WORD_0 src1_sel:DWORD
	v_cndmask_b32_e32 v19, v19, v24, vcc
.LBB12_2352:                            ;   in Loop: Header=BB12_2237 Depth=4
	s_or_b64 exec, exec, s[40:41]
	v_and_b32_e32 v23, 0xffff0000, v23
	v_and_b32_e32 v17, 0xffff0000, v17
	v_add_f32_e32 v23, v17, v23
	v_and_b32_e32 v17, 0x7f800000, v23
	v_cmp_ne_u32_e32 vcc, s97, v17
                                        ; implicit-def: $vgpr17
	s_and_saveexec_b64 s[40:41], vcc
	s_xor_b64 s[40:41], exec, s[40:41]
; %bb.2353:                             ;   in Loop: Header=BB12_2237 Depth=4
	v_bfe_u32 v17, v23, 16, 1
	v_add3_u32 v17, v23, v17, s46
                                        ; implicit-def: $vgpr23
; %bb.2354:                             ;   in Loop: Header=BB12_2237 Depth=4
	s_andn2_saveexec_b64 s[40:41], s[40:41]
	s_cbranch_execz .LBB12_2356
; %bb.2355:                             ;   in Loop: Header=BB12_2237 Depth=4
	buffer_load_dword v24, off, s[0:3], s33 offset:128 ; 4-byte Folded Reload
	buffer_load_dword v25, off, s[0:3], s33 offset:132 ; 4-byte Folded Reload
	v_or_b32_e32 v17, 0x10000, v23
	s_waitcnt vmcnt(1)
	v_cmp_eq_u32_sdwa vcc, v23, v24 src0_sel:WORD_0 src1_sel:DWORD
	v_cndmask_b32_e32 v17, v17, v23, vcc
.LBB12_2356:                            ;   in Loop: Header=BB12_2237 Depth=4
	s_or_b64 exec, exec, s[40:41]
	v_and_b32_e32 v18, 0xffff0000, v18
	s_waitcnt vmcnt(1)
	v_lshlrev_b32_e32 v23, 16, v22
	v_add_f32_e32 v23, v18, v23
	v_and_b32_e32 v18, 0x7f800000, v23
	v_cmp_ne_u32_e32 vcc, s97, v18
                                        ; implicit-def: $vgpr18
	s_and_saveexec_b64 s[40:41], vcc
	s_xor_b64 s[40:41], exec, s[40:41]
; %bb.2357:                             ;   in Loop: Header=BB12_2237 Depth=4
	v_bfe_u32 v18, v23, 16, 1
	v_add3_u32 v18, v23, v18, s46
                                        ; implicit-def: $vgpr23
; %bb.2358:                             ;   in Loop: Header=BB12_2237 Depth=4
	s_andn2_saveexec_b64 s[40:41], s[40:41]
	s_cbranch_execz .LBB12_2360
; %bb.2359:                             ;   in Loop: Header=BB12_2237 Depth=4
	buffer_load_dword v24, off, s[0:3], s33 offset:128 ; 4-byte Folded Reload
	buffer_load_dword v25, off, s[0:3], s33 offset:132 ; 4-byte Folded Reload
	v_or_b32_e32 v18, 0x10000, v23
	s_waitcnt vmcnt(1)
	v_cmp_eq_u32_sdwa vcc, v23, v24 src0_sel:WORD_0 src1_sel:DWORD
	v_cndmask_b32_e32 v18, v18, v23, vcc
.LBB12_2360:                            ;   in Loop: Header=BB12_2237 Depth=4
	s_or_b64 exec, exec, s[40:41]
	v_and_b32_e32 v22, 0xffff0000, v22
	v_and_b32_e32 v14, 0xffff0000, v14
	v_add_f32_e32 v22, v14, v22
	v_and_b32_e32 v14, 0x7f800000, v22
	v_cmp_ne_u32_e32 vcc, s97, v14
                                        ; implicit-def: $vgpr14
	s_and_saveexec_b64 s[40:41], vcc
	s_xor_b64 s[40:41], exec, s[40:41]
; %bb.2361:                             ;   in Loop: Header=BB12_2237 Depth=4
	v_bfe_u32 v14, v22, 16, 1
	v_add3_u32 v14, v22, v14, s46
                                        ; implicit-def: $vgpr22
; %bb.2362:                             ;   in Loop: Header=BB12_2237 Depth=4
	s_andn2_saveexec_b64 s[40:41], s[40:41]
	s_cbranch_execz .LBB12_2364
; %bb.2363:                             ;   in Loop: Header=BB12_2237 Depth=4
	buffer_load_dword v23, off, s[0:3], s33 offset:128 ; 4-byte Folded Reload
	buffer_load_dword v24, off, s[0:3], s33 offset:132 ; 4-byte Folded Reload
	v_or_b32_e32 v14, 0x10000, v22
	s_waitcnt vmcnt(1)
	v_cmp_eq_u32_sdwa vcc, v22, v23 src0_sel:WORD_0 src1_sel:DWORD
	v_cndmask_b32_e32 v14, v14, v22, vcc
.LBB12_2364:                            ;   in Loop: Header=BB12_2237 Depth=4
	s_or_b64 exec, exec, s[40:41]
	v_and_b32_e32 v15, 0xffff0000, v15
	s_waitcnt vmcnt(0)
	v_lshlrev_b32_e32 v22, 16, v21
	v_add_f32_e32 v22, v15, v22
	v_and_b32_e32 v15, 0x7f800000, v22
	v_cmp_ne_u32_e32 vcc, s97, v15
                                        ; implicit-def: $vgpr15
	s_and_saveexec_b64 s[40:41], vcc
	s_xor_b64 s[40:41], exec, s[40:41]
; %bb.2365:                             ;   in Loop: Header=BB12_2237 Depth=4
	v_bfe_u32 v15, v22, 16, 1
	v_add3_u32 v15, v22, v15, s46
                                        ; implicit-def: $vgpr22
; %bb.2366:                             ;   in Loop: Header=BB12_2237 Depth=4
	s_andn2_saveexec_b64 s[40:41], s[40:41]
	s_cbranch_execz .LBB12_2368
; %bb.2367:                             ;   in Loop: Header=BB12_2237 Depth=4
	buffer_load_dword v23, off, s[0:3], s33 offset:128 ; 4-byte Folded Reload
	buffer_load_dword v24, off, s[0:3], s33 offset:132 ; 4-byte Folded Reload
	v_or_b32_e32 v15, 0x10000, v22
	s_waitcnt vmcnt(1)
	v_cmp_eq_u32_sdwa vcc, v22, v23 src0_sel:WORD_0 src1_sel:DWORD
	v_cndmask_b32_e32 v15, v15, v22, vcc
.LBB12_2368:                            ;   in Loop: Header=BB12_2237 Depth=4
	s_or_b64 exec, exec, s[40:41]
	v_and_b32_e32 v21, 0xffff0000, v21
	v_and_b32_e32 v13, 0xffff0000, v13
	v_add_f32_e32 v21, v13, v21
	v_and_b32_e32 v13, 0x7f800000, v21
	v_cmp_ne_u32_e32 vcc, s97, v13
                                        ; implicit-def: $vgpr13
	s_and_saveexec_b64 s[40:41], vcc
	s_xor_b64 s[40:41], exec, s[40:41]
; %bb.2369:                             ;   in Loop: Header=BB12_2237 Depth=4
	v_bfe_u32 v13, v21, 16, 1
	v_add3_u32 v13, v21, v13, s46
                                        ; implicit-def: $vgpr21
; %bb.2370:                             ;   in Loop: Header=BB12_2237 Depth=4
	s_andn2_saveexec_b64 s[40:41], s[40:41]
	s_cbranch_execz .LBB12_2372
; %bb.2371:                             ;   in Loop: Header=BB12_2237 Depth=4
	buffer_load_dword v22, off, s[0:3], s33 offset:128 ; 4-byte Folded Reload
	buffer_load_dword v23, off, s[0:3], s33 offset:132 ; 4-byte Folded Reload
	v_or_b32_e32 v13, 0x10000, v21
	s_waitcnt vmcnt(1)
	v_cmp_eq_u32_sdwa vcc, v21, v22 src0_sel:WORD_0 src1_sel:DWORD
	v_cndmask_b32_e32 v13, v13, v21, vcc
.LBB12_2372:                            ;   in Loop: Header=BB12_2237 Depth=4
	s_or_b64 exec, exec, s[40:41]
	buffer_load_dword v21, off, s[0:3], s33 offset:152 ; 4-byte Folded Reload
	v_lshrrev_b32_e32 v18, 16, v18
	v_lshrrev_b32_e32 v19, 16, v19
	;; [unrolled: 1-line block ×3, first 2 shown]
	v_and_or_b32 v18, v14, s47, v18
	v_lshrrev_b32_e32 v14, 16, v15
	v_and_or_b32 v17, v17, s47, v19
	v_and_or_b32 v16, v20, s47, v16
	;; [unrolled: 1-line block ×3, first 2 shown]
	buffer_store_dword v17, off, s[0:3], s33 offset:68
	buffer_store_dword v16, off, s[0:3], s33 offset:64
	;; [unrolled: 1-line block ×4, first 2 shown]
	global_store_dwordx4 v[0:1], v[16:19], off glc slc
	v_add_co_u32_e32 v0, vcc, 0x400, v0
	v_addc_co_u32_e32 v1, vcc, 0, v1, vcc
	s_waitcnt vmcnt(5)
	v_sub_u32_e32 v8, v8, v21
	s_and_saveexec_b64 s[40:41], s[34:35]
	s_cbranch_execz .LBB12_2236
; %bb.2373:                             ;   in Loop: Header=BB12_2237 Depth=4
	buffer_load_dword v13, off, s[0:3], s33 offset:412 ; 4-byte Folded Reload
	buffer_load_dword v14, off, s[0:3], s33 offset:416 ; 4-byte Folded Reload
	s_waitcnt vmcnt(1)
	v_add_co_u32_e32 v7, vcc, v7, v13
	s_waitcnt vmcnt(0)
	v_addc_co_u32_e32 v9, vcc, v9, v14, vcc
	v_add_co_u32_e32 v10, vcc, v10, v13
	v_addc_co_u32_e32 v11, vcc, v11, v14, vcc
	v_add_co_u32_e32 v0, vcc, v0, v13
	buffer_load_dword v13, off, s[0:3], s33 offset:384 ; 4-byte Folded Reload
	v_addc_co_u32_e32 v1, vcc, v1, v14, vcc
	s_waitcnt vmcnt(0)
	v_sub_u32_e32 v6, v6, v13
	buffer_load_dword v13, off, s[0:3], s33 offset:152 ; 4-byte Folded Reload
	s_waitcnt vmcnt(0)
	v_sub_u32_e32 v8, v8, v13
	s_branch .LBB12_2236
.LBB12_2374:                            ;   in Loop: Header=BB12_1371 Depth=3
	s_or_b64 exec, exec, s[94:95]
	s_and_b64 s[94:95], s[30:31], exec
.LBB12_2375:                            ;   in Loop: Header=BB12_1371 Depth=3
	s_or_b64 exec, exec, s[92:93]
	s_and_saveexec_b64 s[40:41], s[94:95]
	s_cbranch_execz .LBB12_2441
; %bb.2376:                             ;   in Loop: Header=BB12_1371 Depth=3
	s_trap 2
	buffer_load_dword v11, off, s[0:3], s33 offset:96
	buffer_load_dword v9, off, s[0:3], s33 offset:100
	;; [unrolled: 1-line block ×4, first 2 shown]
	ds_read_b32 v10, v0
	s_waitcnt lgkmcnt(0)
	v_lshlrev_b32_e32 v15, 16, v10
	s_waitcnt vmcnt(3)
	v_lshlrev_b32_e32 v10, 16, v11
	v_mul_f32_e32 v12, v15, v10
	v_and_b32_e32 v10, 0x7f800000, v12
	v_cmp_ne_u32_e32 vcc, s97, v10
                                        ; implicit-def: $vgpr10
	s_and_saveexec_b64 s[92:93], vcc
	s_xor_b64 s[92:93], exec, s[92:93]
; %bb.2377:                             ;   in Loop: Header=BB12_1371 Depth=3
	v_bfe_u32 v10, v12, 16, 1
	v_add3_u32 v10, v12, v10, s46
                                        ; implicit-def: $vgpr12
; %bb.2378:                             ;   in Loop: Header=BB12_1371 Depth=3
	s_andn2_saveexec_b64 s[92:93], s[92:93]
	s_cbranch_execz .LBB12_2380
; %bb.2379:                             ;   in Loop: Header=BB12_1371 Depth=3
	buffer_load_dword v13, off, s[0:3], s33 offset:128 ; 4-byte Folded Reload
	buffer_load_dword v14, off, s[0:3], s33 offset:132 ; 4-byte Folded Reload
	v_or_b32_e32 v10, 0x10000, v12
	s_waitcnt vmcnt(1)
	v_cmp_eq_u32_sdwa vcc, v12, v13 src0_sel:WORD_0 src1_sel:DWORD
	v_cndmask_b32_e32 v10, v10, v12, vcc
.LBB12_2380:                            ;   in Loop: Header=BB12_1371 Depth=3
	s_or_b64 exec, exec, s[92:93]
	v_and_b32_e32 v11, 0xffff0000, v11
	v_mul_f32_e32 v11, v15, v11
	v_and_b32_e32 v12, 0x7f800000, v11
	v_cmp_ne_u32_e32 vcc, s97, v12
                                        ; implicit-def: $vgpr14
	s_and_saveexec_b64 s[92:93], vcc
	s_xor_b64 s[92:93], exec, s[92:93]
	s_cbranch_execz .LBB12_2382
; %bb.2381:                             ;   in Loop: Header=BB12_1371 Depth=3
	v_bfe_u32 v12, v11, 16, 1
	s_waitcnt vmcnt(0)
	v_add3_u32 v14, v11, v12, s46
                                        ; implicit-def: $vgpr11
.LBB12_2382:                            ;   in Loop: Header=BB12_1371 Depth=3
	s_andn2_saveexec_b64 s[92:93], s[92:93]
	s_cbranch_execz .LBB12_2384
; %bb.2383:                             ;   in Loop: Header=BB12_1371 Depth=3
	buffer_load_dword v13, off, s[0:3], s33 offset:128 ; 4-byte Folded Reload
	buffer_load_dword v14, off, s[0:3], s33 offset:132 ; 4-byte Folded Reload
	v_or_b32_e32 v12, 0x10000, v11
	s_waitcnt vmcnt(1)
	v_cmp_eq_u32_sdwa vcc, v11, v13 src0_sel:WORD_0 src1_sel:DWORD
	s_waitcnt vmcnt(0)
	v_cndmask_b32_e32 v14, v12, v11, vcc
.LBB12_2384:                            ;   in Loop: Header=BB12_1371 Depth=3
	s_or_b64 exec, exec, s[92:93]
	s_waitcnt vmcnt(2)
	v_lshlrev_b32_e32 v11, 16, v9
	v_mul_f32_e32 v11, v15, v11
	v_and_b32_e32 v12, 0x7f800000, v11
	v_cmp_ne_u32_e32 vcc, s97, v12
                                        ; implicit-def: $vgpr13
	s_and_saveexec_b64 s[92:93], vcc
	s_xor_b64 s[92:93], exec, s[92:93]
; %bb.2385:                             ;   in Loop: Header=BB12_1371 Depth=3
	v_bfe_u32 v12, v11, 16, 1
	v_add3_u32 v13, v11, v12, s46
                                        ; implicit-def: $vgpr11
; %bb.2386:                             ;   in Loop: Header=BB12_1371 Depth=3
	s_andn2_saveexec_b64 s[92:93], s[92:93]
	s_cbranch_execz .LBB12_2388
; %bb.2387:                             ;   in Loop: Header=BB12_1371 Depth=3
	buffer_load_dword v16, off, s[0:3], s33 offset:128 ; 4-byte Folded Reload
	buffer_load_dword v17, off, s[0:3], s33 offset:132 ; 4-byte Folded Reload
	v_or_b32_e32 v12, 0x10000, v11
	s_waitcnt vmcnt(1)
	v_cmp_eq_u32_sdwa vcc, v11, v16 src0_sel:WORD_0 src1_sel:DWORD
	v_cndmask_b32_e32 v13, v12, v11, vcc
.LBB12_2388:                            ;   in Loop: Header=BB12_1371 Depth=3
	s_or_b64 exec, exec, s[92:93]
	v_and_b32_e32 v9, 0xffff0000, v9
	v_mul_f32_e32 v9, v15, v9
	v_and_b32_e32 v11, 0x7f800000, v9
	v_cmp_ne_u32_e32 vcc, s97, v11
                                        ; implicit-def: $vgpr11
	s_and_saveexec_b64 s[92:93], vcc
	s_xor_b64 s[92:93], exec, s[92:93]
; %bb.2389:                             ;   in Loop: Header=BB12_1371 Depth=3
	v_bfe_u32 v11, v9, 16, 1
	v_add3_u32 v11, v9, v11, s46
                                        ; implicit-def: $vgpr9
; %bb.2390:                             ;   in Loop: Header=BB12_1371 Depth=3
	s_andn2_saveexec_b64 s[92:93], s[92:93]
	s_cbranch_execz .LBB12_2392
; %bb.2391:                             ;   in Loop: Header=BB12_1371 Depth=3
	buffer_load_dword v16, off, s[0:3], s33 offset:128 ; 4-byte Folded Reload
	buffer_load_dword v17, off, s[0:3], s33 offset:132 ; 4-byte Folded Reload
	v_or_b32_e32 v11, 0x10000, v9
	s_waitcnt vmcnt(1)
	v_cmp_eq_u32_sdwa vcc, v9, v16 src0_sel:WORD_0 src1_sel:DWORD
	v_cndmask_b32_e32 v11, v11, v9, vcc
.LBB12_2392:                            ;   in Loop: Header=BB12_1371 Depth=3
	s_or_b64 exec, exec, s[92:93]
	s_waitcnt vmcnt(1)
	v_lshlrev_b32_e32 v9, 16, v7
	v_mul_f32_e32 v9, v15, v9
	v_and_b32_e32 v12, 0x7f800000, v9
	v_cmp_ne_u32_e32 vcc, s97, v12
                                        ; implicit-def: $vgpr12
	s_and_saveexec_b64 s[92:93], vcc
	s_xor_b64 s[92:93], exec, s[92:93]
; %bb.2393:                             ;   in Loop: Header=BB12_1371 Depth=3
	v_bfe_u32 v12, v9, 16, 1
	v_add3_u32 v12, v9, v12, s46
                                        ; implicit-def: $vgpr9
; %bb.2394:                             ;   in Loop: Header=BB12_1371 Depth=3
	s_andn2_saveexec_b64 s[92:93], s[92:93]
	s_cbranch_execz .LBB12_2396
; %bb.2395:                             ;   in Loop: Header=BB12_1371 Depth=3
	buffer_load_dword v16, off, s[0:3], s33 offset:128 ; 4-byte Folded Reload
	buffer_load_dword v17, off, s[0:3], s33 offset:132 ; 4-byte Folded Reload
	v_or_b32_e32 v12, 0x10000, v9
	s_waitcnt vmcnt(1)
	v_cmp_eq_u32_sdwa vcc, v9, v16 src0_sel:WORD_0 src1_sel:DWORD
	v_cndmask_b32_e32 v12, v12, v9, vcc
.LBB12_2396:                            ;   in Loop: Header=BB12_1371 Depth=3
	s_or_b64 exec, exec, s[92:93]
	v_and_b32_e32 v7, 0xffff0000, v7
	v_mul_f32_e32 v9, v15, v7
	v_and_b32_e32 v7, 0x7f800000, v9
	v_cmp_ne_u32_e32 vcc, s97, v7
                                        ; implicit-def: $vgpr7
	s_and_saveexec_b64 s[92:93], vcc
	s_xor_b64 s[92:93], exec, s[92:93]
; %bb.2397:                             ;   in Loop: Header=BB12_1371 Depth=3
	v_bfe_u32 v7, v9, 16, 1
	v_add3_u32 v7, v9, v7, s46
                                        ; implicit-def: $vgpr9
; %bb.2398:                             ;   in Loop: Header=BB12_1371 Depth=3
	s_andn2_saveexec_b64 s[92:93], s[92:93]
	s_cbranch_execz .LBB12_2400
; %bb.2399:                             ;   in Loop: Header=BB12_1371 Depth=3
	buffer_load_dword v16, off, s[0:3], s33 offset:128 ; 4-byte Folded Reload
	buffer_load_dword v17, off, s[0:3], s33 offset:132 ; 4-byte Folded Reload
	v_or_b32_e32 v7, 0x10000, v9
	s_waitcnt vmcnt(1)
	v_cmp_eq_u32_sdwa vcc, v9, v16 src0_sel:WORD_0 src1_sel:DWORD
	v_cndmask_b32_e32 v7, v7, v9, vcc
.LBB12_2400:                            ;   in Loop: Header=BB12_1371 Depth=3
	s_or_b64 exec, exec, s[92:93]
	s_waitcnt vmcnt(0)
	v_lshlrev_b32_e32 v9, 16, v6
	v_mul_f32_e32 v16, v15, v9
	v_and_b32_e32 v9, 0x7f800000, v16
	v_cmp_ne_u32_e32 vcc, s97, v9
                                        ; implicit-def: $vgpr9
	s_and_saveexec_b64 s[92:93], vcc
	s_xor_b64 s[92:93], exec, s[92:93]
; %bb.2401:                             ;   in Loop: Header=BB12_1371 Depth=3
	v_bfe_u32 v9, v16, 16, 1
	v_add3_u32 v9, v16, v9, s46
                                        ; implicit-def: $vgpr16
; %bb.2402:                             ;   in Loop: Header=BB12_1371 Depth=3
	s_andn2_saveexec_b64 s[92:93], s[92:93]
	s_cbranch_execz .LBB12_2404
; %bb.2403:                             ;   in Loop: Header=BB12_1371 Depth=3
	buffer_load_dword v17, off, s[0:3], s33 offset:128 ; 4-byte Folded Reload
	buffer_load_dword v18, off, s[0:3], s33 offset:132 ; 4-byte Folded Reload
	v_or_b32_e32 v9, 0x10000, v16
	s_waitcnt vmcnt(1)
	v_cmp_eq_u32_sdwa vcc, v16, v17 src0_sel:WORD_0 src1_sel:DWORD
	v_cndmask_b32_e32 v9, v9, v16, vcc
.LBB12_2404:                            ;   in Loop: Header=BB12_1371 Depth=3
	s_or_b64 exec, exec, s[92:93]
	v_and_b32_e32 v6, 0xffff0000, v6
	v_mul_f32_e32 v15, v15, v6
	v_and_b32_e32 v6, 0x7f800000, v15
	v_cmp_ne_u32_e32 vcc, s97, v6
                                        ; implicit-def: $vgpr6
	s_and_saveexec_b64 s[92:93], vcc
	s_xor_b64 s[92:93], exec, s[92:93]
; %bb.2405:                             ;   in Loop: Header=BB12_1371 Depth=3
	v_bfe_u32 v6, v15, 16, 1
	v_add3_u32 v6, v15, v6, s46
                                        ; implicit-def: $vgpr15
; %bb.2406:                             ;   in Loop: Header=BB12_1371 Depth=3
	s_andn2_saveexec_b64 s[92:93], s[92:93]
	s_cbranch_execz .LBB12_2408
; %bb.2407:                             ;   in Loop: Header=BB12_1371 Depth=3
	buffer_load_dword v16, off, s[0:3], s33 offset:128 ; 4-byte Folded Reload
	buffer_load_dword v17, off, s[0:3], s33 offset:132 ; 4-byte Folded Reload
	v_or_b32_e32 v6, 0x10000, v15
	s_waitcnt vmcnt(1)
	v_cmp_eq_u32_sdwa vcc, v15, v16 src0_sel:WORD_0 src1_sel:DWORD
	v_cndmask_b32_e32 v6, v6, v15, vcc
.LBB12_2408:                            ;   in Loop: Header=BB12_1371 Depth=3
	s_or_b64 exec, exec, s[92:93]
	buffer_load_dword v18, off, s[0:3], s33 offset:112
	buffer_load_dword v17, off, s[0:3], s33 offset:116
	;; [unrolled: 1-line block ×4, first 2 shown]
	v_and_b32_e32 v10, 0xffff0000, v10
	s_waitcnt vmcnt(3)
	v_lshlrev_b32_e32 v19, 16, v18
	v_add_f32_e32 v19, v10, v19
	v_and_b32_e32 v10, 0x7f800000, v19
	v_cmp_ne_u32_e32 vcc, s97, v10
                                        ; implicit-def: $vgpr10
	s_and_saveexec_b64 s[92:93], vcc
	s_xor_b64 s[92:93], exec, s[92:93]
; %bb.2409:                             ;   in Loop: Header=BB12_1371 Depth=3
	v_bfe_u32 v10, v19, 16, 1
	v_add3_u32 v10, v19, v10, s46
                                        ; implicit-def: $vgpr19
; %bb.2410:                             ;   in Loop: Header=BB12_1371 Depth=3
	s_andn2_saveexec_b64 s[92:93], s[92:93]
	s_cbranch_execz .LBB12_2412
; %bb.2411:                             ;   in Loop: Header=BB12_1371 Depth=3
	buffer_load_dword v20, off, s[0:3], s33 offset:128 ; 4-byte Folded Reload
	buffer_load_dword v21, off, s[0:3], s33 offset:132 ; 4-byte Folded Reload
	v_or_b32_e32 v10, 0x10000, v19
	s_waitcnt vmcnt(1)
	v_cmp_eq_u32_sdwa vcc, v19, v20 src0_sel:WORD_0 src1_sel:DWORD
	v_cndmask_b32_e32 v10, v10, v19, vcc
.LBB12_2412:                            ;   in Loop: Header=BB12_1371 Depth=3
	s_or_b64 exec, exec, s[92:93]
	v_and_b32_e32 v14, 0xffff0000, v14
	v_and_b32_e32 v18, 0xffff0000, v18
	v_add_f32_e32 v18, v14, v18
	v_and_b32_e32 v14, 0x7f800000, v18
	v_cmp_ne_u32_e32 vcc, s97, v14
                                        ; implicit-def: $vgpr14
	s_and_saveexec_b64 s[92:93], vcc
	s_xor_b64 s[92:93], exec, s[92:93]
; %bb.2413:                             ;   in Loop: Header=BB12_1371 Depth=3
	v_bfe_u32 v14, v18, 16, 1
	v_add3_u32 v14, v18, v14, s46
                                        ; implicit-def: $vgpr18
; %bb.2414:                             ;   in Loop: Header=BB12_1371 Depth=3
	s_andn2_saveexec_b64 s[92:93], s[92:93]
	s_cbranch_execz .LBB12_2416
; %bb.2415:                             ;   in Loop: Header=BB12_1371 Depth=3
	buffer_load_dword v19, off, s[0:3], s33 offset:128 ; 4-byte Folded Reload
	buffer_load_dword v20, off, s[0:3], s33 offset:132 ; 4-byte Folded Reload
	v_or_b32_e32 v14, 0x10000, v18
	s_waitcnt vmcnt(1)
	v_cmp_eq_u32_sdwa vcc, v18, v19 src0_sel:WORD_0 src1_sel:DWORD
	v_cndmask_b32_e32 v14, v14, v18, vcc
.LBB12_2416:                            ;   in Loop: Header=BB12_1371 Depth=3
	s_or_b64 exec, exec, s[92:93]
	v_and_b32_e32 v13, 0xffff0000, v13
	s_waitcnt vmcnt(2)
	v_lshlrev_b32_e32 v18, 16, v17
	v_add_f32_e32 v18, v13, v18
	v_and_b32_e32 v13, 0x7f800000, v18
	v_cmp_ne_u32_e32 vcc, s97, v13
                                        ; implicit-def: $vgpr13
	s_and_saveexec_b64 s[92:93], vcc
	s_xor_b64 s[92:93], exec, s[92:93]
; %bb.2417:                             ;   in Loop: Header=BB12_1371 Depth=3
	v_bfe_u32 v13, v18, 16, 1
	v_add3_u32 v13, v18, v13, s46
                                        ; implicit-def: $vgpr18
; %bb.2418:                             ;   in Loop: Header=BB12_1371 Depth=3
	s_andn2_saveexec_b64 s[92:93], s[92:93]
	s_cbranch_execz .LBB12_2420
; %bb.2419:                             ;   in Loop: Header=BB12_1371 Depth=3
	buffer_load_dword v19, off, s[0:3], s33 offset:128 ; 4-byte Folded Reload
	buffer_load_dword v20, off, s[0:3], s33 offset:132 ; 4-byte Folded Reload
	v_or_b32_e32 v13, 0x10000, v18
	s_waitcnt vmcnt(1)
	v_cmp_eq_u32_sdwa vcc, v18, v19 src0_sel:WORD_0 src1_sel:DWORD
	v_cndmask_b32_e32 v13, v13, v18, vcc
.LBB12_2420:                            ;   in Loop: Header=BB12_1371 Depth=3
	s_or_b64 exec, exec, s[92:93]
	v_and_b32_e32 v17, 0xffff0000, v17
	v_and_b32_e32 v11, 0xffff0000, v11
	v_add_f32_e32 v17, v11, v17
	v_and_b32_e32 v11, 0x7f800000, v17
	v_cmp_ne_u32_e32 vcc, s97, v11
                                        ; implicit-def: $vgpr11
	s_and_saveexec_b64 s[92:93], vcc
	s_xor_b64 s[92:93], exec, s[92:93]
; %bb.2421:                             ;   in Loop: Header=BB12_1371 Depth=3
	v_bfe_u32 v11, v17, 16, 1
	v_add3_u32 v11, v17, v11, s46
                                        ; implicit-def: $vgpr17
; %bb.2422:                             ;   in Loop: Header=BB12_1371 Depth=3
	s_andn2_saveexec_b64 s[92:93], s[92:93]
	s_cbranch_execz .LBB12_2424
; %bb.2423:                             ;   in Loop: Header=BB12_1371 Depth=3
	buffer_load_dword v18, off, s[0:3], s33 offset:128 ; 4-byte Folded Reload
	buffer_load_dword v19, off, s[0:3], s33 offset:132 ; 4-byte Folded Reload
	v_or_b32_e32 v11, 0x10000, v17
	s_waitcnt vmcnt(1)
	v_cmp_eq_u32_sdwa vcc, v17, v18 src0_sel:WORD_0 src1_sel:DWORD
	v_cndmask_b32_e32 v11, v11, v17, vcc
.LBB12_2424:                            ;   in Loop: Header=BB12_1371 Depth=3
	s_or_b64 exec, exec, s[92:93]
	v_and_b32_e32 v12, 0xffff0000, v12
	s_waitcnt vmcnt(1)
	v_lshlrev_b32_e32 v17, 16, v16
	v_add_f32_e32 v17, v12, v17
	v_and_b32_e32 v12, 0x7f800000, v17
	v_cmp_ne_u32_e32 vcc, s97, v12
                                        ; implicit-def: $vgpr12
	s_and_saveexec_b64 s[92:93], vcc
	s_xor_b64 s[92:93], exec, s[92:93]
; %bb.2425:                             ;   in Loop: Header=BB12_1371 Depth=3
	v_bfe_u32 v12, v17, 16, 1
	v_add3_u32 v12, v17, v12, s46
                                        ; implicit-def: $vgpr17
; %bb.2426:                             ;   in Loop: Header=BB12_1371 Depth=3
	s_andn2_saveexec_b64 s[92:93], s[92:93]
	s_cbranch_execz .LBB12_2428
; %bb.2427:                             ;   in Loop: Header=BB12_1371 Depth=3
	buffer_load_dword v18, off, s[0:3], s33 offset:128 ; 4-byte Folded Reload
	buffer_load_dword v19, off, s[0:3], s33 offset:132 ; 4-byte Folded Reload
	v_or_b32_e32 v12, 0x10000, v17
	s_waitcnt vmcnt(1)
	v_cmp_eq_u32_sdwa vcc, v17, v18 src0_sel:WORD_0 src1_sel:DWORD
	v_cndmask_b32_e32 v12, v12, v17, vcc
.LBB12_2428:                            ;   in Loop: Header=BB12_1371 Depth=3
	s_or_b64 exec, exec, s[92:93]
	v_and_b32_e32 v16, 0xffff0000, v16
	v_and_b32_e32 v7, 0xffff0000, v7
	v_add_f32_e32 v16, v7, v16
	v_and_b32_e32 v7, 0x7f800000, v16
	v_cmp_ne_u32_e32 vcc, s97, v7
                                        ; implicit-def: $vgpr7
	s_and_saveexec_b64 s[92:93], vcc
	s_xor_b64 s[92:93], exec, s[92:93]
; %bb.2429:                             ;   in Loop: Header=BB12_1371 Depth=3
	v_bfe_u32 v7, v16, 16, 1
	v_add3_u32 v7, v16, v7, s46
                                        ; implicit-def: $vgpr16
; %bb.2430:                             ;   in Loop: Header=BB12_1371 Depth=3
	s_andn2_saveexec_b64 s[92:93], s[92:93]
	s_cbranch_execz .LBB12_2432
; %bb.2431:                             ;   in Loop: Header=BB12_1371 Depth=3
	buffer_load_dword v17, off, s[0:3], s33 offset:128 ; 4-byte Folded Reload
	buffer_load_dword v18, off, s[0:3], s33 offset:132 ; 4-byte Folded Reload
	v_or_b32_e32 v7, 0x10000, v16
	s_waitcnt vmcnt(1)
	v_cmp_eq_u32_sdwa vcc, v16, v17 src0_sel:WORD_0 src1_sel:DWORD
	v_cndmask_b32_e32 v7, v7, v16, vcc
.LBB12_2432:                            ;   in Loop: Header=BB12_1371 Depth=3
	s_or_b64 exec, exec, s[92:93]
	v_and_b32_e32 v9, 0xffff0000, v9
	s_waitcnt vmcnt(0)
	v_lshlrev_b32_e32 v16, 16, v15
	v_add_f32_e32 v16, v9, v16
	v_and_b32_e32 v9, 0x7f800000, v16
	v_cmp_ne_u32_e32 vcc, s97, v9
                                        ; implicit-def: $vgpr9
	s_and_saveexec_b64 s[92:93], vcc
	s_xor_b64 s[92:93], exec, s[92:93]
; %bb.2433:                             ;   in Loop: Header=BB12_1371 Depth=3
	v_bfe_u32 v9, v16, 16, 1
	v_add3_u32 v9, v16, v9, s46
                                        ; implicit-def: $vgpr16
; %bb.2434:                             ;   in Loop: Header=BB12_1371 Depth=3
	s_andn2_saveexec_b64 s[92:93], s[92:93]
	s_cbranch_execz .LBB12_2436
; %bb.2435:                             ;   in Loop: Header=BB12_1371 Depth=3
	buffer_load_dword v17, off, s[0:3], s33 offset:128 ; 4-byte Folded Reload
	buffer_load_dword v18, off, s[0:3], s33 offset:132 ; 4-byte Folded Reload
	v_or_b32_e32 v9, 0x10000, v16
	s_waitcnt vmcnt(1)
	v_cmp_eq_u32_sdwa vcc, v16, v17 src0_sel:WORD_0 src1_sel:DWORD
	v_cndmask_b32_e32 v9, v9, v16, vcc
.LBB12_2436:                            ;   in Loop: Header=BB12_1371 Depth=3
	s_or_b64 exec, exec, s[92:93]
	v_and_b32_e32 v15, 0xffff0000, v15
	v_and_b32_e32 v6, 0xffff0000, v6
	v_add_f32_e32 v15, v6, v15
	v_and_b32_e32 v6, 0x7f800000, v15
	v_cmp_ne_u32_e32 vcc, s97, v6
                                        ; implicit-def: $vgpr6
	s_and_saveexec_b64 s[92:93], vcc
	s_xor_b64 s[92:93], exec, s[92:93]
; %bb.2437:                             ;   in Loop: Header=BB12_1371 Depth=3
	v_bfe_u32 v6, v15, 16, 1
	v_add3_u32 v6, v15, v6, s46
                                        ; implicit-def: $vgpr15
; %bb.2438:                             ;   in Loop: Header=BB12_1371 Depth=3
	s_andn2_saveexec_b64 s[92:93], s[92:93]
	s_cbranch_execz .LBB12_2440
; %bb.2439:                             ;   in Loop: Header=BB12_1371 Depth=3
	buffer_load_dword v16, off, s[0:3], s33 offset:128 ; 4-byte Folded Reload
	buffer_load_dword v17, off, s[0:3], s33 offset:132 ; 4-byte Folded Reload
	v_or_b32_e32 v6, 0x10000, v15
	s_waitcnt vmcnt(1)
	v_cmp_eq_u32_sdwa vcc, v15, v16 src0_sel:WORD_0 src1_sel:DWORD
	v_cndmask_b32_e32 v6, v6, v15, vcc
.LBB12_2440:                            ;   in Loop: Header=BB12_1371 Depth=3
	s_or_b64 exec, exec, s[92:93]
	v_lshrrev_b32_e32 v12, 16, v12
	v_lshrrev_b32_e32 v13, 16, v13
	;; [unrolled: 1-line block ×3, first 2 shown]
	v_and_or_b32 v12, v7, s47, v12
	v_lshrrev_b32_e32 v7, 16, v9
	v_and_or_b32 v11, v11, s47, v13
	v_and_or_b32 v10, v14, s47, v10
	;; [unrolled: 1-line block ×3, first 2 shown]
	global_store_dwordx4 v[0:1], v[10:13], off glc slc
.LBB12_2441:                            ;   in Loop: Header=BB12_1371 Depth=3
	s_or_b64 exec, exec, s[40:41]
	v_and_b32_e32 v1, 14, v55
	v_cndmask_b32_e64 v55, v5, v1, s[28:29]
	v_cmp_ne_u32_e32 vcc, 0, v55
	s_mov_b64 s[92:93], s[88:89]
                                        ; implicit-def: $vgpr6
                                        ; implicit-def: $vgpr0
                                        ; implicit-def: $vgpr7
	s_and_saveexec_b64 s[40:41], vcc
	s_cbranch_execz .LBB12_2443
; %bb.2442:                             ;   in Loop: Header=BB12_1371 Depth=3
	v_sub_u32_e32 v0, v5, v1
	v_cndmask_b32_e64 v0, 0, v0, s[28:29]
	v_add3_u32 v6, v4, v2, v0
	buffer_load_dword v0, off, s[0:3], s33 offset:152 ; 4-byte Folded Reload
	v_cmp_lt_i32_e32 vcc, 0, v8
	s_or_b64 s[92:93], s[88:89], exec
	s_waitcnt vmcnt(0)
	v_cndmask_b32_e32 v0, 0, v0, vcc
	v_sub_u32_e32 v0, v0, v8
	v_lshl_add_u32 v0, v0, 6, v3
	v_ashrrev_i32_e32 v1, 31, v0
	v_lshrrev_b32_e32 v1, 26, v1
	v_add_u32_e32 v1, v0, v1
	v_and_b32_e32 v1, 0xffffffc0, v1
	v_sub_u32_e32 v7, v0, v1
.LBB12_2443:                            ;   in Loop: Header=BB12_1371 Depth=3
	s_or_b64 exec, exec, s[40:41]
	s_andn2_b64 s[28:29], s[88:89], exec
	s_and_b64 s[40:41], s[92:93], exec
	s_or_b64 s[88:89], s[28:29], s[40:41]
.LBB12_2444:                            ;   in Loop: Header=BB12_1371 Depth=3
	s_or_b64 exec, exec, s[90:91]
	s_and_saveexec_b64 s[40:41], s[88:89]
	s_cbranch_execz .LBB12_2876
.LBB12_2445:                            ;   in Loop: Header=BB12_1371 Depth=3
	s_waitcnt vmcnt(1)
	v_ashrrev_i32_e32 v1, 31, v0
	v_lshrrev_b32_e32 v1, 26, v1
	v_add_u32_e32 v0, v0, v1
	v_ashrrev_i32_e32 v0, 6, v0
	v_lshlrev_b32_e32 v1, 11, v0
	s_waitcnt vmcnt(0)
	v_lshlrev_b32_e32 v2, 1, v7
	v_add3_u32 v35, v6, v2, v1
	v_ashrrev_i32_e32 v1, 31, v55
	v_lshrrev_b32_e32 v1, 21, v1
	v_add_u32_e32 v1, v55, v1
	v_ashrrev_i32_e32 v1, 11, v1
	v_ashrrev_i32_e32 v36, 31, v35
	v_sub_u32_e32 v15, v1, v0
	v_add_co_u32_e32 v0, vcc, v42, v35
	buffer_store_dword v1, off, s[0:3], s33 offset:444 ; 4-byte Folded Spill
	v_addc_co_u32_e32 v1, vcc, v43, v36, vcc
	buffer_store_dword v7, off, s[0:3], s33 offset:440 ; 4-byte Folded Spill
	buffer_store_dword v6, off, s[0:3], s33 offset:436 ; 4-byte Folded Spill
	v_cmp_lt_i32_e32 vcc, 0, v15
	v_mov_b32_e32 v34, 0
	s_mov_b64 s[88:89], 0
	v_mov_b32_e32 v33, 0
	v_mov_b32_e32 v32, 0
	;; [unrolled: 1-line block ×31, first 2 shown]
	s_and_saveexec_b64 s[28:29], vcc
	s_cbranch_execz .LBB12_2709
; %bb.2446:                             ;   in Loop: Header=BB12_1371 Depth=3
	buffer_store_dword v55, off, s[0:3], s33 offset:636 ; 4-byte Folded Spill
	buffer_store_dword v42, off, s[0:3], s33 offset:628 ; 4-byte Folded Spill
	s_nop 0
	buffer_store_dword v43, off, s[0:3], s33 offset:632 ; 4-byte Folded Spill
	buffer_store_dword v53, off, s[0:3], s33 offset:620 ; 4-byte Folded Spill
	;; [unrolled: 1-line block ×3, first 2 shown]
	s_nop 0
	buffer_store_dword v55, off, s[0:3], s33 offset:616 ; 4-byte Folded Spill
	buffer_store_dword v52, off, s[0:3], s33 offset:604 ; 4-byte Folded Spill
	s_nop 0
	buffer_store_dword v53, off, s[0:3], s33 offset:608 ; 4-byte Folded Spill
	s_trap 2
	ds_read_b64 v[4:5], v0
	buffer_load_dword v2, off, s[0:3], s33 offset:556 ; 4-byte Folded Reload
	buffer_load_dword v3, off, s[0:3], s33 offset:560 ; 4-byte Folded Reload
                                        ; implicit-def: $vgpr8
                                        ; kill: killed $vgpr8
                                        ; implicit-def: $vgpr8
                                        ; kill: killed $vgpr8
	;; [unrolled: 2-line block ×13, first 2 shown]
                                        ; implicit-def: $vgpr8
	s_mov_b64 s[92:93], 0
	s_mov_b64 s[90:91], 0
                                        ; kill: killed $vgpr8
                                        ; implicit-def: $vgpr8
                                        ; implicit-def: $sgpr88_sgpr89
                                        ; implicit-def: $vgpr14
                                        ; implicit-def: $vgpr12
                                        ; implicit-def: $vgpr10
                                        ; implicit-def: $vgpr6
                                        ; implicit-def: $vgpr7
                                        ; implicit-def: $vgpr59
                                        ; implicit-def: $vgpr57
                                        ; implicit-def: $vgpr47
                                        ; implicit-def: $vgpr45
                                        ; implicit-def: $vgpr43
                                        ; implicit-def: $vgpr41
                                        ; implicit-def: $vgpr55
                                        ; implicit-def: $vgpr53
                                        ; implicit-def: $vgpr51
                                        ; implicit-def: $vgpr49
                                        ; implicit-def: $vgpr48
                                        ; kill: killed $vgpr8
                                        ; implicit-def: $vgpr8
                                        ; kill: killed $vgpr8
	s_waitcnt vmcnt(1)
	v_add_co_u32_e32 v2, vcc, v35, v2
	s_waitcnt vmcnt(0)
	v_addc_co_u32_e32 v3, vcc, v36, v3, vcc
	s_waitcnt lgkmcnt(0)
	v_add_co_u32_e32 v4, vcc, v4, v35
	v_addc_co_u32_e32 v5, vcc, v5, v36, vcc
	s_branch .LBB12_2448
.LBB12_2447:                            ;   in Loop: Header=BB12_2448 Depth=4
	s_or_b64 exec, exec, s[94:95]
	flat_store_short_d16_hi v[0:1], v9 glc slc
	flat_store_short_d16_hi v[0:1], v26 offset:128 glc slc
	flat_store_short_d16_hi v[0:1], v25 offset:256 glc slc
	;; [unrolled: 1-line block ×15, first 2 shown]
	buffer_load_dword v16, off, s[0:3], s33 offset:272 ; 4-byte Folded Reload
	s_nop 0
	buffer_load_dword v17, off, s[0:3], s33 offset:276 ; 4-byte Folded Reload
	v_mov_b32_e32 v18, 0x800
	s_waitcnt vmcnt(0)
	v_add_co_u32_e32 v8, vcc, v2, v16
	v_addc_co_u32_e32 v9, vcc, v3, v17, vcc
	v_add_co_u32_e32 v11, vcc, v4, v16
	v_addc_co_u32_e32 v13, vcc, v5, v17, vcc
	buffer_load_dword v16, off, s[0:3], s33 offset:236 ; 4-byte Folded Reload
	buffer_load_dword v17, off, s[0:3], s33 offset:232 ; 4-byte Folded Reload
	v_cndmask_b32_e64 v2, v2, v8, s[92:93]
	buffer_load_dword v8, off, s[0:3], s33 offset:152 ; 4-byte Folded Reload
	v_cndmask_b32_e64 v3, v3, v9, s[92:93]
	v_cndmask_b32_e64 v5, v5, v13, s[92:93]
	;; [unrolled: 1-line block ×3, first 2 shown]
	s_waitcnt vmcnt(0)
	v_cndmask_b32_e64 v16, 0, v16, s[92:93]
	v_cndmask_b32_e64 v17, v18, v17, s[92:93]
	v_add_co_u32_e32 v0, vcc, v0, v17
	v_cndmask_b32_e64 v8, 0, v8, s[92:93]
	v_addc_co_u32_e32 v1, vcc, v1, v16, vcc
	v_sub_u32_e32 v15, v15, v8
	v_cmp_gt_i32_e32 vcc, 1, v15
	s_or_b64 s[90:91], vcc, s[90:91]
	s_andn2_b64 s[88:89], s[88:89], exec
	s_and_b64 s[94:95], s[92:93], exec
	s_or_b64 s[88:89], s[88:89], s[94:95]
	s_andn2_b64 exec, exec, s[90:91]
	s_cbranch_execz .LBB12_2708
.LBB12_2448:                            ;   Parent Loop BB12_47 Depth=1
                                        ;     Parent Loop BB12_1368 Depth=2
                                        ;       Parent Loop BB12_1371 Depth=3
                                        ; =>      This Inner Loop Header: Depth=4
	flat_load_ushort v20, v[2:3] glc slc
	flat_load_ushort v19, v[2:3] offset:128 glc slc
	flat_load_ushort v17, v[2:3] offset:256 glc slc
	;; [unrolled: 1-line block ×15, first 2 shown]
	flat_load_ushort v54, v[4:5] glc slc
	flat_load_ushort v52, v[4:5] offset:128 glc slc
	flat_load_ushort v50, v[4:5] offset:256 glc slc
	;; [unrolled: 1-line block ×12, first 2 shown]
	s_waitcnt vmcnt(0) lgkmcnt(0)
	buffer_store_dword v21, off, s[0:3], s33 offset:216 ; 4-byte Folded Spill
	flat_load_ushort v21, v[4:5] offset:1664 glc slc
	s_waitcnt vmcnt(0) lgkmcnt(0)
	buffer_store_dword v21, off, s[0:3], s33 offset:200 ; 4-byte Folded Spill
	flat_load_ushort v21, v[4:5] offset:1792 glc slc
	;; [unrolled: 3-line block ×3, first 2 shown]
	s_waitcnt vmcnt(0) lgkmcnt(0)
	buffer_store_dword v21, off, s[0:3], s33 offset:168 ; 4-byte Folded Spill
	s_and_saveexec_b64 s[94:95], s[92:93]
	s_cbranch_execz .LBB12_2578
; %bb.2449:                             ;   in Loop: Header=BB12_2448 Depth=4
	s_trap 2
	ds_read_b32 v21, v0
	v_lshlrev_b32_e32 v14, 16, v14
	s_waitcnt lgkmcnt(0)
	v_lshlrev_b32_e32 v26, 16, v21
	v_mul_f32_e32 v21, v14, v26
	v_and_b32_e32 v14, 0x7f800000, v21
	v_cmp_ne_u32_e32 vcc, s97, v14
                                        ; implicit-def: $vgpr14
	s_and_saveexec_b64 s[92:93], vcc
	s_xor_b64 s[92:93], exec, s[92:93]
; %bb.2450:                             ;   in Loop: Header=BB12_2448 Depth=4
	v_bfe_u32 v14, v21, 16, 1
	v_add3_u32 v14, v21, v14, s46
                                        ; implicit-def: $vgpr21
; %bb.2451:                             ;   in Loop: Header=BB12_2448 Depth=4
	s_andn2_saveexec_b64 s[92:93], s[92:93]
	s_cbranch_execz .LBB12_2453
; %bb.2452:                             ;   in Loop: Header=BB12_2448 Depth=4
	buffer_load_dword v22, off, s[0:3], s33 offset:128 ; 4-byte Folded Reload
	buffer_load_dword v23, off, s[0:3], s33 offset:132 ; 4-byte Folded Reload
	v_or_b32_e32 v14, 0x10000, v21
	s_waitcnt vmcnt(1)
	v_cmp_eq_u32_sdwa vcc, v21, v22 src0_sel:WORD_0 src1_sel:DWORD
	v_cndmask_b32_e32 v14, v14, v21, vcc
.LBB12_2453:                            ;   in Loop: Header=BB12_2448 Depth=4
	s_or_b64 exec, exec, s[92:93]
	v_lshlrev_b32_e32 v12, 16, v12
	v_mul_f32_e32 v12, v12, v26
	v_and_b32_e32 v21, 0x7f800000, v12
	v_cmp_ne_u32_e32 vcc, s97, v21
                                        ; implicit-def: $vgpr25
	s_and_saveexec_b64 s[92:93], vcc
	s_xor_b64 s[92:93], exec, s[92:93]
; %bb.2454:                             ;   in Loop: Header=BB12_2448 Depth=4
	v_bfe_u32 v21, v12, 16, 1
	v_add3_u32 v25, v12, v21, s46
                                        ; implicit-def: $vgpr12
; %bb.2455:                             ;   in Loop: Header=BB12_2448 Depth=4
	s_andn2_saveexec_b64 s[92:93], s[92:93]
	s_cbranch_execz .LBB12_2457
; %bb.2456:                             ;   in Loop: Header=BB12_2448 Depth=4
	buffer_load_dword v22, off, s[0:3], s33 offset:128 ; 4-byte Folded Reload
	buffer_load_dword v23, off, s[0:3], s33 offset:132 ; 4-byte Folded Reload
	v_or_b32_e32 v21, 0x10000, v12
	s_waitcnt vmcnt(1)
	v_cmp_eq_u32_sdwa vcc, v12, v22 src0_sel:WORD_0 src1_sel:DWORD
	v_cndmask_b32_e32 v25, v21, v12, vcc
.LBB12_2457:                            ;   in Loop: Header=BB12_2448 Depth=4
	s_or_b64 exec, exec, s[92:93]
	v_lshlrev_b32_e32 v10, 16, v10
	v_mul_f32_e32 v10, v10, v26
	v_and_b32_e32 v12, 0x7f800000, v10
	v_cmp_ne_u32_e32 vcc, s97, v12
                                        ; implicit-def: $vgpr24
	s_and_saveexec_b64 s[92:93], vcc
	s_xor_b64 s[92:93], exec, s[92:93]
; %bb.2458:                             ;   in Loop: Header=BB12_2448 Depth=4
	v_bfe_u32 v12, v10, 16, 1
	v_add3_u32 v24, v10, v12, s46
                                        ; implicit-def: $vgpr10
; %bb.2459:                             ;   in Loop: Header=BB12_2448 Depth=4
	s_andn2_saveexec_b64 s[92:93], s[92:93]
	s_cbranch_execz .LBB12_2461
; %bb.2460:                             ;   in Loop: Header=BB12_2448 Depth=4
	buffer_load_dword v21, off, s[0:3], s33 offset:128 ; 4-byte Folded Reload
	buffer_load_dword v22, off, s[0:3], s33 offset:132 ; 4-byte Folded Reload
	v_or_b32_e32 v12, 0x10000, v10
	s_waitcnt vmcnt(1)
	v_cmp_eq_u32_sdwa vcc, v10, v21 src0_sel:WORD_0 src1_sel:DWORD
	v_cndmask_b32_e32 v24, v12, v10, vcc
.LBB12_2461:                            ;   in Loop: Header=BB12_2448 Depth=4
	s_or_b64 exec, exec, s[92:93]
	v_lshlrev_b32_e32 v6, 16, v6
	v_mul_f32_e32 v6, v6, v26
	v_and_b32_e32 v10, 0x7f800000, v6
	v_cmp_ne_u32_e32 vcc, s97, v10
                                        ; implicit-def: $vgpr23
	s_and_saveexec_b64 s[92:93], vcc
	s_xor_b64 s[92:93], exec, s[92:93]
	s_cbranch_execz .LBB12_2463
; %bb.2462:                             ;   in Loop: Header=BB12_2448 Depth=4
	v_bfe_u32 v10, v6, 16, 1
	s_waitcnt vmcnt(0)
	v_add3_u32 v23, v6, v10, s46
                                        ; implicit-def: $vgpr6
.LBB12_2463:                            ;   in Loop: Header=BB12_2448 Depth=4
	s_andn2_saveexec_b64 s[92:93], s[92:93]
	s_cbranch_execz .LBB12_2465
; %bb.2464:                             ;   in Loop: Header=BB12_2448 Depth=4
	buffer_load_dword v21, off, s[0:3], s33 offset:128 ; 4-byte Folded Reload
	buffer_load_dword v22, off, s[0:3], s33 offset:132 ; 4-byte Folded Reload
	v_or_b32_e32 v10, 0x10000, v6
	s_waitcnt vmcnt(1)
	v_cmp_eq_u32_sdwa vcc, v6, v21 src0_sel:WORD_0 src1_sel:DWORD
	v_cndmask_b32_e32 v23, v10, v6, vcc
.LBB12_2465:                            ;   in Loop: Header=BB12_2448 Depth=4
	s_or_b64 exec, exec, s[92:93]
	v_lshlrev_b32_e32 v6, 16, v7
	v_mul_f32_e32 v6, v6, v26
	v_and_b32_e32 v7, 0x7f800000, v6
	v_cmp_ne_u32_e32 vcc, s97, v7
                                        ; implicit-def: $vgpr22
	s_and_saveexec_b64 s[92:93], vcc
	s_xor_b64 s[92:93], exec, s[92:93]
	s_cbranch_execz .LBB12_2467
; %bb.2466:                             ;   in Loop: Header=BB12_2448 Depth=4
	v_bfe_u32 v7, v6, 16, 1
	s_waitcnt vmcnt(0)
	v_add3_u32 v22, v6, v7, s46
                                        ; implicit-def: $vgpr6
.LBB12_2467:                            ;   in Loop: Header=BB12_2448 Depth=4
	s_andn2_saveexec_b64 s[92:93], s[92:93]
	s_cbranch_execz .LBB12_2469
; %bb.2468:                             ;   in Loop: Header=BB12_2448 Depth=4
	buffer_load_dword v21, off, s[0:3], s33 offset:128 ; 4-byte Folded Reload
	buffer_load_dword v22, off, s[0:3], s33 offset:132 ; 4-byte Folded Reload
	v_or_b32_e32 v7, 0x10000, v6
	s_waitcnt vmcnt(1)
	v_cmp_eq_u32_sdwa vcc, v6, v21 src0_sel:WORD_0 src1_sel:DWORD
	s_waitcnt vmcnt(0)
	v_cndmask_b32_e32 v22, v7, v6, vcc
.LBB12_2469:                            ;   in Loop: Header=BB12_2448 Depth=4
	s_or_b64 exec, exec, s[92:93]
	v_lshlrev_b32_e32 v6, 16, v59
	v_mul_f32_e32 v6, v6, v26
	v_and_b32_e32 v7, 0x7f800000, v6
	v_cmp_ne_u32_e32 vcc, s97, v7
                                        ; implicit-def: $vgpr21
	s_and_saveexec_b64 s[92:93], vcc
	s_xor_b64 s[92:93], exec, s[92:93]
; %bb.2470:                             ;   in Loop: Header=BB12_2448 Depth=4
	v_bfe_u32 v7, v6, 16, 1
	v_add3_u32 v21, v6, v7, s46
                                        ; implicit-def: $vgpr6
; %bb.2471:                             ;   in Loop: Header=BB12_2448 Depth=4
	s_andn2_saveexec_b64 s[92:93], s[92:93]
	s_cbranch_execz .LBB12_2473
; %bb.2472:                             ;   in Loop: Header=BB12_2448 Depth=4
	buffer_load_dword v27, off, s[0:3], s33 offset:128 ; 4-byte Folded Reload
	buffer_load_dword v28, off, s[0:3], s33 offset:132 ; 4-byte Folded Reload
	v_or_b32_e32 v7, 0x10000, v6
	s_waitcnt vmcnt(1)
	v_cmp_eq_u32_sdwa vcc, v6, v27 src0_sel:WORD_0 src1_sel:DWORD
	v_cndmask_b32_e32 v21, v7, v6, vcc
.LBB12_2473:                            ;   in Loop: Header=BB12_2448 Depth=4
	s_or_b64 exec, exec, s[92:93]
	v_lshlrev_b32_e32 v6, 16, v57
	v_mul_f32_e32 v6, v6, v26
	v_and_b32_e32 v7, 0x7f800000, v6
	v_cmp_ne_u32_e32 vcc, s97, v7
                                        ; implicit-def: $vgpr57
	s_and_saveexec_b64 s[92:93], vcc
	s_xor_b64 s[92:93], exec, s[92:93]
; %bb.2474:                             ;   in Loop: Header=BB12_2448 Depth=4
	v_bfe_u32 v7, v6, 16, 1
	v_add3_u32 v57, v6, v7, s46
                                        ; implicit-def: $vgpr6
; %bb.2475:                             ;   in Loop: Header=BB12_2448 Depth=4
	s_andn2_saveexec_b64 s[92:93], s[92:93]
	s_cbranch_execz .LBB12_2477
; %bb.2476:                             ;   in Loop: Header=BB12_2448 Depth=4
	buffer_load_dword v27, off, s[0:3], s33 offset:128 ; 4-byte Folded Reload
	buffer_load_dword v28, off, s[0:3], s33 offset:132 ; 4-byte Folded Reload
	v_or_b32_e32 v7, 0x10000, v6
	s_waitcnt vmcnt(1)
	v_cmp_eq_u32_sdwa vcc, v6, v27 src0_sel:WORD_0 src1_sel:DWORD
	v_cndmask_b32_e32 v57, v7, v6, vcc
.LBB12_2477:                            ;   in Loop: Header=BB12_2448 Depth=4
	s_or_b64 exec, exec, s[92:93]
	v_lshlrev_b32_e32 v6, 16, v47
	v_mul_f32_e32 v6, v6, v26
	v_and_b32_e32 v7, 0x7f800000, v6
	v_cmp_ne_u32_e32 vcc, s97, v7
                                        ; implicit-def: $vgpr47
	s_and_saveexec_b64 s[92:93], vcc
	s_xor_b64 s[92:93], exec, s[92:93]
; %bb.2478:                             ;   in Loop: Header=BB12_2448 Depth=4
	v_bfe_u32 v7, v6, 16, 1
	v_add3_u32 v47, v6, v7, s46
                                        ; implicit-def: $vgpr6
; %bb.2479:                             ;   in Loop: Header=BB12_2448 Depth=4
	s_andn2_saveexec_b64 s[92:93], s[92:93]
	s_cbranch_execz .LBB12_2481
; %bb.2480:                             ;   in Loop: Header=BB12_2448 Depth=4
	buffer_load_dword v27, off, s[0:3], s33 offset:128 ; 4-byte Folded Reload
	buffer_load_dword v28, off, s[0:3], s33 offset:132 ; 4-byte Folded Reload
	v_or_b32_e32 v7, 0x10000, v6
	s_waitcnt vmcnt(1)
	v_cmp_eq_u32_sdwa vcc, v6, v27 src0_sel:WORD_0 src1_sel:DWORD
	v_cndmask_b32_e32 v47, v7, v6, vcc
.LBB12_2481:                            ;   in Loop: Header=BB12_2448 Depth=4
	s_or_b64 exec, exec, s[92:93]
	v_lshlrev_b32_e32 v6, 16, v45
	v_mul_f32_e32 v6, v6, v26
	v_and_b32_e32 v7, 0x7f800000, v6
	v_cmp_ne_u32_e32 vcc, s97, v7
                                        ; implicit-def: $vgpr45
	s_and_saveexec_b64 s[92:93], vcc
	s_xor_b64 s[92:93], exec, s[92:93]
; %bb.2482:                             ;   in Loop: Header=BB12_2448 Depth=4
	v_bfe_u32 v7, v6, 16, 1
	v_add3_u32 v45, v6, v7, s46
                                        ; implicit-def: $vgpr6
; %bb.2483:                             ;   in Loop: Header=BB12_2448 Depth=4
	s_andn2_saveexec_b64 s[92:93], s[92:93]
	s_cbranch_execz .LBB12_2485
; %bb.2484:                             ;   in Loop: Header=BB12_2448 Depth=4
	buffer_load_dword v27, off, s[0:3], s33 offset:128 ; 4-byte Folded Reload
	buffer_load_dword v28, off, s[0:3], s33 offset:132 ; 4-byte Folded Reload
	v_or_b32_e32 v7, 0x10000, v6
	s_waitcnt vmcnt(1)
	v_cmp_eq_u32_sdwa vcc, v6, v27 src0_sel:WORD_0 src1_sel:DWORD
	v_cndmask_b32_e32 v45, v7, v6, vcc
.LBB12_2485:                            ;   in Loop: Header=BB12_2448 Depth=4
	s_or_b64 exec, exec, s[92:93]
	v_lshlrev_b32_e32 v6, 16, v43
	v_mul_f32_e32 v6, v6, v26
	v_and_b32_e32 v7, 0x7f800000, v6
	v_cmp_ne_u32_e32 vcc, s97, v7
                                        ; implicit-def: $vgpr43
	s_and_saveexec_b64 s[92:93], vcc
	s_xor_b64 s[92:93], exec, s[92:93]
; %bb.2486:                             ;   in Loop: Header=BB12_2448 Depth=4
	v_bfe_u32 v7, v6, 16, 1
	v_add3_u32 v43, v6, v7, s46
                                        ; implicit-def: $vgpr6
; %bb.2487:                             ;   in Loop: Header=BB12_2448 Depth=4
	s_andn2_saveexec_b64 s[92:93], s[92:93]
	s_cbranch_execz .LBB12_2489
; %bb.2488:                             ;   in Loop: Header=BB12_2448 Depth=4
	buffer_load_dword v27, off, s[0:3], s33 offset:128 ; 4-byte Folded Reload
	buffer_load_dword v28, off, s[0:3], s33 offset:132 ; 4-byte Folded Reload
	v_or_b32_e32 v7, 0x10000, v6
	s_waitcnt vmcnt(1)
	v_cmp_eq_u32_sdwa vcc, v6, v27 src0_sel:WORD_0 src1_sel:DWORD
	v_cndmask_b32_e32 v43, v7, v6, vcc
.LBB12_2489:                            ;   in Loop: Header=BB12_2448 Depth=4
	s_or_b64 exec, exec, s[92:93]
	v_lshlrev_b32_e32 v6, 16, v41
	v_mul_f32_e32 v6, v6, v26
	v_and_b32_e32 v7, 0x7f800000, v6
	v_cmp_ne_u32_e32 vcc, s97, v7
                                        ; implicit-def: $vgpr41
	s_and_saveexec_b64 s[92:93], vcc
	s_xor_b64 s[92:93], exec, s[92:93]
; %bb.2490:                             ;   in Loop: Header=BB12_2448 Depth=4
	v_bfe_u32 v7, v6, 16, 1
	v_add3_u32 v41, v6, v7, s46
                                        ; implicit-def: $vgpr6
; %bb.2491:                             ;   in Loop: Header=BB12_2448 Depth=4
	s_andn2_saveexec_b64 s[92:93], s[92:93]
	s_cbranch_execz .LBB12_2493
; %bb.2492:                             ;   in Loop: Header=BB12_2448 Depth=4
	buffer_load_dword v27, off, s[0:3], s33 offset:128 ; 4-byte Folded Reload
	buffer_load_dword v28, off, s[0:3], s33 offset:132 ; 4-byte Folded Reload
	v_or_b32_e32 v7, 0x10000, v6
	s_waitcnt vmcnt(1)
	v_cmp_eq_u32_sdwa vcc, v6, v27 src0_sel:WORD_0 src1_sel:DWORD
	v_cndmask_b32_e32 v41, v7, v6, vcc
.LBB12_2493:                            ;   in Loop: Header=BB12_2448 Depth=4
	s_or_b64 exec, exec, s[92:93]
	v_lshlrev_b32_e32 v6, 16, v55
	v_mul_f32_e32 v6, v6, v26
	v_and_b32_e32 v7, 0x7f800000, v6
	v_cmp_ne_u32_e32 vcc, s97, v7
                                        ; implicit-def: $vgpr55
	s_and_saveexec_b64 s[92:93], vcc
	s_xor_b64 s[92:93], exec, s[92:93]
; %bb.2494:                             ;   in Loop: Header=BB12_2448 Depth=4
	v_bfe_u32 v7, v6, 16, 1
	v_add3_u32 v55, v6, v7, s46
                                        ; implicit-def: $vgpr6
; %bb.2495:                             ;   in Loop: Header=BB12_2448 Depth=4
	s_andn2_saveexec_b64 s[92:93], s[92:93]
	s_cbranch_execz .LBB12_2497
; %bb.2496:                             ;   in Loop: Header=BB12_2448 Depth=4
	buffer_load_dword v27, off, s[0:3], s33 offset:128 ; 4-byte Folded Reload
	buffer_load_dword v28, off, s[0:3], s33 offset:132 ; 4-byte Folded Reload
	v_or_b32_e32 v7, 0x10000, v6
	s_waitcnt vmcnt(1)
	v_cmp_eq_u32_sdwa vcc, v6, v27 src0_sel:WORD_0 src1_sel:DWORD
	v_cndmask_b32_e32 v55, v7, v6, vcc
.LBB12_2497:                            ;   in Loop: Header=BB12_2448 Depth=4
	s_or_b64 exec, exec, s[92:93]
	v_lshlrev_b32_e32 v6, 16, v53
	v_mul_f32_e32 v6, v6, v26
	v_and_b32_e32 v7, 0x7f800000, v6
	v_cmp_ne_u32_e32 vcc, s97, v7
                                        ; implicit-def: $vgpr12
	s_and_saveexec_b64 s[92:93], vcc
	s_xor_b64 s[92:93], exec, s[92:93]
; %bb.2498:                             ;   in Loop: Header=BB12_2448 Depth=4
	v_bfe_u32 v7, v6, 16, 1
	v_add3_u32 v12, v6, v7, s46
                                        ; implicit-def: $vgpr6
; %bb.2499:                             ;   in Loop: Header=BB12_2448 Depth=4
	s_andn2_saveexec_b64 s[92:93], s[92:93]
	s_cbranch_execz .LBB12_2501
; %bb.2500:                             ;   in Loop: Header=BB12_2448 Depth=4
	buffer_load_dword v27, off, s[0:3], s33 offset:128 ; 4-byte Folded Reload
	buffer_load_dword v28, off, s[0:3], s33 offset:132 ; 4-byte Folded Reload
	v_or_b32_e32 v7, 0x10000, v6
	s_waitcnt vmcnt(1)
	v_cmp_eq_u32_sdwa vcc, v6, v27 src0_sel:WORD_0 src1_sel:DWORD
	v_cndmask_b32_e32 v12, v7, v6, vcc
.LBB12_2501:                            ;   in Loop: Header=BB12_2448 Depth=4
	s_or_b64 exec, exec, s[92:93]
	v_lshlrev_b32_e32 v6, 16, v51
	v_mul_f32_e32 v6, v6, v26
	v_and_b32_e32 v7, 0x7f800000, v6
	v_cmp_ne_u32_e32 vcc, s97, v7
                                        ; implicit-def: $vgpr10
	s_and_saveexec_b64 s[92:93], vcc
	s_xor_b64 s[92:93], exec, s[92:93]
; %bb.2502:                             ;   in Loop: Header=BB12_2448 Depth=4
	v_bfe_u32 v7, v6, 16, 1
	v_add3_u32 v10, v6, v7, s46
                                        ; implicit-def: $vgpr6
; %bb.2503:                             ;   in Loop: Header=BB12_2448 Depth=4
	s_andn2_saveexec_b64 s[92:93], s[92:93]
	s_cbranch_execz .LBB12_2505
; %bb.2504:                             ;   in Loop: Header=BB12_2448 Depth=4
	buffer_load_dword v27, off, s[0:3], s33 offset:128 ; 4-byte Folded Reload
	buffer_load_dword v28, off, s[0:3], s33 offset:132 ; 4-byte Folded Reload
	v_or_b32_e32 v7, 0x10000, v6
	s_waitcnt vmcnt(1)
	v_cmp_eq_u32_sdwa vcc, v6, v27 src0_sel:WORD_0 src1_sel:DWORD
	v_cndmask_b32_e32 v10, v7, v6, vcc
.LBB12_2505:                            ;   in Loop: Header=BB12_2448 Depth=4
	s_or_b64 exec, exec, s[92:93]
	v_lshlrev_b32_e32 v6, 16, v49
	v_mul_f32_e32 v6, v6, v26
	v_and_b32_e32 v7, 0x7f800000, v6
	v_cmp_ne_u32_e32 vcc, s97, v7
                                        ; implicit-def: $vgpr7
	s_and_saveexec_b64 s[92:93], vcc
	s_xor_b64 s[92:93], exec, s[92:93]
; %bb.2506:                             ;   in Loop: Header=BB12_2448 Depth=4
	v_bfe_u32 v7, v6, 16, 1
	v_add3_u32 v7, v6, v7, s46
                                        ; implicit-def: $vgpr6
; %bb.2507:                             ;   in Loop: Header=BB12_2448 Depth=4
	s_andn2_saveexec_b64 s[92:93], s[92:93]
	s_cbranch_execz .LBB12_2509
; %bb.2508:                             ;   in Loop: Header=BB12_2448 Depth=4
	buffer_load_dword v27, off, s[0:3], s33 offset:128 ; 4-byte Folded Reload
	buffer_load_dword v28, off, s[0:3], s33 offset:132 ; 4-byte Folded Reload
	v_or_b32_e32 v7, 0x10000, v6
	s_waitcnt vmcnt(1)
	v_cmp_eq_u32_sdwa vcc, v6, v27 src0_sel:WORD_0 src1_sel:DWORD
	v_cndmask_b32_e32 v7, v7, v6, vcc
.LBB12_2509:                            ;   in Loop: Header=BB12_2448 Depth=4
	s_or_b64 exec, exec, s[92:93]
	v_lshlrev_b32_e32 v6, 16, v48
	v_mul_f32_e32 v26, v6, v26
	v_and_b32_e32 v6, 0x7f800000, v26
	v_cmp_ne_u32_e32 vcc, s97, v6
                                        ; implicit-def: $vgpr6
	s_and_saveexec_b64 s[92:93], vcc
	s_xor_b64 s[92:93], exec, s[92:93]
; %bb.2510:                             ;   in Loop: Header=BB12_2448 Depth=4
	v_bfe_u32 v6, v26, 16, 1
	v_add3_u32 v6, v26, v6, s46
                                        ; implicit-def: $vgpr26
; %bb.2511:                             ;   in Loop: Header=BB12_2448 Depth=4
	s_andn2_saveexec_b64 s[92:93], s[92:93]
	s_cbranch_execz .LBB12_2513
; %bb.2512:                             ;   in Loop: Header=BB12_2448 Depth=4
	buffer_load_dword v27, off, s[0:3], s33 offset:128 ; 4-byte Folded Reload
	buffer_load_dword v28, off, s[0:3], s33 offset:132 ; 4-byte Folded Reload
	v_or_b32_e32 v6, 0x10000, v26
	s_waitcnt vmcnt(1)
	v_cmp_eq_u32_sdwa vcc, v26, v27 src0_sel:WORD_0 src1_sel:DWORD
	v_cndmask_b32_e32 v6, v6, v26, vcc
.LBB12_2513:                            ;   in Loop: Header=BB12_2448 Depth=4
	s_or_b64 exec, exec, s[92:93]
	buffer_load_dword v26, off, s[0:3], s33 offset:240 ; 4-byte Folded Reload
	v_and_b32_e32 v14, 0xffff0000, v14
	s_waitcnt vmcnt(0)
	v_lshlrev_b32_e32 v26, 16, v26
	v_add_f32_e32 v26, v26, v14
	v_and_b32_e32 v14, 0x7f800000, v26
	v_cmp_ne_u32_e32 vcc, s97, v14
                                        ; implicit-def: $vgpr14
	s_and_saveexec_b64 s[92:93], vcc
	s_xor_b64 s[92:93], exec, s[92:93]
; %bb.2514:                             ;   in Loop: Header=BB12_2448 Depth=4
	v_bfe_u32 v14, v26, 16, 1
	v_add3_u32 v14, v26, v14, s46
                                        ; implicit-def: $vgpr26
; %bb.2515:                             ;   in Loop: Header=BB12_2448 Depth=4
	s_andn2_saveexec_b64 s[92:93], s[92:93]
	s_cbranch_execz .LBB12_2517
; %bb.2516:                             ;   in Loop: Header=BB12_2448 Depth=4
	buffer_load_dword v27, off, s[0:3], s33 offset:128 ; 4-byte Folded Reload
	buffer_load_dword v28, off, s[0:3], s33 offset:132 ; 4-byte Folded Reload
	v_or_b32_e32 v14, 0x10000, v26
	s_waitcnt vmcnt(1)
	v_cmp_eq_u32_sdwa vcc, v26, v27 src0_sel:WORD_0 src1_sel:DWORD
	v_cndmask_b32_e32 v14, v14, v26, vcc
.LBB12_2517:                            ;   in Loop: Header=BB12_2448 Depth=4
	s_or_b64 exec, exec, s[92:93]
	buffer_load_dword v26, off, s[0:3], s33 offset:284 ; 4-byte Folded Reload
	v_and_b32_e32 v25, 0xffff0000, v25
                                        ; implicit-def: $vgpr48
	s_waitcnt vmcnt(0)
	v_lshlrev_b32_e32 v26, 16, v26
	v_add_f32_e32 v25, v26, v25
	v_and_b32_e32 v26, 0x7f800000, v25
	v_cmp_ne_u32_e32 vcc, s97, v26
	s_and_saveexec_b64 s[92:93], vcc
	s_xor_b64 s[92:93], exec, s[92:93]
; %bb.2518:                             ;   in Loop: Header=BB12_2448 Depth=4
	v_bfe_u32 v26, v25, 16, 1
	v_add3_u32 v48, v25, v26, s46
                                        ; implicit-def: $vgpr25
; %bb.2519:                             ;   in Loop: Header=BB12_2448 Depth=4
	s_andn2_saveexec_b64 s[92:93], s[92:93]
	s_cbranch_execz .LBB12_2521
; %bb.2520:                             ;   in Loop: Header=BB12_2448 Depth=4
	buffer_load_dword v27, off, s[0:3], s33 offset:128 ; 4-byte Folded Reload
	buffer_load_dword v28, off, s[0:3], s33 offset:132 ; 4-byte Folded Reload
	v_or_b32_e32 v26, 0x10000, v25
	s_waitcnt vmcnt(1)
	v_cmp_eq_u32_sdwa vcc, v25, v27 src0_sel:WORD_0 src1_sel:DWORD
	v_cndmask_b32_e32 v48, v26, v25, vcc
.LBB12_2521:                            ;   in Loop: Header=BB12_2448 Depth=4
	s_or_b64 exec, exec, s[92:93]
	buffer_load_dword v25, off, s[0:3], s33 offset:300 ; 4-byte Folded Reload
	v_and_b32_e32 v24, 0xffff0000, v24
	s_waitcnt vmcnt(0)
	v_lshlrev_b32_e32 v25, 16, v25
	v_add_f32_e32 v25, v25, v24
	v_and_b32_e32 v24, 0x7f800000, v25
	v_cmp_ne_u32_e32 vcc, s97, v24
                                        ; implicit-def: $vgpr24
	s_and_saveexec_b64 s[92:93], vcc
	s_xor_b64 s[92:93], exec, s[92:93]
; %bb.2522:                             ;   in Loop: Header=BB12_2448 Depth=4
	v_bfe_u32 v24, v25, 16, 1
	v_add3_u32 v24, v25, v24, s46
                                        ; implicit-def: $vgpr25
; %bb.2523:                             ;   in Loop: Header=BB12_2448 Depth=4
	s_andn2_saveexec_b64 s[92:93], s[92:93]
	s_cbranch_execz .LBB12_2525
; %bb.2524:                             ;   in Loop: Header=BB12_2448 Depth=4
	buffer_load_dword v26, off, s[0:3], s33 offset:128 ; 4-byte Folded Reload
	buffer_load_dword v27, off, s[0:3], s33 offset:132 ; 4-byte Folded Reload
	v_or_b32_e32 v24, 0x10000, v25
	s_waitcnt vmcnt(1)
	v_cmp_eq_u32_sdwa vcc, v25, v26 src0_sel:WORD_0 src1_sel:DWORD
	v_cndmask_b32_e32 v24, v24, v25, vcc
.LBB12_2525:                            ;   in Loop: Header=BB12_2448 Depth=4
	s_or_b64 exec, exec, s[92:93]
	buffer_load_dword v25, off, s[0:3], s33 offset:316 ; 4-byte Folded Reload
	v_and_b32_e32 v23, 0xffff0000, v23
	s_waitcnt vmcnt(0)
	v_lshlrev_b32_e32 v25, 16, v25
	v_add_f32_e32 v25, v25, v23
	v_and_b32_e32 v23, 0x7f800000, v25
	v_cmp_ne_u32_e32 vcc, s97, v23
                                        ; implicit-def: $vgpr23
	s_and_saveexec_b64 s[92:93], vcc
	s_xor_b64 s[92:93], exec, s[92:93]
; %bb.2526:                             ;   in Loop: Header=BB12_2448 Depth=4
	v_bfe_u32 v23, v25, 16, 1
	v_add3_u32 v23, v25, v23, s46
                                        ; implicit-def: $vgpr25
; %bb.2527:                             ;   in Loop: Header=BB12_2448 Depth=4
	s_andn2_saveexec_b64 s[92:93], s[92:93]
	s_cbranch_execz .LBB12_2529
; %bb.2528:                             ;   in Loop: Header=BB12_2448 Depth=4
	buffer_load_dword v26, off, s[0:3], s33 offset:128 ; 4-byte Folded Reload
	buffer_load_dword v27, off, s[0:3], s33 offset:132 ; 4-byte Folded Reload
	v_or_b32_e32 v23, 0x10000, v25
	s_waitcnt vmcnt(1)
	v_cmp_eq_u32_sdwa vcc, v25, v26 src0_sel:WORD_0 src1_sel:DWORD
	v_cndmask_b32_e32 v23, v23, v25, vcc
.LBB12_2529:                            ;   in Loop: Header=BB12_2448 Depth=4
	s_or_b64 exec, exec, s[92:93]
	buffer_load_dword v25, off, s[0:3], s33 offset:324 ; 4-byte Folded Reload
	v_and_b32_e32 v22, 0xffff0000, v22
	s_waitcnt vmcnt(0)
	v_lshlrev_b32_e32 v25, 16, v25
	v_add_f32_e32 v25, v25, v22
	v_and_b32_e32 v22, 0x7f800000, v25
	v_cmp_ne_u32_e32 vcc, s97, v22
                                        ; implicit-def: $vgpr22
	s_and_saveexec_b64 s[92:93], vcc
	s_xor_b64 s[92:93], exec, s[92:93]
; %bb.2530:                             ;   in Loop: Header=BB12_2448 Depth=4
	v_bfe_u32 v22, v25, 16, 1
	v_add3_u32 v22, v25, v22, s46
                                        ; implicit-def: $vgpr25
; %bb.2531:                             ;   in Loop: Header=BB12_2448 Depth=4
	s_andn2_saveexec_b64 s[92:93], s[92:93]
	s_cbranch_execz .LBB12_2533
; %bb.2532:                             ;   in Loop: Header=BB12_2448 Depth=4
	buffer_load_dword v26, off, s[0:3], s33 offset:128 ; 4-byte Folded Reload
	buffer_load_dword v27, off, s[0:3], s33 offset:132 ; 4-byte Folded Reload
	v_or_b32_e32 v22, 0x10000, v25
	s_waitcnt vmcnt(1)
	v_cmp_eq_u32_sdwa vcc, v25, v26 src0_sel:WORD_0 src1_sel:DWORD
	v_cndmask_b32_e32 v22, v22, v25, vcc
.LBB12_2533:                            ;   in Loop: Header=BB12_2448 Depth=4
	s_or_b64 exec, exec, s[92:93]
	buffer_load_dword v25, off, s[0:3], s33 offset:332 ; 4-byte Folded Reload
	v_and_b32_e32 v21, 0xffff0000, v21
	s_waitcnt vmcnt(0)
	v_lshlrev_b32_e32 v25, 16, v25
	v_add_f32_e32 v25, v25, v21
	v_and_b32_e32 v21, 0x7f800000, v25
	v_cmp_ne_u32_e32 vcc, s97, v21
                                        ; implicit-def: $vgpr21
	s_and_saveexec_b64 s[92:93], vcc
	s_xor_b64 s[92:93], exec, s[92:93]
; %bb.2534:                             ;   in Loop: Header=BB12_2448 Depth=4
	v_bfe_u32 v21, v25, 16, 1
	v_add3_u32 v21, v25, v21, s46
                                        ; implicit-def: $vgpr25
; %bb.2535:                             ;   in Loop: Header=BB12_2448 Depth=4
	s_andn2_saveexec_b64 s[92:93], s[92:93]
	s_cbranch_execz .LBB12_2537
; %bb.2536:                             ;   in Loop: Header=BB12_2448 Depth=4
	buffer_load_dword v26, off, s[0:3], s33 offset:128 ; 4-byte Folded Reload
	buffer_load_dword v27, off, s[0:3], s33 offset:132 ; 4-byte Folded Reload
	v_or_b32_e32 v21, 0x10000, v25
	s_waitcnt vmcnt(1)
	v_cmp_eq_u32_sdwa vcc, v25, v26 src0_sel:WORD_0 src1_sel:DWORD
	v_cndmask_b32_e32 v21, v21, v25, vcc
.LBB12_2537:                            ;   in Loop: Header=BB12_2448 Depth=4
	s_or_b64 exec, exec, s[92:93]
	buffer_load_dword v26, off, s[0:3], s33 offset:340 ; 4-byte Folded Reload
	v_and_b32_e32 v25, 0xffff0000, v57
	s_waitcnt vmcnt(0)
	v_lshlrev_b32_e32 v26, 16, v26
	v_add_f32_e32 v26, v26, v25
	v_and_b32_e32 v25, 0x7f800000, v26
	v_cmp_ne_u32_e32 vcc, s97, v25
                                        ; implicit-def: $vgpr25
	s_and_saveexec_b64 s[92:93], vcc
	s_xor_b64 s[92:93], exec, s[92:93]
; %bb.2538:                             ;   in Loop: Header=BB12_2448 Depth=4
	v_bfe_u32 v25, v26, 16, 1
	v_add3_u32 v25, v26, v25, s46
                                        ; implicit-def: $vgpr26
; %bb.2539:                             ;   in Loop: Header=BB12_2448 Depth=4
	s_andn2_saveexec_b64 s[92:93], s[92:93]
	s_cbranch_execz .LBB12_2541
; %bb.2540:                             ;   in Loop: Header=BB12_2448 Depth=4
	buffer_load_dword v27, off, s[0:3], s33 offset:128 ; 4-byte Folded Reload
	buffer_load_dword v28, off, s[0:3], s33 offset:132 ; 4-byte Folded Reload
	v_or_b32_e32 v25, 0x10000, v26
	s_waitcnt vmcnt(1)
	v_cmp_eq_u32_sdwa vcc, v26, v27 src0_sel:WORD_0 src1_sel:DWORD
	v_cndmask_b32_e32 v25, v25, v26, vcc
.LBB12_2541:                            ;   in Loop: Header=BB12_2448 Depth=4
	s_or_b64 exec, exec, s[92:93]
	buffer_load_dword v27, off, s[0:3], s33 offset:344 ; 4-byte Folded Reload
	v_and_b32_e32 v26, 0xffff0000, v47
	s_waitcnt vmcnt(0)
	v_lshlrev_b32_e32 v27, 16, v27
	v_add_f32_e32 v27, v27, v26
	v_and_b32_e32 v26, 0x7f800000, v27
	v_cmp_ne_u32_e32 vcc, s97, v26
                                        ; implicit-def: $vgpr26
	s_and_saveexec_b64 s[92:93], vcc
	s_xor_b64 s[92:93], exec, s[92:93]
; %bb.2542:                             ;   in Loop: Header=BB12_2448 Depth=4
	v_bfe_u32 v26, v27, 16, 1
	v_add3_u32 v26, v27, v26, s46
                                        ; implicit-def: $vgpr27
; %bb.2543:                             ;   in Loop: Header=BB12_2448 Depth=4
	s_andn2_saveexec_b64 s[92:93], s[92:93]
	s_cbranch_execz .LBB12_2545
; %bb.2544:                             ;   in Loop: Header=BB12_2448 Depth=4
	buffer_load_dword v59, off, s[0:3], s33 offset:128 ; 4-byte Folded Reload
	buffer_load_dword v60, off, s[0:3], s33 offset:132 ; 4-byte Folded Reload
	v_or_b32_e32 v26, 0x10000, v27
	s_waitcnt vmcnt(1)
	v_cmp_eq_u32_sdwa vcc, v27, v59 src0_sel:WORD_0 src1_sel:DWORD
	v_cndmask_b32_e32 v26, v26, v27, vcc
.LBB12_2545:                            ;   in Loop: Header=BB12_2448 Depth=4
	s_or_b64 exec, exec, s[92:93]
	buffer_load_dword v28, off, s[0:3], s33 offset:352 ; 4-byte Folded Reload
	v_and_b32_e32 v27, 0xffff0000, v45
	s_waitcnt vmcnt(0)
	v_lshlrev_b32_e32 v28, 16, v28
	v_add_f32_e32 v28, v28, v27
	v_and_b32_e32 v27, 0x7f800000, v28
	v_cmp_ne_u32_e32 vcc, s97, v27
                                        ; implicit-def: $vgpr27
	s_and_saveexec_b64 s[92:93], vcc
	s_xor_b64 s[92:93], exec, s[92:93]
; %bb.2546:                             ;   in Loop: Header=BB12_2448 Depth=4
	v_bfe_u32 v27, v28, 16, 1
	v_add3_u32 v27, v28, v27, s46
                                        ; implicit-def: $vgpr28
; %bb.2547:                             ;   in Loop: Header=BB12_2448 Depth=4
	s_andn2_saveexec_b64 s[92:93], s[92:93]
	s_cbranch_execz .LBB12_2549
; %bb.2548:                             ;   in Loop: Header=BB12_2448 Depth=4
	buffer_load_dword v59, off, s[0:3], s33 offset:128 ; 4-byte Folded Reload
	buffer_load_dword v60, off, s[0:3], s33 offset:132 ; 4-byte Folded Reload
	v_or_b32_e32 v27, 0x10000, v28
	s_waitcnt vmcnt(1)
	v_cmp_eq_u32_sdwa vcc, v28, v59 src0_sel:WORD_0 src1_sel:DWORD
	v_cndmask_b32_e32 v27, v27, v28, vcc
.LBB12_2549:                            ;   in Loop: Header=BB12_2448 Depth=4
	s_or_b64 exec, exec, s[92:93]
	buffer_load_dword v29, off, s[0:3], s33 offset:356 ; 4-byte Folded Reload
	v_and_b32_e32 v28, 0xffff0000, v43
	s_waitcnt vmcnt(0)
	v_lshlrev_b32_e32 v49, 16, v29
	v_add_f32_e32 v49, v49, v28
	v_and_b32_e32 v28, 0x7f800000, v49
	v_cmp_ne_u32_e32 vcc, s97, v28
                                        ; implicit-def: $vgpr28
	s_and_saveexec_b64 s[92:93], vcc
	s_xor_b64 s[92:93], exec, s[92:93]
; %bb.2550:                             ;   in Loop: Header=BB12_2448 Depth=4
	v_bfe_u32 v28, v49, 16, 1
	v_add3_u32 v28, v49, v28, s46
                                        ; implicit-def: $vgpr49
; %bb.2551:                             ;   in Loop: Header=BB12_2448 Depth=4
	s_andn2_saveexec_b64 s[92:93], s[92:93]
	s_cbranch_execz .LBB12_2553
; %bb.2552:                             ;   in Loop: Header=BB12_2448 Depth=4
	buffer_load_dword v59, off, s[0:3], s33 offset:128 ; 4-byte Folded Reload
	buffer_load_dword v60, off, s[0:3], s33 offset:132 ; 4-byte Folded Reload
	v_or_b32_e32 v28, 0x10000, v49
	s_waitcnt vmcnt(1)
	v_cmp_eq_u32_sdwa vcc, v49, v59 src0_sel:WORD_0 src1_sel:DWORD
	v_cndmask_b32_e32 v28, v28, v49, vcc
.LBB12_2553:                            ;   in Loop: Header=BB12_2448 Depth=4
	s_or_b64 exec, exec, s[92:93]
	buffer_load_dword v29, off, s[0:3], s33 offset:360 ; 4-byte Folded Reload
	v_and_b32_e32 v49, 0xffff0000, v41
                                        ; implicit-def: $vgpr41
	s_waitcnt vmcnt(0)
	v_lshlrev_b32_e32 v51, 16, v29
	v_add_f32_e32 v49, v51, v49
	v_and_b32_e32 v51, 0x7f800000, v49
	v_cmp_ne_u32_e32 vcc, s97, v51
	s_and_saveexec_b64 s[92:93], vcc
	s_xor_b64 s[92:93], exec, s[92:93]
; %bb.2554:                             ;   in Loop: Header=BB12_2448 Depth=4
	v_bfe_u32 v51, v49, 16, 1
	v_add3_u32 v41, v49, v51, s46
                                        ; implicit-def: $vgpr49
; %bb.2555:                             ;   in Loop: Header=BB12_2448 Depth=4
	s_andn2_saveexec_b64 s[92:93], s[92:93]
	s_cbranch_execz .LBB12_2557
; %bb.2556:                             ;   in Loop: Header=BB12_2448 Depth=4
	buffer_load_dword v59, off, s[0:3], s33 offset:128 ; 4-byte Folded Reload
	buffer_load_dword v60, off, s[0:3], s33 offset:132 ; 4-byte Folded Reload
	v_or_b32_e32 v51, 0x10000, v49
	s_waitcnt vmcnt(1)
	v_cmp_eq_u32_sdwa vcc, v49, v59 src0_sel:WORD_0 src1_sel:DWORD
	v_cndmask_b32_e32 v41, v51, v49, vcc
.LBB12_2557:                            ;   in Loop: Header=BB12_2448 Depth=4
	s_or_b64 exec, exec, s[92:93]
	buffer_load_dword v29, off, s[0:3], s33 offset:364 ; 4-byte Folded Reload
	v_and_b32_e32 v49, 0xffff0000, v55
                                        ; implicit-def: $vgpr55
	s_waitcnt vmcnt(0)
	v_lshlrev_b32_e32 v51, 16, v29
	v_add_f32_e32 v49, v51, v49
	v_and_b32_e32 v51, 0x7f800000, v49
	v_cmp_ne_u32_e32 vcc, s97, v51
	s_and_saveexec_b64 s[92:93], vcc
	s_xor_b64 s[92:93], exec, s[92:93]
; %bb.2558:                             ;   in Loop: Header=BB12_2448 Depth=4
	v_bfe_u32 v51, v49, 16, 1
	v_add3_u32 v55, v49, v51, s46
                                        ; implicit-def: $vgpr49
; %bb.2559:                             ;   in Loop: Header=BB12_2448 Depth=4
	s_andn2_saveexec_b64 s[92:93], s[92:93]
	s_cbranch_execz .LBB12_2561
; %bb.2560:                             ;   in Loop: Header=BB12_2448 Depth=4
	buffer_load_dword v59, off, s[0:3], s33 offset:128 ; 4-byte Folded Reload
	buffer_load_dword v60, off, s[0:3], s33 offset:132 ; 4-byte Folded Reload
	v_or_b32_e32 v51, 0x10000, v49
	s_waitcnt vmcnt(1)
	v_cmp_eq_u32_sdwa vcc, v49, v59 src0_sel:WORD_0 src1_sel:DWORD
	v_cndmask_b32_e32 v55, v51, v49, vcc
.LBB12_2561:                            ;   in Loop: Header=BB12_2448 Depth=4
	s_or_b64 exec, exec, s[92:93]
	buffer_load_dword v29, off, s[0:3], s33 offset:368 ; 4-byte Folded Reload
	v_and_b32_e32 v12, 0xffff0000, v12
	s_waitcnt vmcnt(0)
	v_lshlrev_b32_e32 v49, 16, v29
	v_add_f32_e32 v49, v49, v12
	v_and_b32_e32 v12, 0x7f800000, v49
	v_cmp_ne_u32_e32 vcc, s97, v12
                                        ; implicit-def: $vgpr12
	s_and_saveexec_b64 s[92:93], vcc
	s_xor_b64 s[92:93], exec, s[92:93]
; %bb.2562:                             ;   in Loop: Header=BB12_2448 Depth=4
	v_bfe_u32 v12, v49, 16, 1
	v_add3_u32 v12, v49, v12, s46
                                        ; implicit-def: $vgpr49
; %bb.2563:                             ;   in Loop: Header=BB12_2448 Depth=4
	s_andn2_saveexec_b64 s[92:93], s[92:93]
	s_cbranch_execz .LBB12_2565
; %bb.2564:                             ;   in Loop: Header=BB12_2448 Depth=4
	buffer_load_dword v59, off, s[0:3], s33 offset:128 ; 4-byte Folded Reload
	buffer_load_dword v60, off, s[0:3], s33 offset:132 ; 4-byte Folded Reload
	v_or_b32_e32 v12, 0x10000, v49
	s_waitcnt vmcnt(1)
	v_cmp_eq_u32_sdwa vcc, v49, v59 src0_sel:WORD_0 src1_sel:DWORD
	v_cndmask_b32_e32 v12, v12, v49, vcc
.LBB12_2565:                            ;   in Loop: Header=BB12_2448 Depth=4
	s_or_b64 exec, exec, s[92:93]
	buffer_load_dword v29, off, s[0:3], s33 offset:372 ; 4-byte Folded Reload
	v_and_b32_e32 v10, 0xffff0000, v10
	s_waitcnt vmcnt(0)
	v_lshlrev_b32_e32 v49, 16, v29
	v_add_f32_e32 v49, v49, v10
	v_and_b32_e32 v10, 0x7f800000, v49
	v_cmp_ne_u32_e32 vcc, s97, v10
                                        ; implicit-def: $vgpr10
	s_and_saveexec_b64 s[92:93], vcc
	s_xor_b64 s[92:93], exec, s[92:93]
; %bb.2566:                             ;   in Loop: Header=BB12_2448 Depth=4
	v_bfe_u32 v10, v49, 16, 1
	v_add3_u32 v10, v49, v10, s46
                                        ; implicit-def: $vgpr49
; %bb.2567:                             ;   in Loop: Header=BB12_2448 Depth=4
	s_andn2_saveexec_b64 s[92:93], s[92:93]
	s_cbranch_execz .LBB12_2569
; %bb.2568:                             ;   in Loop: Header=BB12_2448 Depth=4
	buffer_load_dword v59, off, s[0:3], s33 offset:128 ; 4-byte Folded Reload
	buffer_load_dword v60, off, s[0:3], s33 offset:132 ; 4-byte Folded Reload
	v_or_b32_e32 v10, 0x10000, v49
	s_waitcnt vmcnt(1)
	v_cmp_eq_u32_sdwa vcc, v49, v59 src0_sel:WORD_0 src1_sel:DWORD
	v_cndmask_b32_e32 v10, v10, v49, vcc
.LBB12_2569:                            ;   in Loop: Header=BB12_2448 Depth=4
	s_or_b64 exec, exec, s[92:93]
	buffer_load_dword v29, off, s[0:3], s33 offset:376 ; 4-byte Folded Reload
	v_and_b32_e32 v7, 0xffff0000, v7
	s_waitcnt vmcnt(0)
	v_lshlrev_b32_e32 v49, 16, v29
	v_add_f32_e32 v49, v49, v7
	v_and_b32_e32 v7, 0x7f800000, v49
	v_cmp_ne_u32_e32 vcc, s97, v7
                                        ; implicit-def: $vgpr7
	s_and_saveexec_b64 s[92:93], vcc
	s_xor_b64 s[92:93], exec, s[92:93]
; %bb.2570:                             ;   in Loop: Header=BB12_2448 Depth=4
	v_bfe_u32 v7, v49, 16, 1
	v_add3_u32 v7, v49, v7, s46
                                        ; implicit-def: $vgpr49
; %bb.2571:                             ;   in Loop: Header=BB12_2448 Depth=4
	s_andn2_saveexec_b64 s[92:93], s[92:93]
	s_cbranch_execz .LBB12_2573
; %bb.2572:                             ;   in Loop: Header=BB12_2448 Depth=4
	buffer_load_dword v59, off, s[0:3], s33 offset:128 ; 4-byte Folded Reload
	buffer_load_dword v60, off, s[0:3], s33 offset:132 ; 4-byte Folded Reload
	v_or_b32_e32 v7, 0x10000, v49
	s_waitcnt vmcnt(1)
	v_cmp_eq_u32_sdwa vcc, v49, v59 src0_sel:WORD_0 src1_sel:DWORD
	v_cndmask_b32_e32 v7, v7, v49, vcc
.LBB12_2573:                            ;   in Loop: Header=BB12_2448 Depth=4
	s_or_b64 exec, exec, s[92:93]
	buffer_load_dword v29, off, s[0:3], s33 offset:380 ; 4-byte Folded Reload
	v_and_b32_e32 v6, 0xffff0000, v6
                                        ; implicit-def: $vgpr60
	s_waitcnt vmcnt(0)
	v_lshlrev_b32_e32 v49, 16, v29
	v_add_f32_e32 v6, v49, v6
	v_and_b32_e32 v49, 0x7f800000, v6
	v_cmp_ne_u32_e32 vcc, s97, v49
	s_and_saveexec_b64 s[92:93], vcc
	s_xor_b64 s[92:93], exec, s[92:93]
; %bb.2574:                             ;   in Loop: Header=BB12_2448 Depth=4
	v_bfe_u32 v49, v6, 16, 1
	v_add3_u32 v60, v6, v49, s46
                                        ; implicit-def: $vgpr6
; %bb.2575:                             ;   in Loop: Header=BB12_2448 Depth=4
	s_andn2_saveexec_b64 s[92:93], s[92:93]
	s_cbranch_execz .LBB12_2577
; %bb.2576:                             ;   in Loop: Header=BB12_2448 Depth=4
	buffer_load_dword v59, off, s[0:3], s33 offset:128 ; 4-byte Folded Reload
	buffer_load_dword v60, off, s[0:3], s33 offset:132 ; 4-byte Folded Reload
	v_or_b32_e32 v49, 0x10000, v6
	s_waitcnt vmcnt(1)
	v_cmp_eq_u32_sdwa vcc, v6, v59 src0_sel:WORD_0 src1_sel:DWORD
	s_waitcnt vmcnt(0)
	v_cndmask_b32_e32 v60, v49, v6, vcc
.LBB12_2577:                            ;   in Loop: Header=BB12_2448 Depth=4
	s_or_b64 exec, exec, s[92:93]
	v_lshrrev_b32_e32 v14, 16, v14
	v_lshrrev_b32_e32 v49, 16, v7
	;; [unrolled: 1-line block ×16, first 2 shown]
	flat_store_short v[0:1], v14 glc slc
	flat_store_short v[0:1], v12 offset:128 glc slc
	flat_store_short v[0:1], v10 offset:256 glc slc
	;; [unrolled: 1-line block ×15, first 2 shown]
	buffer_load_dword v21, off, s[0:3], s33 offset:232 ; 4-byte Folded Reload
	s_waitcnt vmcnt(0)
	v_add_co_u32_e32 v0, vcc, v0, v21
	buffer_load_dword v21, off, s[0:3], s33 offset:236 ; 4-byte Folded Reload
	s_waitcnt vmcnt(0)
	v_addc_co_u32_e32 v1, vcc, v1, v21, vcc
.LBB12_2578:                            ;   in Loop: Header=BB12_2448 Depth=4
	s_or_b64 exec, exec, s[94:95]
	buffer_load_dword v21, off, s[0:3], s33 offset:232 ; 4-byte Folded Reload
	buffer_load_dword v22, off, s[0:3], s33 offset:236 ; 4-byte Folded Reload
	s_waitcnt vmcnt(0)
	v_add_co_u32_e32 v2, vcc, v2, v21
	v_addc_co_u32_e32 v3, vcc, v3, v22, vcc
	v_add_co_u32_e32 v4, vcc, v4, v21
	buffer_load_dword v21, off, s[0:3], s33 offset:152 ; 4-byte Folded Reload
	v_addc_co_u32_e32 v5, vcc, v5, v22, vcc
	s_waitcnt vmcnt(0)
	v_sub_u32_e32 v15, v15, v21
	v_cmp_lt_i32_e64 s[92:93], 0, v15
	s_and_saveexec_b64 s[94:95], s[92:93]
	s_cbranch_execz .LBB12_2580
; %bb.2579:                             ;   in Loop: Header=BB12_2448 Depth=4
	flat_load_ushort v14, v[2:3] glc slc
	flat_load_ushort v12, v[2:3] offset:128 glc slc
	flat_load_ushort v10, v[2:3] offset:256 glc slc
	;; [unrolled: 1-line block ×15, first 2 shown]
	flat_load_ushort v21, v[4:5] glc slc
	v_add_co_u32_e32 v2, vcc, s64, v2
	v_addc_co_u32_e32 v3, vcc, 0, v3, vcc
	s_waitcnt vmcnt(0) lgkmcnt(0)
	buffer_store_dword v21, off, s[0:3], s33 offset:240 ; 4-byte Folded Spill
	flat_load_ushort v21, v[4:5] offset:128 glc slc
	s_waitcnt vmcnt(0) lgkmcnt(0)
	buffer_store_dword v21, off, s[0:3], s33 offset:284 ; 4-byte Folded Spill
	flat_load_ushort v21, v[4:5] offset:256 glc slc
	;; [unrolled: 3-line block ×15, first 2 shown]
	v_add_co_u32_e32 v4, vcc, 0x800, v4
	v_addc_co_u32_e32 v5, vcc, 0, v5, vcc
	s_waitcnt vmcnt(0) lgkmcnt(0)
	buffer_store_dword v21, off, s[0:3], s33 offset:380 ; 4-byte Folded Spill
.LBB12_2580:                            ;   in Loop: Header=BB12_2448 Depth=4
	s_or_b64 exec, exec, s[94:95]
	s_trap 2
	ds_read_b32 v21, v0
	v_lshlrev_b32_e32 v20, 16, v20
                                        ; implicit-def: $vgpr27
	s_waitcnt lgkmcnt(0)
	v_lshlrev_b32_e32 v28, 16, v21
	v_mul_f32_e32 v20, v20, v28
	v_and_b32_e32 v21, 0x7f800000, v20
	v_cmp_ne_u32_e32 vcc, s97, v21
	s_and_saveexec_b64 s[94:95], vcc
	s_xor_b64 s[94:95], exec, s[94:95]
; %bb.2581:                             ;   in Loop: Header=BB12_2448 Depth=4
	v_bfe_u32 v21, v20, 16, 1
	v_add3_u32 v27, v20, v21, s46
                                        ; implicit-def: $vgpr20
; %bb.2582:                             ;   in Loop: Header=BB12_2448 Depth=4
	s_andn2_saveexec_b64 s[94:95], s[94:95]
	s_cbranch_execz .LBB12_2584
; %bb.2583:                             ;   in Loop: Header=BB12_2448 Depth=4
	buffer_load_dword v22, off, s[0:3], s33 offset:128 ; 4-byte Folded Reload
	buffer_load_dword v23, off, s[0:3], s33 offset:132 ; 4-byte Folded Reload
	v_or_b32_e32 v21, 0x10000, v20
	s_waitcnt vmcnt(1)
	v_cmp_eq_u32_sdwa vcc, v20, v22 src0_sel:WORD_0 src1_sel:DWORD
	v_cndmask_b32_e32 v27, v21, v20, vcc
.LBB12_2584:                            ;   in Loop: Header=BB12_2448 Depth=4
	s_or_b64 exec, exec, s[94:95]
	v_lshlrev_b32_e32 v19, 16, v19
	v_mul_f32_e32 v19, v19, v28
	v_and_b32_e32 v20, 0x7f800000, v19
	v_cmp_ne_u32_e32 vcc, s97, v20
                                        ; implicit-def: $vgpr26
	s_and_saveexec_b64 s[94:95], vcc
	s_xor_b64 s[94:95], exec, s[94:95]
; %bb.2585:                             ;   in Loop: Header=BB12_2448 Depth=4
	v_bfe_u32 v20, v19, 16, 1
	v_add3_u32 v26, v19, v20, s46
                                        ; implicit-def: $vgpr19
; %bb.2586:                             ;   in Loop: Header=BB12_2448 Depth=4
	s_andn2_saveexec_b64 s[94:95], s[94:95]
	s_cbranch_execz .LBB12_2588
; %bb.2587:                             ;   in Loop: Header=BB12_2448 Depth=4
	buffer_load_dword v21, off, s[0:3], s33 offset:128 ; 4-byte Folded Reload
	buffer_load_dword v22, off, s[0:3], s33 offset:132 ; 4-byte Folded Reload
	v_or_b32_e32 v20, 0x10000, v19
	s_waitcnt vmcnt(1)
	v_cmp_eq_u32_sdwa vcc, v19, v21 src0_sel:WORD_0 src1_sel:DWORD
	v_cndmask_b32_e32 v26, v20, v19, vcc
.LBB12_2588:                            ;   in Loop: Header=BB12_2448 Depth=4
	s_or_b64 exec, exec, s[94:95]
	v_lshlrev_b32_e32 v17, 16, v17
	v_mul_f32_e32 v17, v17, v28
	v_and_b32_e32 v19, 0x7f800000, v17
	v_cmp_ne_u32_e32 vcc, s97, v19
                                        ; implicit-def: $vgpr25
	s_and_saveexec_b64 s[94:95], vcc
	s_xor_b64 s[94:95], exec, s[94:95]
; %bb.2589:                             ;   in Loop: Header=BB12_2448 Depth=4
	v_bfe_u32 v19, v17, 16, 1
	v_add3_u32 v25, v17, v19, s46
                                        ; implicit-def: $vgpr17
; %bb.2590:                             ;   in Loop: Header=BB12_2448 Depth=4
	s_andn2_saveexec_b64 s[94:95], s[94:95]
	s_cbranch_execz .LBB12_2592
; %bb.2591:                             ;   in Loop: Header=BB12_2448 Depth=4
	buffer_load_dword v20, off, s[0:3], s33 offset:128 ; 4-byte Folded Reload
	buffer_load_dword v21, off, s[0:3], s33 offset:132 ; 4-byte Folded Reload
	v_or_b32_e32 v19, 0x10000, v17
	s_waitcnt vmcnt(1)
	v_cmp_eq_u32_sdwa vcc, v17, v20 src0_sel:WORD_0 src1_sel:DWORD
	v_cndmask_b32_e32 v25, v19, v17, vcc
.LBB12_2592:                            ;   in Loop: Header=BB12_2448 Depth=4
	s_or_b64 exec, exec, s[94:95]
	v_lshlrev_b32_e32 v16, 16, v16
	v_mul_f32_e32 v16, v16, v28
	v_and_b32_e32 v17, 0x7f800000, v16
	v_cmp_ne_u32_e32 vcc, s97, v17
                                        ; implicit-def: $vgpr24
	s_and_saveexec_b64 s[94:95], vcc
	s_xor_b64 s[94:95], exec, s[94:95]
; %bb.2593:                             ;   in Loop: Header=BB12_2448 Depth=4
	v_bfe_u32 v17, v16, 16, 1
	v_add3_u32 v24, v16, v17, s46
                                        ; implicit-def: $vgpr16
; %bb.2594:                             ;   in Loop: Header=BB12_2448 Depth=4
	s_andn2_saveexec_b64 s[94:95], s[94:95]
	s_cbranch_execz .LBB12_2596
; %bb.2595:                             ;   in Loop: Header=BB12_2448 Depth=4
	buffer_load_dword v19, off, s[0:3], s33 offset:128 ; 4-byte Folded Reload
	buffer_load_dword v20, off, s[0:3], s33 offset:132 ; 4-byte Folded Reload
	v_or_b32_e32 v17, 0x10000, v16
	s_waitcnt vmcnt(1)
	v_cmp_eq_u32_sdwa vcc, v16, v19 src0_sel:WORD_0 src1_sel:DWORD
	v_cndmask_b32_e32 v24, v17, v16, vcc
.LBB12_2596:                            ;   in Loop: Header=BB12_2448 Depth=4
	s_or_b64 exec, exec, s[94:95]
	v_lshlrev_b32_e32 v13, 16, v13
	v_mul_f32_e32 v13, v13, v28
	v_and_b32_e32 v16, 0x7f800000, v13
	v_cmp_ne_u32_e32 vcc, s97, v16
                                        ; implicit-def: $vgpr23
	s_and_saveexec_b64 s[94:95], vcc
	s_xor_b64 s[94:95], exec, s[94:95]
	s_cbranch_execz .LBB12_2598
; %bb.2597:                             ;   in Loop: Header=BB12_2448 Depth=4
	v_bfe_u32 v16, v13, 16, 1
	s_waitcnt vmcnt(0)
	v_add3_u32 v23, v13, v16, s46
                                        ; implicit-def: $vgpr13
.LBB12_2598:                            ;   in Loop: Header=BB12_2448 Depth=4
	s_andn2_saveexec_b64 s[94:95], s[94:95]
	s_cbranch_execz .LBB12_2600
; %bb.2599:                             ;   in Loop: Header=BB12_2448 Depth=4
	buffer_load_dword v19, off, s[0:3], s33 offset:128 ; 4-byte Folded Reload
	buffer_load_dword v20, off, s[0:3], s33 offset:132 ; 4-byte Folded Reload
	v_or_b32_e32 v16, 0x10000, v13
	s_waitcnt vmcnt(1)
	v_cmp_eq_u32_sdwa vcc, v13, v19 src0_sel:WORD_0 src1_sel:DWORD
	v_cndmask_b32_e32 v23, v16, v13, vcc
.LBB12_2600:                            ;   in Loop: Header=BB12_2448 Depth=4
	s_or_b64 exec, exec, s[94:95]
	v_lshlrev_b32_e32 v11, 16, v11
	v_mul_f32_e32 v11, v11, v28
	v_and_b32_e32 v13, 0x7f800000, v11
	v_cmp_ne_u32_e32 vcc, s97, v13
                                        ; implicit-def: $vgpr22
	s_and_saveexec_b64 s[94:95], vcc
	s_xor_b64 s[94:95], exec, s[94:95]
	s_cbranch_execz .LBB12_2602
; %bb.2601:                             ;   in Loop: Header=BB12_2448 Depth=4
	v_bfe_u32 v13, v11, 16, 1
	s_waitcnt vmcnt(0)
	v_add3_u32 v22, v11, v13, s46
                                        ; implicit-def: $vgpr11
.LBB12_2602:                            ;   in Loop: Header=BB12_2448 Depth=4
	s_andn2_saveexec_b64 s[94:95], s[94:95]
	s_cbranch_execz .LBB12_2604
; %bb.2603:                             ;   in Loop: Header=BB12_2448 Depth=4
	buffer_load_dword v16, off, s[0:3], s33 offset:128 ; 4-byte Folded Reload
	buffer_load_dword v17, off, s[0:3], s33 offset:132 ; 4-byte Folded Reload
	v_or_b32_e32 v13, 0x10000, v11
	s_waitcnt vmcnt(1)
	v_cmp_eq_u32_sdwa vcc, v11, v16 src0_sel:WORD_0 src1_sel:DWORD
	v_cndmask_b32_e32 v22, v13, v11, vcc
.LBB12_2604:                            ;   in Loop: Header=BB12_2448 Depth=4
	s_or_b64 exec, exec, s[94:95]
	v_lshlrev_b32_e32 v9, 16, v9
	v_mul_f32_e32 v9, v9, v28
	v_and_b32_e32 v11, 0x7f800000, v9
	v_cmp_ne_u32_e32 vcc, s97, v11
                                        ; implicit-def: $vgpr21
	s_and_saveexec_b64 s[94:95], vcc
	s_xor_b64 s[94:95], exec, s[94:95]
	s_cbranch_execz .LBB12_2606
; %bb.2605:                             ;   in Loop: Header=BB12_2448 Depth=4
	v_bfe_u32 v11, v9, 16, 1
	s_waitcnt vmcnt(0)
	v_add3_u32 v21, v9, v11, s46
                                        ; implicit-def: $vgpr9
.LBB12_2606:                            ;   in Loop: Header=BB12_2448 Depth=4
	s_andn2_saveexec_b64 s[94:95], s[94:95]
	s_cbranch_execz .LBB12_2608
; %bb.2607:                             ;   in Loop: Header=BB12_2448 Depth=4
	buffer_load_dword v16, off, s[0:3], s33 offset:128 ; 4-byte Folded Reload
	buffer_load_dword v17, off, s[0:3], s33 offset:132 ; 4-byte Folded Reload
	v_or_b32_e32 v11, 0x10000, v9
	s_waitcnt vmcnt(1)
	v_cmp_eq_u32_sdwa vcc, v9, v16 src0_sel:WORD_0 src1_sel:DWORD
	v_cndmask_b32_e32 v21, v11, v9, vcc
.LBB12_2608:                            ;   in Loop: Header=BB12_2448 Depth=4
	s_or_b64 exec, exec, s[94:95]
	v_lshlrev_b32_e32 v9, 16, v18
	v_mul_f32_e32 v9, v9, v28
	v_and_b32_e32 v11, 0x7f800000, v9
	v_cmp_ne_u32_e32 vcc, s97, v11
                                        ; implicit-def: $vgpr60
	s_and_saveexec_b64 s[94:95], vcc
	s_xor_b64 s[94:95], exec, s[94:95]
; %bb.2609:                             ;   in Loop: Header=BB12_2448 Depth=4
	v_bfe_u32 v11, v9, 16, 1
	v_add3_u32 v60, v9, v11, s46
                                        ; implicit-def: $vgpr9
; %bb.2610:                             ;   in Loop: Header=BB12_2448 Depth=4
	s_andn2_saveexec_b64 s[94:95], s[94:95]
	s_cbranch_execz .LBB12_2612
; %bb.2611:                             ;   in Loop: Header=BB12_2448 Depth=4
	buffer_load_dword v16, off, s[0:3], s33 offset:128 ; 4-byte Folded Reload
	buffer_load_dword v17, off, s[0:3], s33 offset:132 ; 4-byte Folded Reload
	v_or_b32_e32 v11, 0x10000, v9
	s_waitcnt vmcnt(1)
	v_cmp_eq_u32_sdwa vcc, v9, v16 src0_sel:WORD_0 src1_sel:DWORD
	v_cndmask_b32_e32 v60, v11, v9, vcc
.LBB12_2612:                            ;   in Loop: Header=BB12_2448 Depth=4
	s_or_b64 exec, exec, s[94:95]
	v_lshlrev_b32_e32 v8, 16, v8
	v_mul_f32_e32 v8, v8, v28
	v_and_b32_e32 v9, 0x7f800000, v8
	v_cmp_ne_u32_e32 vcc, s97, v9
                                        ; implicit-def: $vgpr20
	s_and_saveexec_b64 s[94:95], vcc
	s_xor_b64 s[94:95], exec, s[94:95]
	s_cbranch_execz .LBB12_2614
; %bb.2613:                             ;   in Loop: Header=BB12_2448 Depth=4
	v_bfe_u32 v9, v8, 16, 1
	s_waitcnt vmcnt(0)
	v_add3_u32 v20, v8, v9, s46
                                        ; implicit-def: $vgpr8
.LBB12_2614:                            ;   in Loop: Header=BB12_2448 Depth=4
	s_andn2_saveexec_b64 s[94:95], s[94:95]
	s_cbranch_execz .LBB12_2616
; %bb.2615:                             ;   in Loop: Header=BB12_2448 Depth=4
	buffer_load_dword v16, off, s[0:3], s33 offset:128 ; 4-byte Folded Reload
	buffer_load_dword v17, off, s[0:3], s33 offset:132 ; 4-byte Folded Reload
	v_or_b32_e32 v9, 0x10000, v8
	s_waitcnt vmcnt(1)
	v_cmp_eq_u32_sdwa vcc, v8, v16 src0_sel:WORD_0 src1_sel:DWORD
	v_cndmask_b32_e32 v20, v9, v8, vcc
.LBB12_2616:                            ;   in Loop: Header=BB12_2448 Depth=4
	s_or_b64 exec, exec, s[94:95]
	v_lshlrev_b32_e32 v8, 16, v61
	v_mul_f32_e32 v8, v8, v28
	v_and_b32_e32 v9, 0x7f800000, v8
	v_cmp_ne_u32_e32 vcc, s97, v9
                                        ; implicit-def: $vgpr19
	s_and_saveexec_b64 s[94:95], vcc
	s_xor_b64 s[94:95], exec, s[94:95]
; %bb.2617:                             ;   in Loop: Header=BB12_2448 Depth=4
	v_bfe_u32 v9, v8, 16, 1
	v_add3_u32 v19, v8, v9, s46
                                        ; implicit-def: $vgpr8
; %bb.2618:                             ;   in Loop: Header=BB12_2448 Depth=4
	s_andn2_saveexec_b64 s[94:95], s[94:95]
	s_cbranch_execz .LBB12_2620
; %bb.2619:                             ;   in Loop: Header=BB12_2448 Depth=4
	buffer_load_dword v16, off, s[0:3], s33 offset:128 ; 4-byte Folded Reload
	buffer_load_dword v17, off, s[0:3], s33 offset:132 ; 4-byte Folded Reload
	v_or_b32_e32 v9, 0x10000, v8
	s_waitcnt vmcnt(1)
	v_cmp_eq_u32_sdwa vcc, v8, v16 src0_sel:WORD_0 src1_sel:DWORD
	v_cndmask_b32_e32 v19, v9, v8, vcc
.LBB12_2620:                            ;   in Loop: Header=BB12_2448 Depth=4
	s_or_b64 exec, exec, s[94:95]
	v_lshlrev_b32_e32 v8, 16, v58
	v_mul_f32_e32 v8, v8, v28
	v_and_b32_e32 v9, 0x7f800000, v8
	v_cmp_ne_u32_e32 vcc, s97, v9
                                        ; implicit-def: $vgpr18
	s_and_saveexec_b64 s[94:95], vcc
	s_xor_b64 s[94:95], exec, s[94:95]
; %bb.2621:                             ;   in Loop: Header=BB12_2448 Depth=4
	v_bfe_u32 v9, v8, 16, 1
	v_add3_u32 v18, v8, v9, s46
                                        ; implicit-def: $vgpr8
; %bb.2622:                             ;   in Loop: Header=BB12_2448 Depth=4
	s_andn2_saveexec_b64 s[94:95], s[94:95]
	s_cbranch_execz .LBB12_2624
; %bb.2623:                             ;   in Loop: Header=BB12_2448 Depth=4
	buffer_load_dword v16, off, s[0:3], s33 offset:128 ; 4-byte Folded Reload
	buffer_load_dword v17, off, s[0:3], s33 offset:132 ; 4-byte Folded Reload
	v_or_b32_e32 v9, 0x10000, v8
	s_waitcnt vmcnt(1)
	v_cmp_eq_u32_sdwa vcc, v8, v16 src0_sel:WORD_0 src1_sel:DWORD
	v_cndmask_b32_e32 v18, v9, v8, vcc
.LBB12_2624:                            ;   in Loop: Header=BB12_2448 Depth=4
	s_or_b64 exec, exec, s[94:95]
	v_lshlrev_b32_e32 v8, 16, v56
	v_mul_f32_e32 v8, v8, v28
	v_and_b32_e32 v9, 0x7f800000, v8
	v_cmp_ne_u32_e32 vcc, s97, v9
                                        ; implicit-def: $vgpr17
	s_and_saveexec_b64 s[94:95], vcc
	s_xor_b64 s[94:95], exec, s[94:95]
	s_cbranch_execz .LBB12_2626
; %bb.2625:                             ;   in Loop: Header=BB12_2448 Depth=4
	v_bfe_u32 v9, v8, 16, 1
	s_waitcnt vmcnt(0)
	v_add3_u32 v17, v8, v9, s46
                                        ; implicit-def: $vgpr8
.LBB12_2626:                            ;   in Loop: Header=BB12_2448 Depth=4
	s_andn2_saveexec_b64 s[94:95], s[94:95]
	s_cbranch_execz .LBB12_2628
; %bb.2627:                             ;   in Loop: Header=BB12_2448 Depth=4
	buffer_load_dword v16, off, s[0:3], s33 offset:128 ; 4-byte Folded Reload
	buffer_load_dword v17, off, s[0:3], s33 offset:132 ; 4-byte Folded Reload
	v_or_b32_e32 v9, 0x10000, v8
	s_waitcnt vmcnt(1)
	v_cmp_eq_u32_sdwa vcc, v8, v16 src0_sel:WORD_0 src1_sel:DWORD
	s_waitcnt vmcnt(0)
	v_cndmask_b32_e32 v17, v9, v8, vcc
.LBB12_2628:                            ;   in Loop: Header=BB12_2448 Depth=4
	s_or_b64 exec, exec, s[94:95]
	v_lshlrev_b32_e32 v8, 16, v46
	v_mul_f32_e32 v8, v8, v28
	v_and_b32_e32 v9, 0x7f800000, v8
	v_cmp_ne_u32_e32 vcc, s97, v9
                                        ; implicit-def: $vgpr16
	s_and_saveexec_b64 s[94:95], vcc
	s_xor_b64 s[94:95], exec, s[94:95]
; %bb.2629:                             ;   in Loop: Header=BB12_2448 Depth=4
	v_bfe_u32 v9, v8, 16, 1
	v_add3_u32 v16, v8, v9, s46
                                        ; implicit-def: $vgpr8
; %bb.2630:                             ;   in Loop: Header=BB12_2448 Depth=4
	s_andn2_saveexec_b64 s[94:95], s[94:95]
	s_cbranch_execz .LBB12_2632
; %bb.2631:                             ;   in Loop: Header=BB12_2448 Depth=4
	buffer_load_dword v29, off, s[0:3], s33 offset:128 ; 4-byte Folded Reload
	buffer_load_dword v30, off, s[0:3], s33 offset:132 ; 4-byte Folded Reload
	v_or_b32_e32 v9, 0x10000, v8
	s_waitcnt vmcnt(1)
	v_cmp_eq_u32_sdwa vcc, v8, v29 src0_sel:WORD_0 src1_sel:DWORD
	v_cndmask_b32_e32 v16, v9, v8, vcc
.LBB12_2632:                            ;   in Loop: Header=BB12_2448 Depth=4
	s_or_b64 exec, exec, s[94:95]
	v_lshlrev_b32_e32 v8, 16, v44
	v_mul_f32_e32 v8, v8, v28
	v_and_b32_e32 v9, 0x7f800000, v8
	v_cmp_ne_u32_e32 vcc, s97, v9
                                        ; implicit-def: $vgpr13
	s_and_saveexec_b64 s[94:95], vcc
	s_xor_b64 s[94:95], exec, s[94:95]
; %bb.2633:                             ;   in Loop: Header=BB12_2448 Depth=4
	v_bfe_u32 v9, v8, 16, 1
	v_add3_u32 v13, v8, v9, s46
                                        ; implicit-def: $vgpr8
; %bb.2634:                             ;   in Loop: Header=BB12_2448 Depth=4
	s_andn2_saveexec_b64 s[94:95], s[94:95]
	s_cbranch_execz .LBB12_2636
; %bb.2635:                             ;   in Loop: Header=BB12_2448 Depth=4
	buffer_load_dword v29, off, s[0:3], s33 offset:128 ; 4-byte Folded Reload
	buffer_load_dword v30, off, s[0:3], s33 offset:132 ; 4-byte Folded Reload
	v_or_b32_e32 v9, 0x10000, v8
	s_waitcnt vmcnt(1)
	v_cmp_eq_u32_sdwa vcc, v8, v29 src0_sel:WORD_0 src1_sel:DWORD
	v_cndmask_b32_e32 v13, v9, v8, vcc
.LBB12_2636:                            ;   in Loop: Header=BB12_2448 Depth=4
	s_or_b64 exec, exec, s[94:95]
	v_lshlrev_b32_e32 v8, 16, v42
	v_mul_f32_e32 v8, v8, v28
	v_and_b32_e32 v9, 0x7f800000, v8
	v_cmp_ne_u32_e32 vcc, s97, v9
                                        ; implicit-def: $vgpr11
	s_and_saveexec_b64 s[94:95], vcc
	s_xor_b64 s[94:95], exec, s[94:95]
; %bb.2637:                             ;   in Loop: Header=BB12_2448 Depth=4
	v_bfe_u32 v9, v8, 16, 1
	v_add3_u32 v11, v8, v9, s46
                                        ; implicit-def: $vgpr8
; %bb.2638:                             ;   in Loop: Header=BB12_2448 Depth=4
	s_andn2_saveexec_b64 s[94:95], s[94:95]
	s_cbranch_execz .LBB12_2640
; %bb.2639:                             ;   in Loop: Header=BB12_2448 Depth=4
	buffer_load_dword v29, off, s[0:3], s33 offset:128 ; 4-byte Folded Reload
	buffer_load_dword v30, off, s[0:3], s33 offset:132 ; 4-byte Folded Reload
	v_or_b32_e32 v9, 0x10000, v8
	s_waitcnt vmcnt(1)
	v_cmp_eq_u32_sdwa vcc, v8, v29 src0_sel:WORD_0 src1_sel:DWORD
	v_cndmask_b32_e32 v11, v9, v8, vcc
.LBB12_2640:                            ;   in Loop: Header=BB12_2448 Depth=4
	s_or_b64 exec, exec, s[94:95]
	v_lshlrev_b32_e32 v8, 16, v40
	v_mul_f32_e32 v9, v8, v28
	v_and_b32_e32 v8, 0x7f800000, v9
	v_cmp_ne_u32_e32 vcc, s97, v8
                                        ; implicit-def: $vgpr8
	s_and_saveexec_b64 s[94:95], vcc
	s_xor_b64 s[94:95], exec, s[94:95]
; %bb.2641:                             ;   in Loop: Header=BB12_2448 Depth=4
	v_bfe_u32 v8, v9, 16, 1
	v_add3_u32 v8, v9, v8, s46
                                        ; implicit-def: $vgpr9
; %bb.2642:                             ;   in Loop: Header=BB12_2448 Depth=4
	s_andn2_saveexec_b64 s[94:95], s[94:95]
	s_cbranch_execz .LBB12_2644
; %bb.2643:                             ;   in Loop: Header=BB12_2448 Depth=4
	buffer_load_dword v28, off, s[0:3], s33 offset:128 ; 4-byte Folded Reload
	buffer_load_dword v29, off, s[0:3], s33 offset:132 ; 4-byte Folded Reload
	v_or_b32_e32 v8, 0x10000, v9
	s_waitcnt vmcnt(1)
	v_cmp_eq_u32_sdwa vcc, v9, v28 src0_sel:WORD_0 src1_sel:DWORD
	v_cndmask_b32_e32 v8, v8, v9, vcc
.LBB12_2644:                            ;   in Loop: Header=BB12_2448 Depth=4
	s_or_b64 exec, exec, s[94:95]
	v_and_b32_e32 v9, 0xffff0000, v27
	v_lshlrev_b32_e32 v27, 16, v54
	v_add_f32_e32 v27, v27, v9
	v_and_b32_e32 v9, 0x7f800000, v27
	v_cmp_ne_u32_e32 vcc, s97, v9
                                        ; implicit-def: $vgpr9
	s_and_saveexec_b64 s[94:95], vcc
	s_xor_b64 s[94:95], exec, s[94:95]
; %bb.2645:                             ;   in Loop: Header=BB12_2448 Depth=4
	v_bfe_u32 v9, v27, 16, 1
	v_add3_u32 v9, v27, v9, s46
                                        ; implicit-def: $vgpr27
; %bb.2646:                             ;   in Loop: Header=BB12_2448 Depth=4
	s_andn2_saveexec_b64 s[94:95], s[94:95]
	s_cbranch_execz .LBB12_2648
; %bb.2647:                             ;   in Loop: Header=BB12_2448 Depth=4
	buffer_load_dword v28, off, s[0:3], s33 offset:128 ; 4-byte Folded Reload
	buffer_load_dword v29, off, s[0:3], s33 offset:132 ; 4-byte Folded Reload
	v_or_b32_e32 v9, 0x10000, v27
	s_waitcnt vmcnt(1)
	v_cmp_eq_u32_sdwa vcc, v27, v28 src0_sel:WORD_0 src1_sel:DWORD
	v_cndmask_b32_e32 v9, v9, v27, vcc
.LBB12_2648:                            ;   in Loop: Header=BB12_2448 Depth=4
	s_or_b64 exec, exec, s[94:95]
	v_and_b32_e32 v26, 0xffff0000, v26
	v_lshlrev_b32_e32 v27, 16, v52
	v_add_f32_e32 v27, v27, v26
	v_and_b32_e32 v26, 0x7f800000, v27
	v_cmp_ne_u32_e32 vcc, s97, v26
                                        ; implicit-def: $vgpr26
	s_and_saveexec_b64 s[94:95], vcc
	s_xor_b64 s[94:95], exec, s[94:95]
; %bb.2649:                             ;   in Loop: Header=BB12_2448 Depth=4
	v_bfe_u32 v26, v27, 16, 1
	v_add3_u32 v26, v27, v26, s46
                                        ; implicit-def: $vgpr27
; %bb.2650:                             ;   in Loop: Header=BB12_2448 Depth=4
	s_andn2_saveexec_b64 s[94:95], s[94:95]
	s_cbranch_execz .LBB12_2652
; %bb.2651:                             ;   in Loop: Header=BB12_2448 Depth=4
	buffer_load_dword v28, off, s[0:3], s33 offset:128 ; 4-byte Folded Reload
	buffer_load_dword v29, off, s[0:3], s33 offset:132 ; 4-byte Folded Reload
	v_or_b32_e32 v26, 0x10000, v27
	s_waitcnt vmcnt(1)
	v_cmp_eq_u32_sdwa vcc, v27, v28 src0_sel:WORD_0 src1_sel:DWORD
	v_cndmask_b32_e32 v26, v26, v27, vcc
.LBB12_2652:                            ;   in Loop: Header=BB12_2448 Depth=4
	s_or_b64 exec, exec, s[94:95]
	v_and_b32_e32 v25, 0xffff0000, v25
	v_lshlrev_b32_e32 v27, 16, v50
	v_add_f32_e32 v27, v27, v25
	v_and_b32_e32 v25, 0x7f800000, v27
	v_cmp_ne_u32_e32 vcc, s97, v25
                                        ; implicit-def: $vgpr25
	s_and_saveexec_b64 s[94:95], vcc
	s_xor_b64 s[94:95], exec, s[94:95]
; %bb.2653:                             ;   in Loop: Header=BB12_2448 Depth=4
	v_bfe_u32 v25, v27, 16, 1
	v_add3_u32 v25, v27, v25, s46
                                        ; implicit-def: $vgpr27
; %bb.2654:                             ;   in Loop: Header=BB12_2448 Depth=4
	s_andn2_saveexec_b64 s[94:95], s[94:95]
	s_cbranch_execz .LBB12_2656
; %bb.2655:                             ;   in Loop: Header=BB12_2448 Depth=4
	buffer_load_dword v28, off, s[0:3], s33 offset:128 ; 4-byte Folded Reload
	buffer_load_dword v29, off, s[0:3], s33 offset:132 ; 4-byte Folded Reload
	v_or_b32_e32 v25, 0x10000, v27
	s_waitcnt vmcnt(1)
	v_cmp_eq_u32_sdwa vcc, v27, v28 src0_sel:WORD_0 src1_sel:DWORD
	v_cndmask_b32_e32 v25, v25, v27, vcc
.LBB12_2656:                            ;   in Loop: Header=BB12_2448 Depth=4
	s_or_b64 exec, exec, s[94:95]
	v_and_b32_e32 v24, 0xffff0000, v24
	v_lshlrev_b32_e32 v27, 16, v39
	v_add_f32_e32 v27, v27, v24
	v_and_b32_e32 v24, 0x7f800000, v27
	v_cmp_ne_u32_e32 vcc, s97, v24
                                        ; implicit-def: $vgpr24
	s_and_saveexec_b64 s[94:95], vcc
	s_xor_b64 s[94:95], exec, s[94:95]
; %bb.2657:                             ;   in Loop: Header=BB12_2448 Depth=4
	v_bfe_u32 v24, v27, 16, 1
	v_add3_u32 v24, v27, v24, s46
                                        ; implicit-def: $vgpr27
; %bb.2658:                             ;   in Loop: Header=BB12_2448 Depth=4
	s_andn2_saveexec_b64 s[94:95], s[94:95]
	s_cbranch_execz .LBB12_2660
; %bb.2659:                             ;   in Loop: Header=BB12_2448 Depth=4
	buffer_load_dword v28, off, s[0:3], s33 offset:128 ; 4-byte Folded Reload
	buffer_load_dword v29, off, s[0:3], s33 offset:132 ; 4-byte Folded Reload
	v_or_b32_e32 v24, 0x10000, v27
	s_waitcnt vmcnt(1)
	v_cmp_eq_u32_sdwa vcc, v27, v28 src0_sel:WORD_0 src1_sel:DWORD
	v_cndmask_b32_e32 v24, v24, v27, vcc
.LBB12_2660:                            ;   in Loop: Header=BB12_2448 Depth=4
	s_or_b64 exec, exec, s[94:95]
	s_waitcnt vmcnt(0)
	v_and_b32_e32 v23, 0xffff0000, v23
	v_lshlrev_b32_e32 v27, 16, v38
	v_add_f32_e32 v27, v27, v23
	v_and_b32_e32 v23, 0x7f800000, v27
	v_cmp_ne_u32_e32 vcc, s97, v23
                                        ; implicit-def: $vgpr23
	s_and_saveexec_b64 s[94:95], vcc
	s_xor_b64 s[94:95], exec, s[94:95]
; %bb.2661:                             ;   in Loop: Header=BB12_2448 Depth=4
	v_bfe_u32 v23, v27, 16, 1
	v_add3_u32 v23, v27, v23, s46
                                        ; implicit-def: $vgpr27
; %bb.2662:                             ;   in Loop: Header=BB12_2448 Depth=4
	s_andn2_saveexec_b64 s[94:95], s[94:95]
	s_cbranch_execz .LBB12_2664
; %bb.2663:                             ;   in Loop: Header=BB12_2448 Depth=4
	buffer_load_dword v28, off, s[0:3], s33 offset:128 ; 4-byte Folded Reload
	buffer_load_dword v29, off, s[0:3], s33 offset:132 ; 4-byte Folded Reload
	v_or_b32_e32 v23, 0x10000, v27
	s_waitcnt vmcnt(1)
	v_cmp_eq_u32_sdwa vcc, v27, v28 src0_sel:WORD_0 src1_sel:DWORD
	v_cndmask_b32_e32 v23, v23, v27, vcc
.LBB12_2664:                            ;   in Loop: Header=BB12_2448 Depth=4
	s_or_b64 exec, exec, s[94:95]
	v_and_b32_e32 v22, 0xffff0000, v22
	v_lshlrev_b32_e32 v27, 16, v37
	v_add_f32_e32 v27, v27, v22
	v_and_b32_e32 v22, 0x7f800000, v27
	v_cmp_ne_u32_e32 vcc, s97, v22
                                        ; implicit-def: $vgpr22
	s_and_saveexec_b64 s[94:95], vcc
	s_xor_b64 s[94:95], exec, s[94:95]
; %bb.2665:                             ;   in Loop: Header=BB12_2448 Depth=4
	v_bfe_u32 v22, v27, 16, 1
	v_add3_u32 v22, v27, v22, s46
                                        ; implicit-def: $vgpr27
; %bb.2666:                             ;   in Loop: Header=BB12_2448 Depth=4
	s_andn2_saveexec_b64 s[94:95], s[94:95]
	s_cbranch_execz .LBB12_2668
; %bb.2667:                             ;   in Loop: Header=BB12_2448 Depth=4
	buffer_load_dword v28, off, s[0:3], s33 offset:128 ; 4-byte Folded Reload
	buffer_load_dword v29, off, s[0:3], s33 offset:132 ; 4-byte Folded Reload
	v_or_b32_e32 v22, 0x10000, v27
	s_waitcnt vmcnt(1)
	v_cmp_eq_u32_sdwa vcc, v27, v28 src0_sel:WORD_0 src1_sel:DWORD
	v_cndmask_b32_e32 v22, v22, v27, vcc
.LBB12_2668:                            ;   in Loop: Header=BB12_2448 Depth=4
	s_or_b64 exec, exec, s[94:95]
	v_and_b32_e32 v21, 0xffff0000, v21
	v_lshlrev_b32_e32 v27, 16, v36
	v_add_f32_e32 v27, v27, v21
	v_and_b32_e32 v21, 0x7f800000, v27
	v_cmp_ne_u32_e32 vcc, s97, v21
                                        ; implicit-def: $vgpr21
	s_and_saveexec_b64 s[94:95], vcc
	s_xor_b64 s[94:95], exec, s[94:95]
; %bb.2669:                             ;   in Loop: Header=BB12_2448 Depth=4
	v_bfe_u32 v21, v27, 16, 1
	v_add3_u32 v21, v27, v21, s46
                                        ; implicit-def: $vgpr27
; %bb.2670:                             ;   in Loop: Header=BB12_2448 Depth=4
	s_andn2_saveexec_b64 s[94:95], s[94:95]
	s_cbranch_execz .LBB12_2672
; %bb.2671:                             ;   in Loop: Header=BB12_2448 Depth=4
	buffer_load_dword v28, off, s[0:3], s33 offset:128 ; 4-byte Folded Reload
	buffer_load_dword v29, off, s[0:3], s33 offset:132 ; 4-byte Folded Reload
	v_or_b32_e32 v21, 0x10000, v27
	s_waitcnt vmcnt(1)
	v_cmp_eq_u32_sdwa vcc, v27, v28 src0_sel:WORD_0 src1_sel:DWORD
	v_cndmask_b32_e32 v21, v21, v27, vcc
.LBB12_2672:                            ;   in Loop: Header=BB12_2448 Depth=4
	s_or_b64 exec, exec, s[94:95]
	v_and_b32_e32 v27, 0xffff0000, v60
	v_lshlrev_b32_e32 v28, 16, v35
	v_add_f32_e32 v28, v28, v27
	v_and_b32_e32 v27, 0x7f800000, v28
	v_cmp_ne_u32_e32 vcc, s97, v27
                                        ; implicit-def: $vgpr27
	s_and_saveexec_b64 s[94:95], vcc
	s_xor_b64 s[94:95], exec, s[94:95]
; %bb.2673:                             ;   in Loop: Header=BB12_2448 Depth=4
	v_bfe_u32 v27, v28, 16, 1
	v_add3_u32 v27, v28, v27, s46
                                        ; implicit-def: $vgpr28
; %bb.2674:                             ;   in Loop: Header=BB12_2448 Depth=4
	s_andn2_saveexec_b64 s[94:95], s[94:95]
	s_cbranch_execz .LBB12_2676
; %bb.2675:                             ;   in Loop: Header=BB12_2448 Depth=4
	buffer_load_dword v29, off, s[0:3], s33 offset:128 ; 4-byte Folded Reload
	buffer_load_dword v30, off, s[0:3], s33 offset:132 ; 4-byte Folded Reload
	v_or_b32_e32 v27, 0x10000, v28
	s_waitcnt vmcnt(1)
	v_cmp_eq_u32_sdwa vcc, v28, v29 src0_sel:WORD_0 src1_sel:DWORD
	v_cndmask_b32_e32 v27, v27, v28, vcc
.LBB12_2676:                            ;   in Loop: Header=BB12_2448 Depth=4
	s_or_b64 exec, exec, s[94:95]
	v_and_b32_e32 v20, 0xffff0000, v20
	v_lshlrev_b32_e32 v28, 16, v34
	v_add_f32_e32 v28, v28, v20
	v_and_b32_e32 v20, 0x7f800000, v28
	v_cmp_ne_u32_e32 vcc, s97, v20
                                        ; implicit-def: $vgpr20
	s_and_saveexec_b64 s[94:95], vcc
	s_xor_b64 s[94:95], exec, s[94:95]
; %bb.2677:                             ;   in Loop: Header=BB12_2448 Depth=4
	v_bfe_u32 v20, v28, 16, 1
	v_add3_u32 v20, v28, v20, s46
                                        ; implicit-def: $vgpr28
; %bb.2678:                             ;   in Loop: Header=BB12_2448 Depth=4
	s_andn2_saveexec_b64 s[94:95], s[94:95]
	s_cbranch_execz .LBB12_2680
; %bb.2679:                             ;   in Loop: Header=BB12_2448 Depth=4
	buffer_load_dword v29, off, s[0:3], s33 offset:128 ; 4-byte Folded Reload
	buffer_load_dword v30, off, s[0:3], s33 offset:132 ; 4-byte Folded Reload
	v_or_b32_e32 v20, 0x10000, v28
	s_waitcnt vmcnt(1)
	v_cmp_eq_u32_sdwa vcc, v28, v29 src0_sel:WORD_0 src1_sel:DWORD
	v_cndmask_b32_e32 v20, v20, v28, vcc
.LBB12_2680:                            ;   in Loop: Header=BB12_2448 Depth=4
	s_or_b64 exec, exec, s[94:95]
	v_and_b32_e32 v19, 0xffff0000, v19
	v_lshlrev_b32_e32 v28, 16, v33
	v_add_f32_e32 v28, v28, v19
	v_and_b32_e32 v19, 0x7f800000, v28
	v_cmp_ne_u32_e32 vcc, s97, v19
                                        ; implicit-def: $vgpr19
	s_and_saveexec_b64 s[94:95], vcc
	s_xor_b64 s[94:95], exec, s[94:95]
; %bb.2681:                             ;   in Loop: Header=BB12_2448 Depth=4
	v_bfe_u32 v19, v28, 16, 1
	v_add3_u32 v19, v28, v19, s46
                                        ; implicit-def: $vgpr28
; %bb.2682:                             ;   in Loop: Header=BB12_2448 Depth=4
	s_andn2_saveexec_b64 s[94:95], s[94:95]
	s_cbranch_execz .LBB12_2684
; %bb.2683:                             ;   in Loop: Header=BB12_2448 Depth=4
	buffer_load_dword v29, off, s[0:3], s33 offset:128 ; 4-byte Folded Reload
	buffer_load_dword v30, off, s[0:3], s33 offset:132 ; 4-byte Folded Reload
	v_or_b32_e32 v19, 0x10000, v28
	s_waitcnt vmcnt(1)
	v_cmp_eq_u32_sdwa vcc, v28, v29 src0_sel:WORD_0 src1_sel:DWORD
	v_cndmask_b32_e32 v19, v19, v28, vcc
.LBB12_2684:                            ;   in Loop: Header=BB12_2448 Depth=4
	s_or_b64 exec, exec, s[94:95]
	v_and_b32_e32 v18, 0xffff0000, v18
	v_lshlrev_b32_e32 v28, 16, v32
	v_add_f32_e32 v28, v28, v18
	v_and_b32_e32 v18, 0x7f800000, v28
	v_cmp_ne_u32_e32 vcc, s97, v18
                                        ; implicit-def: $vgpr18
	s_and_saveexec_b64 s[94:95], vcc
	s_xor_b64 s[94:95], exec, s[94:95]
; %bb.2685:                             ;   in Loop: Header=BB12_2448 Depth=4
	v_bfe_u32 v18, v28, 16, 1
	v_add3_u32 v18, v28, v18, s46
                                        ; implicit-def: $vgpr28
; %bb.2686:                             ;   in Loop: Header=BB12_2448 Depth=4
	s_andn2_saveexec_b64 s[94:95], s[94:95]
	s_cbranch_execz .LBB12_2688
; %bb.2687:                             ;   in Loop: Header=BB12_2448 Depth=4
	buffer_load_dword v29, off, s[0:3], s33 offset:128 ; 4-byte Folded Reload
	buffer_load_dword v30, off, s[0:3], s33 offset:132 ; 4-byte Folded Reload
	v_or_b32_e32 v18, 0x10000, v28
	s_waitcnt vmcnt(1)
	v_cmp_eq_u32_sdwa vcc, v28, v29 src0_sel:WORD_0 src1_sel:DWORD
	v_cndmask_b32_e32 v18, v18, v28, vcc
.LBB12_2688:                            ;   in Loop: Header=BB12_2448 Depth=4
	s_or_b64 exec, exec, s[94:95]
	v_and_b32_e32 v17, 0xffff0000, v17
	v_lshlrev_b32_e32 v28, 16, v31
	v_add_f32_e32 v28, v28, v17
	v_and_b32_e32 v17, 0x7f800000, v28
	v_cmp_ne_u32_e32 vcc, s97, v17
                                        ; implicit-def: $vgpr17
	s_and_saveexec_b64 s[94:95], vcc
	s_xor_b64 s[94:95], exec, s[94:95]
; %bb.2689:                             ;   in Loop: Header=BB12_2448 Depth=4
	v_bfe_u32 v17, v28, 16, 1
	v_add3_u32 v17, v28, v17, s46
                                        ; implicit-def: $vgpr28
; %bb.2690:                             ;   in Loop: Header=BB12_2448 Depth=4
	s_andn2_saveexec_b64 s[94:95], s[94:95]
	s_cbranch_execz .LBB12_2692
; %bb.2691:                             ;   in Loop: Header=BB12_2448 Depth=4
	buffer_load_dword v29, off, s[0:3], s33 offset:128 ; 4-byte Folded Reload
	buffer_load_dword v30, off, s[0:3], s33 offset:132 ; 4-byte Folded Reload
	v_or_b32_e32 v17, 0x10000, v28
	s_waitcnt vmcnt(1)
	v_cmp_eq_u32_sdwa vcc, v28, v29 src0_sel:WORD_0 src1_sel:DWORD
	v_cndmask_b32_e32 v17, v17, v28, vcc
.LBB12_2692:                            ;   in Loop: Header=BB12_2448 Depth=4
	s_or_b64 exec, exec, s[94:95]
	buffer_load_dword v28, off, s[0:3], s33 offset:216 ; 4-byte Folded Reload
	v_and_b32_e32 v16, 0xffff0000, v16
	s_waitcnt vmcnt(0)
	v_lshlrev_b32_e32 v28, 16, v28
	v_add_f32_e32 v28, v28, v16
	v_and_b32_e32 v16, 0x7f800000, v28
	v_cmp_ne_u32_e32 vcc, s97, v16
                                        ; implicit-def: $vgpr16
	s_and_saveexec_b64 s[94:95], vcc
	s_xor_b64 s[94:95], exec, s[94:95]
; %bb.2693:                             ;   in Loop: Header=BB12_2448 Depth=4
	v_bfe_u32 v16, v28, 16, 1
	v_add3_u32 v16, v28, v16, s46
                                        ; implicit-def: $vgpr28
; %bb.2694:                             ;   in Loop: Header=BB12_2448 Depth=4
	s_andn2_saveexec_b64 s[94:95], s[94:95]
	s_cbranch_execz .LBB12_2696
; %bb.2695:                             ;   in Loop: Header=BB12_2448 Depth=4
	buffer_load_dword v29, off, s[0:3], s33 offset:128 ; 4-byte Folded Reload
	buffer_load_dword v30, off, s[0:3], s33 offset:132 ; 4-byte Folded Reload
	v_or_b32_e32 v16, 0x10000, v28
	s_waitcnt vmcnt(1)
	v_cmp_eq_u32_sdwa vcc, v28, v29 src0_sel:WORD_0 src1_sel:DWORD
	v_cndmask_b32_e32 v16, v16, v28, vcc
.LBB12_2696:                            ;   in Loop: Header=BB12_2448 Depth=4
	s_or_b64 exec, exec, s[94:95]
	buffer_load_dword v28, off, s[0:3], s33 offset:200 ; 4-byte Folded Reload
	v_and_b32_e32 v13, 0xffff0000, v13
	s_waitcnt vmcnt(0)
	v_lshlrev_b32_e32 v28, 16, v28
	v_add_f32_e32 v28, v28, v13
	v_and_b32_e32 v13, 0x7f800000, v28
	v_cmp_ne_u32_e32 vcc, s97, v13
                                        ; implicit-def: $vgpr13
	s_and_saveexec_b64 s[94:95], vcc
	s_xor_b64 s[94:95], exec, s[94:95]
; %bb.2697:                             ;   in Loop: Header=BB12_2448 Depth=4
	v_bfe_u32 v13, v28, 16, 1
	v_add3_u32 v13, v28, v13, s46
                                        ; implicit-def: $vgpr28
; %bb.2698:                             ;   in Loop: Header=BB12_2448 Depth=4
	s_andn2_saveexec_b64 s[94:95], s[94:95]
	s_cbranch_execz .LBB12_2700
; %bb.2699:                             ;   in Loop: Header=BB12_2448 Depth=4
	buffer_load_dword v29, off, s[0:3], s33 offset:128 ; 4-byte Folded Reload
	buffer_load_dword v30, off, s[0:3], s33 offset:132 ; 4-byte Folded Reload
	v_or_b32_e32 v13, 0x10000, v28
	s_waitcnt vmcnt(1)
	v_cmp_eq_u32_sdwa vcc, v28, v29 src0_sel:WORD_0 src1_sel:DWORD
	v_cndmask_b32_e32 v13, v13, v28, vcc
.LBB12_2700:                            ;   in Loop: Header=BB12_2448 Depth=4
	s_or_b64 exec, exec, s[94:95]
	buffer_load_dword v28, off, s[0:3], s33 offset:184 ; 4-byte Folded Reload
	v_and_b32_e32 v11, 0xffff0000, v11
	s_waitcnt vmcnt(0)
	v_lshlrev_b32_e32 v28, 16, v28
	v_add_f32_e32 v28, v28, v11
	v_and_b32_e32 v11, 0x7f800000, v28
	v_cmp_ne_u32_e32 vcc, s97, v11
                                        ; implicit-def: $vgpr11
	s_and_saveexec_b64 s[94:95], vcc
	s_xor_b64 s[94:95], exec, s[94:95]
; %bb.2701:                             ;   in Loop: Header=BB12_2448 Depth=4
	v_bfe_u32 v11, v28, 16, 1
	v_add3_u32 v11, v28, v11, s46
                                        ; implicit-def: $vgpr28
; %bb.2702:                             ;   in Loop: Header=BB12_2448 Depth=4
	s_andn2_saveexec_b64 s[94:95], s[94:95]
	s_cbranch_execz .LBB12_2704
; %bb.2703:                             ;   in Loop: Header=BB12_2448 Depth=4
	buffer_load_dword v29, off, s[0:3], s33 offset:128 ; 4-byte Folded Reload
	buffer_load_dword v30, off, s[0:3], s33 offset:132 ; 4-byte Folded Reload
	v_or_b32_e32 v11, 0x10000, v28
	s_waitcnt vmcnt(1)
	v_cmp_eq_u32_sdwa vcc, v28, v29 src0_sel:WORD_0 src1_sel:DWORD
	v_cndmask_b32_e32 v11, v11, v28, vcc
.LBB12_2704:                            ;   in Loop: Header=BB12_2448 Depth=4
	s_or_b64 exec, exec, s[94:95]
	buffer_load_dword v28, off, s[0:3], s33 offset:168 ; 4-byte Folded Reload
	v_and_b32_e32 v8, 0xffff0000, v8
	s_waitcnt vmcnt(0)
	v_lshlrev_b32_e32 v28, 16, v28
	v_add_f32_e32 v28, v28, v8
	v_and_b32_e32 v8, 0x7f800000, v28
	v_cmp_ne_u32_e32 vcc, s97, v8
                                        ; implicit-def: $vgpr8
	s_and_saveexec_b64 s[94:95], vcc
	s_xor_b64 s[94:95], exec, s[94:95]
; %bb.2705:                             ;   in Loop: Header=BB12_2448 Depth=4
	v_bfe_u32 v8, v28, 16, 1
	v_add3_u32 v8, v28, v8, s46
                                        ; implicit-def: $vgpr28
; %bb.2706:                             ;   in Loop: Header=BB12_2448 Depth=4
	s_andn2_saveexec_b64 s[94:95], s[94:95]
	s_cbranch_execz .LBB12_2447
; %bb.2707:                             ;   in Loop: Header=BB12_2448 Depth=4
	buffer_load_dword v29, off, s[0:3], s33 offset:128 ; 4-byte Folded Reload
	buffer_load_dword v30, off, s[0:3], s33 offset:132 ; 4-byte Folded Reload
	v_or_b32_e32 v8, 0x10000, v28
	s_waitcnt vmcnt(1)
	v_cmp_eq_u32_sdwa vcc, v28, v29 src0_sel:WORD_0 src1_sel:DWORD
	v_cndmask_b32_e32 v8, v8, v28, vcc
	s_branch .LBB12_2447
.LBB12_2708:                            ;   in Loop: Header=BB12_1371 Depth=3
	s_or_b64 exec, exec, s[90:91]
	buffer_load_dword v2, off, s[0:3], s33 offset:240 ; 4-byte Folded Reload
	v_lshlrev_b32_e32 v34, 16, v14
	v_lshlrev_b32_e32 v33, 16, v12
	v_lshlrev_b32_e32 v32, 16, v10
	v_lshlrev_b32_e32 v30, 16, v7
	v_lshlrev_b32_e32 v31, 16, v6
	v_lshlrev_b32_e32 v23, 16, v41
	v_lshlrev_b32_e32 v22, 16, v55
	v_lshlrev_b32_e32 v21, 16, v53
	v_lshlrev_b32_e32 v24, 16, v43
	v_lshlrev_b32_e32 v29, 16, v59
	v_lshlrev_b32_e32 v28, 16, v57
	v_lshlrev_b32_e32 v26, 16, v47
	v_lshlrev_b32_e32 v25, 16, v45
	v_lshlrev_b32_e32 v27, 16, v51
	v_lshlrev_b32_e32 v20, 16, v49
	v_lshlrev_b32_e32 v19, 16, v48
	s_and_b64 s[88:89], s[88:89], exec
	s_waitcnt vmcnt(0)
	v_lshlrev_b32_e32 v18, 16, v2
	buffer_load_dword v2, off, s[0:3], s33 offset:284 ; 4-byte Folded Reload
	s_waitcnt vmcnt(0)
	v_lshlrev_b32_e32 v17, 16, v2
	buffer_load_dword v2, off, s[0:3], s33 offset:300 ; 4-byte Folded Reload
	;; [unrolled: 3-line block ×15, first 2 shown]
	buffer_load_dword v39, off, s[0:3], s33 offset:644 ; 4-byte Folded Reload
	buffer_load_dword v52, off, s[0:3], s33 offset:604 ; 4-byte Folded Reload
	;; [unrolled: 1-line block ×11, first 2 shown]
	s_waitcnt vmcnt(0)
	v_lshlrev_b32_e32 v2, 16, v2
.LBB12_2709:                            ;   in Loop: Header=BB12_1371 Depth=3
	s_or_b64 exec, exec, s[28:29]
	s_and_saveexec_b64 s[28:29], s[88:89]
	s_cbranch_execz .LBB12_2839
; %bb.2710:                             ;   in Loop: Header=BB12_1371 Depth=3
	s_trap 2
	ds_read_b32 v35, v0
	s_waitcnt lgkmcnt(0)
	v_lshlrev_b32_e32 v36, 16, v35
	v_mul_f32_e32 v35, v34, v36
	v_and_b32_e32 v34, 0x7f800000, v35
	v_cmp_ne_u32_e32 vcc, s97, v34
                                        ; implicit-def: $vgpr34
	s_and_saveexec_b64 s[88:89], vcc
	s_xor_b64 s[88:89], exec, s[88:89]
; %bb.2711:                             ;   in Loop: Header=BB12_1371 Depth=3
	v_bfe_u32 v34, v35, 16, 1
	v_add3_u32 v34, v35, v34, s46
                                        ; implicit-def: $vgpr35
; %bb.2712:                             ;   in Loop: Header=BB12_1371 Depth=3
	s_andn2_saveexec_b64 s[88:89], s[88:89]
	s_cbranch_execz .LBB12_2714
; %bb.2713:                             ;   in Loop: Header=BB12_1371 Depth=3
	buffer_load_dword v37, off, s[0:3], s33 offset:128 ; 4-byte Folded Reload
	buffer_load_dword v38, off, s[0:3], s33 offset:132 ; 4-byte Folded Reload
	v_or_b32_e32 v34, 0x10000, v35
	s_waitcnt vmcnt(1)
	v_cmp_eq_u32_sdwa vcc, v35, v37 src0_sel:WORD_0 src1_sel:DWORD
	v_cndmask_b32_e32 v34, v34, v35, vcc
.LBB12_2714:                            ;   in Loop: Header=BB12_1371 Depth=3
	s_or_b64 exec, exec, s[88:89]
	v_mul_f32_e32 v33, v33, v36
	v_and_b32_e32 v35, 0x7f800000, v33
	v_cmp_ne_u32_e32 vcc, s97, v35
                                        ; implicit-def: $vgpr35
	s_and_saveexec_b64 s[88:89], vcc
	s_xor_b64 s[88:89], exec, s[88:89]
; %bb.2715:                             ;   in Loop: Header=BB12_1371 Depth=3
	v_bfe_u32 v35, v33, 16, 1
	v_add3_u32 v35, v33, v35, s46
                                        ; implicit-def: $vgpr33
; %bb.2716:                             ;   in Loop: Header=BB12_1371 Depth=3
	s_andn2_saveexec_b64 s[88:89], s[88:89]
	s_cbranch_execz .LBB12_2718
; %bb.2717:                             ;   in Loop: Header=BB12_1371 Depth=3
	buffer_load_dword v37, off, s[0:3], s33 offset:128 ; 4-byte Folded Reload
	buffer_load_dword v38, off, s[0:3], s33 offset:132 ; 4-byte Folded Reload
	v_or_b32_e32 v35, 0x10000, v33
	s_waitcnt vmcnt(1)
	v_cmp_eq_u32_sdwa vcc, v33, v37 src0_sel:WORD_0 src1_sel:DWORD
	v_cndmask_b32_e32 v35, v35, v33, vcc
.LBB12_2718:                            ;   in Loop: Header=BB12_1371 Depth=3
	s_or_b64 exec, exec, s[88:89]
	v_mul_f32_e32 v32, v32, v36
	v_and_b32_e32 v33, 0x7f800000, v32
	v_cmp_ne_u32_e32 vcc, s97, v33
                                        ; implicit-def: $vgpr33
	s_and_saveexec_b64 s[88:89], vcc
	s_xor_b64 s[88:89], exec, s[88:89]
; %bb.2719:                             ;   in Loop: Header=BB12_1371 Depth=3
	v_bfe_u32 v33, v32, 16, 1
	v_add3_u32 v33, v32, v33, s46
                                        ; implicit-def: $vgpr32
; %bb.2720:                             ;   in Loop: Header=BB12_1371 Depth=3
	s_andn2_saveexec_b64 s[88:89], s[88:89]
	s_cbranch_execz .LBB12_2722
; %bb.2721:                             ;   in Loop: Header=BB12_1371 Depth=3
	buffer_load_dword v37, off, s[0:3], s33 offset:128 ; 4-byte Folded Reload
	buffer_load_dword v38, off, s[0:3], s33 offset:132 ; 4-byte Folded Reload
	v_or_b32_e32 v33, 0x10000, v32
	s_waitcnt vmcnt(1)
	v_cmp_eq_u32_sdwa vcc, v32, v37 src0_sel:WORD_0 src1_sel:DWORD
	v_cndmask_b32_e32 v33, v33, v32, vcc
.LBB12_2722:                            ;   in Loop: Header=BB12_1371 Depth=3
	s_or_b64 exec, exec, s[88:89]
	v_mul_f32_e32 v31, v31, v36
	v_and_b32_e32 v32, 0x7f800000, v31
	v_cmp_ne_u32_e32 vcc, s97, v32
                                        ; implicit-def: $vgpr32
	s_and_saveexec_b64 s[88:89], vcc
	s_xor_b64 s[88:89], exec, s[88:89]
; %bb.2723:                             ;   in Loop: Header=BB12_1371 Depth=3
	v_bfe_u32 v32, v31, 16, 1
	v_add3_u32 v32, v31, v32, s46
                                        ; implicit-def: $vgpr31
; %bb.2724:                             ;   in Loop: Header=BB12_1371 Depth=3
	s_andn2_saveexec_b64 s[88:89], s[88:89]
	s_cbranch_execz .LBB12_2726
; %bb.2725:                             ;   in Loop: Header=BB12_1371 Depth=3
	buffer_load_dword v37, off, s[0:3], s33 offset:128 ; 4-byte Folded Reload
	buffer_load_dword v38, off, s[0:3], s33 offset:132 ; 4-byte Folded Reload
	v_or_b32_e32 v32, 0x10000, v31
	s_waitcnt vmcnt(1)
	v_cmp_eq_u32_sdwa vcc, v31, v37 src0_sel:WORD_0 src1_sel:DWORD
	v_cndmask_b32_e32 v32, v32, v31, vcc
.LBB12_2726:                            ;   in Loop: Header=BB12_1371 Depth=3
	s_or_b64 exec, exec, s[88:89]
	v_mul_f32_e32 v30, v30, v36
	v_and_b32_e32 v31, 0x7f800000, v30
	v_cmp_ne_u32_e32 vcc, s97, v31
                                        ; implicit-def: $vgpr31
	s_and_saveexec_b64 s[88:89], vcc
	s_xor_b64 s[88:89], exec, s[88:89]
; %bb.2727:                             ;   in Loop: Header=BB12_1371 Depth=3
	v_bfe_u32 v31, v30, 16, 1
	v_add3_u32 v31, v30, v31, s46
                                        ; implicit-def: $vgpr30
; %bb.2728:                             ;   in Loop: Header=BB12_1371 Depth=3
	s_andn2_saveexec_b64 s[88:89], s[88:89]
	s_cbranch_execz .LBB12_2730
; %bb.2729:                             ;   in Loop: Header=BB12_1371 Depth=3
	buffer_load_dword v37, off, s[0:3], s33 offset:128 ; 4-byte Folded Reload
	buffer_load_dword v38, off, s[0:3], s33 offset:132 ; 4-byte Folded Reload
	v_or_b32_e32 v31, 0x10000, v30
	s_waitcnt vmcnt(1)
	v_cmp_eq_u32_sdwa vcc, v30, v37 src0_sel:WORD_0 src1_sel:DWORD
	v_cndmask_b32_e32 v31, v31, v30, vcc
.LBB12_2730:                            ;   in Loop: Header=BB12_1371 Depth=3
	s_or_b64 exec, exec, s[88:89]
	v_mul_f32_e32 v29, v29, v36
	v_and_b32_e32 v30, 0x7f800000, v29
	v_cmp_ne_u32_e32 vcc, s97, v30
                                        ; implicit-def: $vgpr30
	s_and_saveexec_b64 s[88:89], vcc
	s_xor_b64 s[88:89], exec, s[88:89]
; %bb.2731:                             ;   in Loop: Header=BB12_1371 Depth=3
	v_bfe_u32 v30, v29, 16, 1
	v_add3_u32 v30, v29, v30, s46
                                        ; implicit-def: $vgpr29
; %bb.2732:                             ;   in Loop: Header=BB12_1371 Depth=3
	s_andn2_saveexec_b64 s[88:89], s[88:89]
	s_cbranch_execz .LBB12_2734
; %bb.2733:                             ;   in Loop: Header=BB12_1371 Depth=3
	buffer_load_dword v37, off, s[0:3], s33 offset:128 ; 4-byte Folded Reload
	buffer_load_dword v38, off, s[0:3], s33 offset:132 ; 4-byte Folded Reload
	v_or_b32_e32 v30, 0x10000, v29
	s_waitcnt vmcnt(1)
	v_cmp_eq_u32_sdwa vcc, v29, v37 src0_sel:WORD_0 src1_sel:DWORD
	v_cndmask_b32_e32 v30, v30, v29, vcc
.LBB12_2734:                            ;   in Loop: Header=BB12_1371 Depth=3
	s_or_b64 exec, exec, s[88:89]
	v_mul_f32_e32 v28, v28, v36
	v_and_b32_e32 v29, 0x7f800000, v28
	v_cmp_ne_u32_e32 vcc, s97, v29
                                        ; implicit-def: $vgpr29
	s_and_saveexec_b64 s[88:89], vcc
	s_xor_b64 s[88:89], exec, s[88:89]
; %bb.2735:                             ;   in Loop: Header=BB12_1371 Depth=3
	v_bfe_u32 v29, v28, 16, 1
	v_add3_u32 v29, v28, v29, s46
                                        ; implicit-def: $vgpr28
; %bb.2736:                             ;   in Loop: Header=BB12_1371 Depth=3
	s_andn2_saveexec_b64 s[88:89], s[88:89]
	s_cbranch_execz .LBB12_2738
; %bb.2737:                             ;   in Loop: Header=BB12_1371 Depth=3
	buffer_load_dword v37, off, s[0:3], s33 offset:128 ; 4-byte Folded Reload
	buffer_load_dword v38, off, s[0:3], s33 offset:132 ; 4-byte Folded Reload
	v_or_b32_e32 v29, 0x10000, v28
	s_waitcnt vmcnt(1)
	v_cmp_eq_u32_sdwa vcc, v28, v37 src0_sel:WORD_0 src1_sel:DWORD
	v_cndmask_b32_e32 v29, v29, v28, vcc
.LBB12_2738:                            ;   in Loop: Header=BB12_1371 Depth=3
	s_or_b64 exec, exec, s[88:89]
	v_mul_f32_e32 v26, v26, v36
	v_and_b32_e32 v28, 0x7f800000, v26
	v_cmp_ne_u32_e32 vcc, s97, v28
                                        ; implicit-def: $vgpr28
	s_and_saveexec_b64 s[88:89], vcc
	s_xor_b64 s[88:89], exec, s[88:89]
; %bb.2739:                             ;   in Loop: Header=BB12_1371 Depth=3
	v_bfe_u32 v28, v26, 16, 1
	v_add3_u32 v28, v26, v28, s46
                                        ; implicit-def: $vgpr26
; %bb.2740:                             ;   in Loop: Header=BB12_1371 Depth=3
	s_andn2_saveexec_b64 s[88:89], s[88:89]
	s_cbranch_execz .LBB12_2742
; %bb.2741:                             ;   in Loop: Header=BB12_1371 Depth=3
	buffer_load_dword v37, off, s[0:3], s33 offset:128 ; 4-byte Folded Reload
	buffer_load_dword v38, off, s[0:3], s33 offset:132 ; 4-byte Folded Reload
	v_or_b32_e32 v28, 0x10000, v26
	s_waitcnt vmcnt(1)
	v_cmp_eq_u32_sdwa vcc, v26, v37 src0_sel:WORD_0 src1_sel:DWORD
	v_cndmask_b32_e32 v28, v28, v26, vcc
.LBB12_2742:                            ;   in Loop: Header=BB12_1371 Depth=3
	s_or_b64 exec, exec, s[88:89]
	v_mul_f32_e32 v25, v25, v36
	v_and_b32_e32 v26, 0x7f800000, v25
	v_cmp_ne_u32_e32 vcc, s97, v26
                                        ; implicit-def: $vgpr26
	s_and_saveexec_b64 s[88:89], vcc
	s_xor_b64 s[88:89], exec, s[88:89]
; %bb.2743:                             ;   in Loop: Header=BB12_1371 Depth=3
	v_bfe_u32 v26, v25, 16, 1
	v_add3_u32 v26, v25, v26, s46
                                        ; implicit-def: $vgpr25
; %bb.2744:                             ;   in Loop: Header=BB12_1371 Depth=3
	s_andn2_saveexec_b64 s[88:89], s[88:89]
	s_cbranch_execz .LBB12_2746
; %bb.2745:                             ;   in Loop: Header=BB12_1371 Depth=3
	buffer_load_dword v37, off, s[0:3], s33 offset:128 ; 4-byte Folded Reload
	buffer_load_dword v38, off, s[0:3], s33 offset:132 ; 4-byte Folded Reload
	v_or_b32_e32 v26, 0x10000, v25
	s_waitcnt vmcnt(1)
	v_cmp_eq_u32_sdwa vcc, v25, v37 src0_sel:WORD_0 src1_sel:DWORD
	v_cndmask_b32_e32 v26, v26, v25, vcc
.LBB12_2746:                            ;   in Loop: Header=BB12_1371 Depth=3
	s_or_b64 exec, exec, s[88:89]
	v_mul_f32_e32 v24, v24, v36
	v_and_b32_e32 v25, 0x7f800000, v24
	v_cmp_ne_u32_e32 vcc, s97, v25
                                        ; implicit-def: $vgpr25
	s_and_saveexec_b64 s[88:89], vcc
	s_xor_b64 s[88:89], exec, s[88:89]
; %bb.2747:                             ;   in Loop: Header=BB12_1371 Depth=3
	v_bfe_u32 v25, v24, 16, 1
	v_add3_u32 v25, v24, v25, s46
                                        ; implicit-def: $vgpr24
; %bb.2748:                             ;   in Loop: Header=BB12_1371 Depth=3
	s_andn2_saveexec_b64 s[88:89], s[88:89]
	s_cbranch_execz .LBB12_2750
; %bb.2749:                             ;   in Loop: Header=BB12_1371 Depth=3
	buffer_load_dword v37, off, s[0:3], s33 offset:128 ; 4-byte Folded Reload
	buffer_load_dword v38, off, s[0:3], s33 offset:132 ; 4-byte Folded Reload
	v_or_b32_e32 v25, 0x10000, v24
	s_waitcnt vmcnt(1)
	v_cmp_eq_u32_sdwa vcc, v24, v37 src0_sel:WORD_0 src1_sel:DWORD
	v_cndmask_b32_e32 v25, v25, v24, vcc
.LBB12_2750:                            ;   in Loop: Header=BB12_1371 Depth=3
	s_or_b64 exec, exec, s[88:89]
	v_mul_f32_e32 v23, v23, v36
	v_and_b32_e32 v24, 0x7f800000, v23
	v_cmp_ne_u32_e32 vcc, s97, v24
                                        ; implicit-def: $vgpr24
	s_and_saveexec_b64 s[88:89], vcc
	s_xor_b64 s[88:89], exec, s[88:89]
; %bb.2751:                             ;   in Loop: Header=BB12_1371 Depth=3
	v_bfe_u32 v24, v23, 16, 1
	v_add3_u32 v24, v23, v24, s46
                                        ; implicit-def: $vgpr23
; %bb.2752:                             ;   in Loop: Header=BB12_1371 Depth=3
	s_andn2_saveexec_b64 s[88:89], s[88:89]
	s_cbranch_execz .LBB12_2754
; %bb.2753:                             ;   in Loop: Header=BB12_1371 Depth=3
	buffer_load_dword v37, off, s[0:3], s33 offset:128 ; 4-byte Folded Reload
	buffer_load_dword v38, off, s[0:3], s33 offset:132 ; 4-byte Folded Reload
	v_or_b32_e32 v24, 0x10000, v23
	s_waitcnt vmcnt(1)
	v_cmp_eq_u32_sdwa vcc, v23, v37 src0_sel:WORD_0 src1_sel:DWORD
	v_cndmask_b32_e32 v24, v24, v23, vcc
.LBB12_2754:                            ;   in Loop: Header=BB12_1371 Depth=3
	s_or_b64 exec, exec, s[88:89]
	v_mul_f32_e32 v22, v22, v36
	v_and_b32_e32 v23, 0x7f800000, v22
	v_cmp_ne_u32_e32 vcc, s97, v23
                                        ; implicit-def: $vgpr23
	s_and_saveexec_b64 s[88:89], vcc
	s_xor_b64 s[88:89], exec, s[88:89]
; %bb.2755:                             ;   in Loop: Header=BB12_1371 Depth=3
	v_bfe_u32 v23, v22, 16, 1
	v_add3_u32 v23, v22, v23, s46
                                        ; implicit-def: $vgpr22
; %bb.2756:                             ;   in Loop: Header=BB12_1371 Depth=3
	s_andn2_saveexec_b64 s[88:89], s[88:89]
	s_cbranch_execz .LBB12_2758
; %bb.2757:                             ;   in Loop: Header=BB12_1371 Depth=3
	buffer_load_dword v37, off, s[0:3], s33 offset:128 ; 4-byte Folded Reload
	buffer_load_dword v38, off, s[0:3], s33 offset:132 ; 4-byte Folded Reload
	v_or_b32_e32 v23, 0x10000, v22
	s_waitcnt vmcnt(1)
	v_cmp_eq_u32_sdwa vcc, v22, v37 src0_sel:WORD_0 src1_sel:DWORD
	v_cndmask_b32_e32 v23, v23, v22, vcc
.LBB12_2758:                            ;   in Loop: Header=BB12_1371 Depth=3
	s_or_b64 exec, exec, s[88:89]
	v_mul_f32_e32 v21, v21, v36
	v_and_b32_e32 v22, 0x7f800000, v21
	v_cmp_ne_u32_e32 vcc, s97, v22
                                        ; implicit-def: $vgpr22
	s_and_saveexec_b64 s[88:89], vcc
	s_xor_b64 s[88:89], exec, s[88:89]
; %bb.2759:                             ;   in Loop: Header=BB12_1371 Depth=3
	v_bfe_u32 v22, v21, 16, 1
	v_add3_u32 v22, v21, v22, s46
                                        ; implicit-def: $vgpr21
; %bb.2760:                             ;   in Loop: Header=BB12_1371 Depth=3
	s_andn2_saveexec_b64 s[88:89], s[88:89]
	s_cbranch_execz .LBB12_2762
; %bb.2761:                             ;   in Loop: Header=BB12_1371 Depth=3
	buffer_load_dword v37, off, s[0:3], s33 offset:128 ; 4-byte Folded Reload
	buffer_load_dword v38, off, s[0:3], s33 offset:132 ; 4-byte Folded Reload
	v_or_b32_e32 v22, 0x10000, v21
	s_waitcnt vmcnt(1)
	v_cmp_eq_u32_sdwa vcc, v21, v37 src0_sel:WORD_0 src1_sel:DWORD
	v_cndmask_b32_e32 v22, v22, v21, vcc
.LBB12_2762:                            ;   in Loop: Header=BB12_1371 Depth=3
	s_or_b64 exec, exec, s[88:89]
	v_mul_f32_e32 v27, v27, v36
	v_and_b32_e32 v21, 0x7f800000, v27
	v_cmp_ne_u32_e32 vcc, s97, v21
                                        ; implicit-def: $vgpr21
	s_and_saveexec_b64 s[88:89], vcc
	s_xor_b64 s[88:89], exec, s[88:89]
; %bb.2763:                             ;   in Loop: Header=BB12_1371 Depth=3
	v_bfe_u32 v21, v27, 16, 1
	v_add3_u32 v21, v27, v21, s46
                                        ; implicit-def: $vgpr27
; %bb.2764:                             ;   in Loop: Header=BB12_1371 Depth=3
	s_andn2_saveexec_b64 s[88:89], s[88:89]
	s_cbranch_execz .LBB12_2766
; %bb.2765:                             ;   in Loop: Header=BB12_1371 Depth=3
	buffer_load_dword v37, off, s[0:3], s33 offset:128 ; 4-byte Folded Reload
	buffer_load_dword v38, off, s[0:3], s33 offset:132 ; 4-byte Folded Reload
	v_or_b32_e32 v21, 0x10000, v27
	s_waitcnt vmcnt(1)
	v_cmp_eq_u32_sdwa vcc, v27, v37 src0_sel:WORD_0 src1_sel:DWORD
	v_cndmask_b32_e32 v21, v21, v27, vcc
.LBB12_2766:                            ;   in Loop: Header=BB12_1371 Depth=3
	s_or_b64 exec, exec, s[88:89]
	v_mul_f32_e32 v27, v20, v36
	v_and_b32_e32 v20, 0x7f800000, v27
	v_cmp_ne_u32_e32 vcc, s97, v20
                                        ; implicit-def: $vgpr20
	s_and_saveexec_b64 s[88:89], vcc
	s_xor_b64 s[88:89], exec, s[88:89]
; %bb.2767:                             ;   in Loop: Header=BB12_1371 Depth=3
	v_bfe_u32 v20, v27, 16, 1
	v_add3_u32 v20, v27, v20, s46
                                        ; implicit-def: $vgpr27
; %bb.2768:                             ;   in Loop: Header=BB12_1371 Depth=3
	s_andn2_saveexec_b64 s[88:89], s[88:89]
	s_cbranch_execz .LBB12_2770
; %bb.2769:                             ;   in Loop: Header=BB12_1371 Depth=3
	buffer_load_dword v37, off, s[0:3], s33 offset:128 ; 4-byte Folded Reload
	buffer_load_dword v38, off, s[0:3], s33 offset:132 ; 4-byte Folded Reload
	v_or_b32_e32 v20, 0x10000, v27
	s_waitcnt vmcnt(1)
	v_cmp_eq_u32_sdwa vcc, v27, v37 src0_sel:WORD_0 src1_sel:DWORD
	v_cndmask_b32_e32 v20, v20, v27, vcc
.LBB12_2770:                            ;   in Loop: Header=BB12_1371 Depth=3
	s_or_b64 exec, exec, s[88:89]
	v_mul_f32_e32 v27, v19, v36
	v_and_b32_e32 v19, 0x7f800000, v27
	v_cmp_ne_u32_e32 vcc, s97, v19
                                        ; implicit-def: $vgpr19
	s_and_saveexec_b64 s[88:89], vcc
	s_xor_b64 s[88:89], exec, s[88:89]
; %bb.2771:                             ;   in Loop: Header=BB12_1371 Depth=3
	v_bfe_u32 v19, v27, 16, 1
	v_add3_u32 v19, v27, v19, s46
                                        ; implicit-def: $vgpr27
; %bb.2772:                             ;   in Loop: Header=BB12_1371 Depth=3
	s_andn2_saveexec_b64 s[88:89], s[88:89]
	s_cbranch_execz .LBB12_2774
; %bb.2773:                             ;   in Loop: Header=BB12_1371 Depth=3
	buffer_load_dword v36, off, s[0:3], s33 offset:128 ; 4-byte Folded Reload
	buffer_load_dword v37, off, s[0:3], s33 offset:132 ; 4-byte Folded Reload
	v_or_b32_e32 v19, 0x10000, v27
	s_waitcnt vmcnt(1)
	v_cmp_eq_u32_sdwa vcc, v27, v36 src0_sel:WORD_0 src1_sel:DWORD
	v_cndmask_b32_e32 v19, v19, v27, vcc
.LBB12_2774:                            ;   in Loop: Header=BB12_1371 Depth=3
	s_or_b64 exec, exec, s[88:89]
	v_and_b32_e32 v27, 0xffff0000, v34
	v_add_f32_e32 v27, v18, v27
	v_and_b32_e32 v18, 0x7f800000, v27
	v_cmp_ne_u32_e32 vcc, s97, v18
                                        ; implicit-def: $vgpr18
	s_and_saveexec_b64 s[88:89], vcc
	s_xor_b64 s[88:89], exec, s[88:89]
; %bb.2775:                             ;   in Loop: Header=BB12_1371 Depth=3
	v_bfe_u32 v18, v27, 16, 1
	v_add3_u32 v18, v27, v18, s46
                                        ; implicit-def: $vgpr27
; %bb.2776:                             ;   in Loop: Header=BB12_1371 Depth=3
	s_andn2_saveexec_b64 s[88:89], s[88:89]
	s_cbranch_execz .LBB12_2778
; %bb.2777:                             ;   in Loop: Header=BB12_1371 Depth=3
	buffer_load_dword v36, off, s[0:3], s33 offset:128 ; 4-byte Folded Reload
	buffer_load_dword v37, off, s[0:3], s33 offset:132 ; 4-byte Folded Reload
	v_or_b32_e32 v18, 0x10000, v27
	s_waitcnt vmcnt(1)
	v_cmp_eq_u32_sdwa vcc, v27, v36 src0_sel:WORD_0 src1_sel:DWORD
	v_cndmask_b32_e32 v18, v18, v27, vcc
.LBB12_2778:                            ;   in Loop: Header=BB12_1371 Depth=3
	s_or_b64 exec, exec, s[88:89]
	v_and_b32_e32 v27, 0xffff0000, v35
	v_add_f32_e32 v27, v17, v27
	v_and_b32_e32 v17, 0x7f800000, v27
	v_cmp_ne_u32_e32 vcc, s97, v17
                                        ; implicit-def: $vgpr17
	s_and_saveexec_b64 s[88:89], vcc
	s_xor_b64 s[88:89], exec, s[88:89]
; %bb.2779:                             ;   in Loop: Header=BB12_1371 Depth=3
	v_bfe_u32 v17, v27, 16, 1
	v_add3_u32 v17, v27, v17, s46
                                        ; implicit-def: $vgpr27
; %bb.2780:                             ;   in Loop: Header=BB12_1371 Depth=3
	s_andn2_saveexec_b64 s[88:89], s[88:89]
	s_cbranch_execz .LBB12_2782
; %bb.2781:                             ;   in Loop: Header=BB12_1371 Depth=3
	buffer_load_dword v34, off, s[0:3], s33 offset:128 ; 4-byte Folded Reload
	buffer_load_dword v35, off, s[0:3], s33 offset:132 ; 4-byte Folded Reload
	v_or_b32_e32 v17, 0x10000, v27
	s_waitcnt vmcnt(1)
	v_cmp_eq_u32_sdwa vcc, v27, v34 src0_sel:WORD_0 src1_sel:DWORD
	v_cndmask_b32_e32 v17, v17, v27, vcc
.LBB12_2782:                            ;   in Loop: Header=BB12_1371 Depth=3
	s_or_b64 exec, exec, s[88:89]
	v_and_b32_e32 v27, 0xffff0000, v33
	v_add_f32_e32 v27, v16, v27
	v_and_b32_e32 v16, 0x7f800000, v27
	v_cmp_ne_u32_e32 vcc, s97, v16
                                        ; implicit-def: $vgpr16
	s_and_saveexec_b64 s[88:89], vcc
	s_xor_b64 s[88:89], exec, s[88:89]
; %bb.2783:                             ;   in Loop: Header=BB12_1371 Depth=3
	v_bfe_u32 v16, v27, 16, 1
	v_add3_u32 v16, v27, v16, s46
                                        ; implicit-def: $vgpr27
; %bb.2784:                             ;   in Loop: Header=BB12_1371 Depth=3
	s_andn2_saveexec_b64 s[88:89], s[88:89]
	s_cbranch_execz .LBB12_2786
; %bb.2785:                             ;   in Loop: Header=BB12_1371 Depth=3
	buffer_load_dword v33, off, s[0:3], s33 offset:128 ; 4-byte Folded Reload
	buffer_load_dword v34, off, s[0:3], s33 offset:132 ; 4-byte Folded Reload
	v_or_b32_e32 v16, 0x10000, v27
	s_waitcnt vmcnt(1)
	v_cmp_eq_u32_sdwa vcc, v27, v33 src0_sel:WORD_0 src1_sel:DWORD
	v_cndmask_b32_e32 v16, v16, v27, vcc
.LBB12_2786:                            ;   in Loop: Header=BB12_1371 Depth=3
	s_or_b64 exec, exec, s[88:89]
	v_and_b32_e32 v27, 0xffff0000, v32
	v_add_f32_e32 v27, v14, v27
	v_and_b32_e32 v14, 0x7f800000, v27
	v_cmp_ne_u32_e32 vcc, s97, v14
                                        ; implicit-def: $vgpr14
	s_and_saveexec_b64 s[88:89], vcc
	s_xor_b64 s[88:89], exec, s[88:89]
; %bb.2787:                             ;   in Loop: Header=BB12_1371 Depth=3
	v_bfe_u32 v14, v27, 16, 1
	v_add3_u32 v14, v27, v14, s46
                                        ; implicit-def: $vgpr27
; %bb.2788:                             ;   in Loop: Header=BB12_1371 Depth=3
	s_andn2_saveexec_b64 s[88:89], s[88:89]
	s_cbranch_execz .LBB12_2790
; %bb.2789:                             ;   in Loop: Header=BB12_1371 Depth=3
	buffer_load_dword v32, off, s[0:3], s33 offset:128 ; 4-byte Folded Reload
	buffer_load_dword v33, off, s[0:3], s33 offset:132 ; 4-byte Folded Reload
	v_or_b32_e32 v14, 0x10000, v27
	s_waitcnt vmcnt(1)
	v_cmp_eq_u32_sdwa vcc, v27, v32 src0_sel:WORD_0 src1_sel:DWORD
	v_cndmask_b32_e32 v14, v14, v27, vcc
.LBB12_2790:                            ;   in Loop: Header=BB12_1371 Depth=3
	s_or_b64 exec, exec, s[88:89]
	v_and_b32_e32 v27, 0xffff0000, v31
	v_add_f32_e32 v27, v13, v27
	v_and_b32_e32 v13, 0x7f800000, v27
	v_cmp_ne_u32_e32 vcc, s97, v13
                                        ; implicit-def: $vgpr13
	s_and_saveexec_b64 s[88:89], vcc
	s_xor_b64 s[88:89], exec, s[88:89]
; %bb.2791:                             ;   in Loop: Header=BB12_1371 Depth=3
	v_bfe_u32 v13, v27, 16, 1
	v_add3_u32 v13, v27, v13, s46
                                        ; implicit-def: $vgpr27
; %bb.2792:                             ;   in Loop: Header=BB12_1371 Depth=3
	s_andn2_saveexec_b64 s[88:89], s[88:89]
	s_cbranch_execz .LBB12_2794
; %bb.2793:                             ;   in Loop: Header=BB12_1371 Depth=3
	buffer_load_dword v31, off, s[0:3], s33 offset:128 ; 4-byte Folded Reload
	buffer_load_dword v32, off, s[0:3], s33 offset:132 ; 4-byte Folded Reload
	v_or_b32_e32 v13, 0x10000, v27
	s_waitcnt vmcnt(1)
	v_cmp_eq_u32_sdwa vcc, v27, v31 src0_sel:WORD_0 src1_sel:DWORD
	v_cndmask_b32_e32 v13, v13, v27, vcc
.LBB12_2794:                            ;   in Loop: Header=BB12_1371 Depth=3
	s_or_b64 exec, exec, s[88:89]
	v_and_b32_e32 v27, 0xffff0000, v30
	v_add_f32_e32 v27, v12, v27
	v_and_b32_e32 v12, 0x7f800000, v27
	v_cmp_ne_u32_e32 vcc, s97, v12
                                        ; implicit-def: $vgpr12
	s_and_saveexec_b64 s[88:89], vcc
	s_xor_b64 s[88:89], exec, s[88:89]
; %bb.2795:                             ;   in Loop: Header=BB12_1371 Depth=3
	v_bfe_u32 v12, v27, 16, 1
	v_add3_u32 v12, v27, v12, s46
                                        ; implicit-def: $vgpr27
; %bb.2796:                             ;   in Loop: Header=BB12_1371 Depth=3
	s_andn2_saveexec_b64 s[88:89], s[88:89]
	s_cbranch_execz .LBB12_2798
; %bb.2797:                             ;   in Loop: Header=BB12_1371 Depth=3
	buffer_load_dword v30, off, s[0:3], s33 offset:128 ; 4-byte Folded Reload
	buffer_load_dword v31, off, s[0:3], s33 offset:132 ; 4-byte Folded Reload
	v_or_b32_e32 v12, 0x10000, v27
	s_waitcnt vmcnt(1)
	v_cmp_eq_u32_sdwa vcc, v27, v30 src0_sel:WORD_0 src1_sel:DWORD
	v_cndmask_b32_e32 v12, v12, v27, vcc
.LBB12_2798:                            ;   in Loop: Header=BB12_1371 Depth=3
	s_or_b64 exec, exec, s[88:89]
	v_and_b32_e32 v27, 0xffff0000, v29
	v_add_f32_e32 v27, v11, v27
	v_and_b32_e32 v11, 0x7f800000, v27
	v_cmp_ne_u32_e32 vcc, s97, v11
                                        ; implicit-def: $vgpr11
	s_and_saveexec_b64 s[88:89], vcc
	s_xor_b64 s[88:89], exec, s[88:89]
; %bb.2799:                             ;   in Loop: Header=BB12_1371 Depth=3
	v_bfe_u32 v11, v27, 16, 1
	v_add3_u32 v11, v27, v11, s46
                                        ; implicit-def: $vgpr27
; %bb.2800:                             ;   in Loop: Header=BB12_1371 Depth=3
	s_andn2_saveexec_b64 s[88:89], s[88:89]
	s_cbranch_execz .LBB12_2802
; %bb.2801:                             ;   in Loop: Header=BB12_1371 Depth=3
	buffer_load_dword v29, off, s[0:3], s33 offset:128 ; 4-byte Folded Reload
	buffer_load_dword v30, off, s[0:3], s33 offset:132 ; 4-byte Folded Reload
	v_or_b32_e32 v11, 0x10000, v27
	s_waitcnt vmcnt(1)
	v_cmp_eq_u32_sdwa vcc, v27, v29 src0_sel:WORD_0 src1_sel:DWORD
	v_cndmask_b32_e32 v11, v11, v27, vcc
.LBB12_2802:                            ;   in Loop: Header=BB12_1371 Depth=3
	s_or_b64 exec, exec, s[88:89]
	v_and_b32_e32 v27, 0xffff0000, v28
	v_add_f32_e32 v27, v10, v27
	v_and_b32_e32 v10, 0x7f800000, v27
	v_cmp_ne_u32_e32 vcc, s97, v10
                                        ; implicit-def: $vgpr10
	s_and_saveexec_b64 s[88:89], vcc
	s_xor_b64 s[88:89], exec, s[88:89]
; %bb.2803:                             ;   in Loop: Header=BB12_1371 Depth=3
	v_bfe_u32 v10, v27, 16, 1
	v_add3_u32 v10, v27, v10, s46
                                        ; implicit-def: $vgpr27
; %bb.2804:                             ;   in Loop: Header=BB12_1371 Depth=3
	s_andn2_saveexec_b64 s[88:89], s[88:89]
	s_cbranch_execz .LBB12_2806
; %bb.2805:                             ;   in Loop: Header=BB12_1371 Depth=3
	buffer_load_dword v28, off, s[0:3], s33 offset:128 ; 4-byte Folded Reload
	buffer_load_dword v29, off, s[0:3], s33 offset:132 ; 4-byte Folded Reload
	v_or_b32_e32 v10, 0x10000, v27
	s_waitcnt vmcnt(1)
	v_cmp_eq_u32_sdwa vcc, v27, v28 src0_sel:WORD_0 src1_sel:DWORD
	v_cndmask_b32_e32 v10, v10, v27, vcc
.LBB12_2806:                            ;   in Loop: Header=BB12_1371 Depth=3
	s_or_b64 exec, exec, s[88:89]
	v_and_b32_e32 v26, 0xffff0000, v26
	v_add_f32_e32 v26, v9, v26
	v_and_b32_e32 v9, 0x7f800000, v26
	v_cmp_ne_u32_e32 vcc, s97, v9
                                        ; implicit-def: $vgpr9
	s_and_saveexec_b64 s[88:89], vcc
	s_xor_b64 s[88:89], exec, s[88:89]
; %bb.2807:                             ;   in Loop: Header=BB12_1371 Depth=3
	v_bfe_u32 v9, v26, 16, 1
	v_add3_u32 v9, v26, v9, s46
                                        ; implicit-def: $vgpr26
; %bb.2808:                             ;   in Loop: Header=BB12_1371 Depth=3
	s_andn2_saveexec_b64 s[88:89], s[88:89]
	s_cbranch_execz .LBB12_2810
; %bb.2809:                             ;   in Loop: Header=BB12_1371 Depth=3
	buffer_load_dword v27, off, s[0:3], s33 offset:128 ; 4-byte Folded Reload
	buffer_load_dword v28, off, s[0:3], s33 offset:132 ; 4-byte Folded Reload
	v_or_b32_e32 v9, 0x10000, v26
	s_waitcnt vmcnt(1)
	v_cmp_eq_u32_sdwa vcc, v26, v27 src0_sel:WORD_0 src1_sel:DWORD
	v_cndmask_b32_e32 v9, v9, v26, vcc
.LBB12_2810:                            ;   in Loop: Header=BB12_1371 Depth=3
	s_or_b64 exec, exec, s[88:89]
	v_and_b32_e32 v25, 0xffff0000, v25
	v_add_f32_e32 v25, v8, v25
	v_and_b32_e32 v8, 0x7f800000, v25
	v_cmp_ne_u32_e32 vcc, s97, v8
                                        ; implicit-def: $vgpr8
	s_and_saveexec_b64 s[88:89], vcc
	s_xor_b64 s[88:89], exec, s[88:89]
; %bb.2811:                             ;   in Loop: Header=BB12_1371 Depth=3
	v_bfe_u32 v8, v25, 16, 1
	v_add3_u32 v8, v25, v8, s46
                                        ; implicit-def: $vgpr25
; %bb.2812:                             ;   in Loop: Header=BB12_1371 Depth=3
	s_andn2_saveexec_b64 s[88:89], s[88:89]
	s_cbranch_execz .LBB12_2814
; %bb.2813:                             ;   in Loop: Header=BB12_1371 Depth=3
	buffer_load_dword v26, off, s[0:3], s33 offset:128 ; 4-byte Folded Reload
	buffer_load_dword v27, off, s[0:3], s33 offset:132 ; 4-byte Folded Reload
	v_or_b32_e32 v8, 0x10000, v25
	s_waitcnt vmcnt(1)
	v_cmp_eq_u32_sdwa vcc, v25, v26 src0_sel:WORD_0 src1_sel:DWORD
	v_cndmask_b32_e32 v8, v8, v25, vcc
.LBB12_2814:                            ;   in Loop: Header=BB12_1371 Depth=3
	s_or_b64 exec, exec, s[88:89]
	v_and_b32_e32 v24, 0xffff0000, v24
	v_add_f32_e32 v24, v7, v24
	v_and_b32_e32 v7, 0x7f800000, v24
	v_cmp_ne_u32_e32 vcc, s97, v7
                                        ; implicit-def: $vgpr7
	s_and_saveexec_b64 s[88:89], vcc
	s_xor_b64 s[88:89], exec, s[88:89]
; %bb.2815:                             ;   in Loop: Header=BB12_1371 Depth=3
	v_bfe_u32 v7, v24, 16, 1
	v_add3_u32 v7, v24, v7, s46
                                        ; implicit-def: $vgpr24
; %bb.2816:                             ;   in Loop: Header=BB12_1371 Depth=3
	s_andn2_saveexec_b64 s[88:89], s[88:89]
	s_cbranch_execz .LBB12_2818
; %bb.2817:                             ;   in Loop: Header=BB12_1371 Depth=3
	buffer_load_dword v25, off, s[0:3], s33 offset:128 ; 4-byte Folded Reload
	buffer_load_dword v26, off, s[0:3], s33 offset:132 ; 4-byte Folded Reload
	v_or_b32_e32 v7, 0x10000, v24
	s_waitcnt vmcnt(1)
	v_cmp_eq_u32_sdwa vcc, v24, v25 src0_sel:WORD_0 src1_sel:DWORD
	v_cndmask_b32_e32 v7, v7, v24, vcc
.LBB12_2818:                            ;   in Loop: Header=BB12_1371 Depth=3
	s_or_b64 exec, exec, s[88:89]
	v_and_b32_e32 v23, 0xffff0000, v23
	v_add_f32_e32 v23, v6, v23
	v_and_b32_e32 v6, 0x7f800000, v23
	v_cmp_ne_u32_e32 vcc, s97, v6
                                        ; implicit-def: $vgpr6
	s_and_saveexec_b64 s[88:89], vcc
	s_xor_b64 s[88:89], exec, s[88:89]
; %bb.2819:                             ;   in Loop: Header=BB12_1371 Depth=3
	v_bfe_u32 v6, v23, 16, 1
	v_add3_u32 v6, v23, v6, s46
                                        ; implicit-def: $vgpr23
; %bb.2820:                             ;   in Loop: Header=BB12_1371 Depth=3
	s_andn2_saveexec_b64 s[88:89], s[88:89]
	s_cbranch_execz .LBB12_2822
; %bb.2821:                             ;   in Loop: Header=BB12_1371 Depth=3
	buffer_load_dword v24, off, s[0:3], s33 offset:128 ; 4-byte Folded Reload
	buffer_load_dword v25, off, s[0:3], s33 offset:132 ; 4-byte Folded Reload
	v_or_b32_e32 v6, 0x10000, v23
	s_waitcnt vmcnt(1)
	v_cmp_eq_u32_sdwa vcc, v23, v24 src0_sel:WORD_0 src1_sel:DWORD
	v_cndmask_b32_e32 v6, v6, v23, vcc
.LBB12_2822:                            ;   in Loop: Header=BB12_1371 Depth=3
	s_or_b64 exec, exec, s[88:89]
	v_and_b32_e32 v22, 0xffff0000, v22
	v_add_f32_e32 v22, v5, v22
	v_and_b32_e32 v5, 0x7f800000, v22
	v_cmp_ne_u32_e32 vcc, s97, v5
                                        ; implicit-def: $vgpr5
	s_and_saveexec_b64 s[88:89], vcc
	s_xor_b64 s[88:89], exec, s[88:89]
; %bb.2823:                             ;   in Loop: Header=BB12_1371 Depth=3
	v_bfe_u32 v5, v22, 16, 1
	v_add3_u32 v5, v22, v5, s46
                                        ; implicit-def: $vgpr22
; %bb.2824:                             ;   in Loop: Header=BB12_1371 Depth=3
	s_andn2_saveexec_b64 s[88:89], s[88:89]
	s_cbranch_execz .LBB12_2826
; %bb.2825:                             ;   in Loop: Header=BB12_1371 Depth=3
	buffer_load_dword v23, off, s[0:3], s33 offset:128 ; 4-byte Folded Reload
	buffer_load_dword v24, off, s[0:3], s33 offset:132 ; 4-byte Folded Reload
	v_or_b32_e32 v5, 0x10000, v22
	s_waitcnt vmcnt(1)
	v_cmp_eq_u32_sdwa vcc, v22, v23 src0_sel:WORD_0 src1_sel:DWORD
	v_cndmask_b32_e32 v5, v5, v22, vcc
.LBB12_2826:                            ;   in Loop: Header=BB12_1371 Depth=3
	s_or_b64 exec, exec, s[88:89]
	v_and_b32_e32 v21, 0xffff0000, v21
	v_add_f32_e32 v21, v4, v21
	v_and_b32_e32 v4, 0x7f800000, v21
	v_cmp_ne_u32_e32 vcc, s97, v4
                                        ; implicit-def: $vgpr4
	s_and_saveexec_b64 s[88:89], vcc
	s_xor_b64 s[88:89], exec, s[88:89]
; %bb.2827:                             ;   in Loop: Header=BB12_1371 Depth=3
	v_bfe_u32 v4, v21, 16, 1
	v_add3_u32 v4, v21, v4, s46
                                        ; implicit-def: $vgpr21
; %bb.2828:                             ;   in Loop: Header=BB12_1371 Depth=3
	s_andn2_saveexec_b64 s[88:89], s[88:89]
	s_cbranch_execz .LBB12_2830
; %bb.2829:                             ;   in Loop: Header=BB12_1371 Depth=3
	buffer_load_dword v22, off, s[0:3], s33 offset:128 ; 4-byte Folded Reload
	buffer_load_dword v23, off, s[0:3], s33 offset:132 ; 4-byte Folded Reload
	v_or_b32_e32 v4, 0x10000, v21
	s_waitcnt vmcnt(1)
	v_cmp_eq_u32_sdwa vcc, v21, v22 src0_sel:WORD_0 src1_sel:DWORD
	v_cndmask_b32_e32 v4, v4, v21, vcc
.LBB12_2830:                            ;   in Loop: Header=BB12_1371 Depth=3
	s_or_b64 exec, exec, s[88:89]
	v_and_b32_e32 v20, 0xffff0000, v20
	v_add_f32_e32 v20, v3, v20
	v_and_b32_e32 v3, 0x7f800000, v20
	v_cmp_ne_u32_e32 vcc, s97, v3
                                        ; implicit-def: $vgpr3
	s_and_saveexec_b64 s[88:89], vcc
	s_xor_b64 s[88:89], exec, s[88:89]
; %bb.2831:                             ;   in Loop: Header=BB12_1371 Depth=3
	v_bfe_u32 v3, v20, 16, 1
	v_add3_u32 v3, v20, v3, s46
                                        ; implicit-def: $vgpr20
; %bb.2832:                             ;   in Loop: Header=BB12_1371 Depth=3
	s_andn2_saveexec_b64 s[88:89], s[88:89]
	s_cbranch_execz .LBB12_2834
; %bb.2833:                             ;   in Loop: Header=BB12_1371 Depth=3
	buffer_load_dword v21, off, s[0:3], s33 offset:128 ; 4-byte Folded Reload
	buffer_load_dword v22, off, s[0:3], s33 offset:132 ; 4-byte Folded Reload
	v_or_b32_e32 v3, 0x10000, v20
	s_waitcnt vmcnt(1)
	v_cmp_eq_u32_sdwa vcc, v20, v21 src0_sel:WORD_0 src1_sel:DWORD
	v_cndmask_b32_e32 v3, v3, v20, vcc
.LBB12_2834:                            ;   in Loop: Header=BB12_1371 Depth=3
	s_or_b64 exec, exec, s[88:89]
	v_and_b32_e32 v19, 0xffff0000, v19
	v_add_f32_e32 v19, v2, v19
	v_and_b32_e32 v2, 0x7f800000, v19
	v_cmp_ne_u32_e32 vcc, s97, v2
                                        ; implicit-def: $vgpr2
	s_and_saveexec_b64 s[88:89], vcc
	s_xor_b64 s[88:89], exec, s[88:89]
; %bb.2835:                             ;   in Loop: Header=BB12_1371 Depth=3
	v_bfe_u32 v2, v19, 16, 1
	v_add3_u32 v2, v19, v2, s46
                                        ; implicit-def: $vgpr19
; %bb.2836:                             ;   in Loop: Header=BB12_1371 Depth=3
	s_andn2_saveexec_b64 s[88:89], s[88:89]
	s_cbranch_execz .LBB12_2838
; %bb.2837:                             ;   in Loop: Header=BB12_1371 Depth=3
	buffer_load_dword v20, off, s[0:3], s33 offset:128 ; 4-byte Folded Reload
	buffer_load_dword v21, off, s[0:3], s33 offset:132 ; 4-byte Folded Reload
	v_or_b32_e32 v2, 0x10000, v19
	s_waitcnt vmcnt(1)
	v_cmp_eq_u32_sdwa vcc, v19, v20 src0_sel:WORD_0 src1_sel:DWORD
	v_cndmask_b32_e32 v2, v2, v19, vcc
.LBB12_2838:                            ;   in Loop: Header=BB12_1371 Depth=3
	s_or_b64 exec, exec, s[88:89]
	flat_store_short_d16_hi v[0:1], v18 glc slc
	flat_store_short_d16_hi v[0:1], v17 offset:128 glc slc
	flat_store_short_d16_hi v[0:1], v16 offset:256 glc slc
	;; [unrolled: 1-line block ×15, first 2 shown]
.LBB12_2839:                            ;   in Loop: Header=BB12_1371 Depth=3
	s_or_b64 exec, exec, s[28:29]
	buffer_load_dword v0, off, s[0:3], s33 offset:444 ; 4-byte Folded Reload
	buffer_load_dword v4, off, s[0:3], s33 offset:436 ; 4-byte Folded Reload
	;; [unrolled: 1-line block ×3, first 2 shown]
	s_waitcnt vmcnt(0)
	v_lshlrev_b32_e32 v0, 11, v0
	v_cmp_ne_u32_e32 vcc, v55, v0
	s_and_b64 s[28:29], exec, vcc
	s_mov_b64 exec, s[28:29]
	s_cbranch_execz .LBB12_2876
; %bb.2840:                             ;   in Loop: Header=BB12_1371 Depth=3
	v_lshlrev_b32_e32 v1, 6, v15
	v_sub_u32_e32 v1, v2, v1
	v_ashrrev_i32_e32 v2, 31, v1
	v_lshrrev_b32_e32 v2, 26, v2
	v_add_u32_e32 v2, v1, v2
	v_and_b32_e32 v3, 0x7fffffc0, v2
	v_sub_u32_e32 v1, v1, v3
	v_lshlrev_b32_e32 v2, 1, v2
	v_and_b32_e32 v2, 0xffffff80, v2
	v_lshlrev_b32_e32 v1, 1, v1
	v_add3_u32 v0, v2, v1, v0
	v_sub_u32_e32 v2, v55, v0
	v_cmp_lt_i32_e32 vcc, 1, v2
	s_and_b64 exec, exec, vcc
	s_cbranch_execz .LBB12_2876
; %bb.2841:                             ;   in Loop: Header=BB12_1371 Depth=3
	s_trap 2
	ds_read_b64 v[7:8], v0
	v_add_u32_e32 v3, v0, v4
	buffer_load_dword v4, off, s[0:3], s33 offset:556 ; 4-byte Folded Reload
	buffer_load_dword v5, off, s[0:3], s33 offset:560 ; 4-byte Folded Reload
	v_ashrrev_i32_e32 v9, 31, v3
	v_add_co_u32_e32 v0, vcc, v42, v3
	v_addc_co_u32_e32 v1, vcc, v43, v9, vcc
	s_mov_b64 s[92:93], 0
	s_mov_b64 s[88:89], 0
                                        ; implicit-def: $sgpr90_sgpr91
	s_waitcnt vmcnt(0)
	v_add_co_u32_e32 v6, vcc, v3, v4
	v_addc_co_u32_e32 v5, vcc, v9, v5, vcc
	s_waitcnt lgkmcnt(0)
	v_add_co_u32_e32 v4, vcc, v7, v3
	v_addc_co_u32_e32 v3, vcc, v8, v9, vcc
	s_branch .LBB12_2843
.LBB12_2842:                            ;   in Loop: Header=BB12_2843 Depth=4
	s_or_b64 exec, exec, s[28:29]
	v_lshrrev_b32_e32 v7, 16, v8
	buffer_store_short v7, off, s[0:3], s33 offset:64
	flat_store_short v[0:1], v7 glc slc
	buffer_load_dword v9, off, s[0:3], s33 offset:388 ; 4-byte Folded Reload
	buffer_load_dword v10, off, s[0:3], s33 offset:392 ; 4-byte Folded Reload
	;; [unrolled: 1-line block ×4, first 2 shown]
	v_mov_b32_e32 v13, 0x80
	s_waitcnt vmcnt(0)
	v_add_co_u32_e32 v7, vcc, v6, v9
	v_cndmask_b32_e64 v6, v6, v7, s[92:93]
	buffer_load_dword v7, off, s[0:3], s33 offset:280 ; 4-byte Folded Reload
	v_addc_co_u32_e32 v8, vcc, v5, v10, vcc
	v_add_co_u32_e32 v9, vcc, v4, v9
	v_addc_co_u32_e32 v10, vcc, v3, v10, vcc
	v_cndmask_b32_e64 v12, v13, v12, s[92:93]
	v_cndmask_b32_e64 v11, 0, v11, s[92:93]
	v_add_co_u32_e32 v0, vcc, v0, v12
	v_addc_co_u32_e32 v1, vcc, v1, v11, vcc
	v_cndmask_b32_e64 v3, v3, v10, s[92:93]
	v_cndmask_b32_e64 v4, v4, v9, s[92:93]
	;; [unrolled: 1-line block ×3, first 2 shown]
	s_waitcnt vmcnt(0)
	v_cndmask_b32_e64 v7, 0, v7, s[92:93]
	v_sub_u32_e32 v2, v2, v7
	v_cmp_gt_i32_e32 vcc, 2, v2
	s_or_b64 s[88:89], vcc, s[88:89]
	s_andn2_b64 s[28:29], s[90:91], exec
	s_and_b64 s[90:91], s[92:93], exec
	s_or_b64 s[90:91], s[28:29], s[90:91]
	s_andn2_b64 exec, exec, s[88:89]
	s_cbranch_execz .LBB12_2866
.LBB12_2843:                            ;   Parent Loop BB12_47 Depth=1
                                        ;     Parent Loop BB12_1368 Depth=2
                                        ;       Parent Loop BB12_1371 Depth=3
                                        ; =>      This Loop Header: Depth=4
                                        ;           Child Loop BB12_2844 Depth 5
                                        ;           Child Loop BB12_2857 Depth 5
	s_lshr_b32 s9, s33, 6
	s_add_i32 s9, s9, 64
	s_mov_b64 s[94:95], -1
	s_mov_b64 s[30:31], 0
.LBB12_2844:                            ;   Parent Loop BB12_47 Depth=1
                                        ;     Parent Loop BB12_1368 Depth=2
                                        ;       Parent Loop BB12_1371 Depth=3
                                        ;         Parent Loop BB12_2843 Depth=4
                                        ; =>        This Inner Loop Header: Depth=5
	s_cmp_eq_u32 s30, 1
	s_cselect_b64 s[28:29], -1, 0
	v_cndmask_b32_e64 v8, v5, v3, s[28:29]
	v_cndmask_b32_e64 v7, v6, v4, s[28:29]
	flat_load_ushort v9, v[7:8] glc slc
	v_add_co_u32_e32 v7, vcc, 0x80, v7
	v_addc_co_u32_e32 v8, vcc, 0, v8, vcc
	s_cmp_eq_u32 s30, 0
	v_mov_b32_e32 v10, s9
	s_cselect_b64 vcc, -1, 0
	s_lshr_b32 s9, s33, 6
	s_addk_i32 s9, 0x60
	v_cndmask_b32_e64 v3, v3, v8, s[28:29]
	v_cndmask_b32_e64 v4, v4, v7, s[28:29]
	v_cndmask_b32_e32 v5, v5, v8, vcc
	v_cndmask_b32_e32 v6, v6, v7, vcc
	s_mov_b64 s[30:31], 1
	s_and_b64 vcc, exec, s[94:95]
	s_mov_b64 s[94:95], 0
	s_waitcnt vmcnt(0) lgkmcnt(0)
	buffer_store_short v9, v10, s[0:3], 0 offen
	s_cbranch_vccnz .LBB12_2844
; %bb.2845:                             ;   in Loop: Header=BB12_2843 Depth=4
	s_and_saveexec_b64 s[28:29], s[92:93]
	s_cbranch_execz .LBB12_2855
; %bb.2846:                             ;   in Loop: Header=BB12_2843 Depth=4
	s_trap 2
	buffer_load_ushort v7, off, s[0:3], s33 offset:56
	ds_read_b32 v8, v0
	s_waitcnt lgkmcnt(0)
	v_lshlrev_b32_e32 v8, 16, v8
	s_waitcnt vmcnt(0)
	v_lshlrev_b32_e32 v7, 16, v7
	v_mul_f32_e32 v8, v8, v7
	v_and_b32_e32 v7, 0x7f800000, v8
	v_cmp_ne_u32_e32 vcc, s97, v7
                                        ; implicit-def: $vgpr7
	s_and_saveexec_b64 s[92:93], vcc
	s_xor_b64 s[92:93], exec, s[92:93]
; %bb.2847:                             ;   in Loop: Header=BB12_2843 Depth=4
	v_bfe_u32 v7, v8, 16, 1
	v_add3_u32 v7, v8, v7, s46
                                        ; implicit-def: $vgpr8
; %bb.2848:                             ;   in Loop: Header=BB12_2843 Depth=4
	s_andn2_saveexec_b64 s[92:93], s[92:93]
	s_cbranch_execz .LBB12_2850
; %bb.2849:                             ;   in Loop: Header=BB12_2843 Depth=4
	buffer_load_dword v9, off, s[0:3], s33 offset:128 ; 4-byte Folded Reload
	buffer_load_dword v10, off, s[0:3], s33 offset:132 ; 4-byte Folded Reload
	v_or_b32_e32 v7, 0x10000, v8
	s_waitcnt vmcnt(1)
	v_cmp_eq_u32_sdwa vcc, v8, v9 src0_sel:WORD_0 src1_sel:DWORD
	v_cndmask_b32_e32 v7, v7, v8, vcc
.LBB12_2850:                            ;   in Loop: Header=BB12_2843 Depth=4
	s_or_b64 exec, exec, s[92:93]
	buffer_load_ushort v8, off, s[0:3], s33 offset:58
	v_and_b32_e32 v7, 0xffff0000, v7
	s_waitcnt vmcnt(0)
	v_lshlrev_b32_e32 v8, 16, v8
	v_add_f32_e32 v7, v7, v8
	v_and_b32_e32 v8, 0x7f800000, v7
	v_cmp_ne_u32_e32 vcc, s97, v8
                                        ; implicit-def: $vgpr8
	s_and_saveexec_b64 s[92:93], vcc
	s_xor_b64 s[92:93], exec, s[92:93]
; %bb.2851:                             ;   in Loop: Header=BB12_2843 Depth=4
	v_bfe_u32 v8, v7, 16, 1
	v_add3_u32 v8, v7, v8, s46
                                        ; implicit-def: $vgpr7
; %bb.2852:                             ;   in Loop: Header=BB12_2843 Depth=4
	s_andn2_saveexec_b64 s[92:93], s[92:93]
	s_cbranch_execz .LBB12_2854
; %bb.2853:                             ;   in Loop: Header=BB12_2843 Depth=4
	buffer_load_dword v9, off, s[0:3], s33 offset:128 ; 4-byte Folded Reload
	buffer_load_dword v10, off, s[0:3], s33 offset:132 ; 4-byte Folded Reload
	v_or_b32_e32 v8, 0x10000, v7
	s_waitcnt vmcnt(1)
	v_cmp_eq_u32_sdwa vcc, v7, v9 src0_sel:WORD_0 src1_sel:DWORD
	v_cndmask_b32_e32 v8, v8, v7, vcc
.LBB12_2854:                            ;   in Loop: Header=BB12_2843 Depth=4
	s_or_b64 exec, exec, s[92:93]
	v_lshrrev_b32_e32 v7, 16, v8
	buffer_store_short v7, off, s[0:3], s33 offset:56
	flat_store_short v[0:1], v7 glc slc
	buffer_load_dword v7, off, s[0:3], s33 offset:396 ; 4-byte Folded Reload
	s_waitcnt vmcnt(0)
	v_add_co_u32_e32 v0, vcc, v0, v7
	buffer_load_dword v7, off, s[0:3], s33 offset:400 ; 4-byte Folded Reload
	s_waitcnt vmcnt(0)
	v_addc_co_u32_e32 v1, vcc, v1, v7, vcc
.LBB12_2855:                            ;   in Loop: Header=BB12_2843 Depth=4
	s_or_b64 exec, exec, s[28:29]
	buffer_load_dword v7, off, s[0:3], s33 offset:388 ; 4-byte Folded Reload
	buffer_load_dword v8, off, s[0:3], s33 offset:392 ; 4-byte Folded Reload
	s_waitcnt vmcnt(0)
	v_add_co_u32_e32 v6, vcc, v6, v7
	v_addc_co_u32_e32 v5, vcc, v5, v8, vcc
	v_add_co_u32_e32 v4, vcc, v4, v7
	buffer_load_dword v7, off, s[0:3], s33 offset:280 ; 4-byte Folded Reload
	v_addc_co_u32_e32 v3, vcc, v3, v8, vcc
	s_waitcnt vmcnt(0)
	v_sub_u32_e32 v2, v2, v7
	v_cmp_lt_i32_e64 s[92:93], 1, v2
	s_and_saveexec_b64 s[94:95], s[92:93]
	s_cbranch_execz .LBB12_2858
; %bb.2856:                             ;   in Loop: Header=BB12_2843 Depth=4
	s_lshr_b32 s9, s33, 6
	s_add_i32 s9, s9, 56
	s_mov_b64 s[34:35], 0
	s_mov_b64 s[30:31], -1
.LBB12_2857:                            ;   Parent Loop BB12_47 Depth=1
                                        ;     Parent Loop BB12_1368 Depth=2
                                        ;       Parent Loop BB12_1371 Depth=3
                                        ;         Parent Loop BB12_2843 Depth=4
                                        ; =>        This Inner Loop Header: Depth=5
	s_cmp_eq_u32 s34, 1
	s_cselect_b64 s[28:29], -1, 0
	v_cndmask_b32_e64 v8, v5, v3, s[28:29]
	v_cndmask_b32_e64 v7, v6, v4, s[28:29]
	flat_load_ushort v9, v[7:8] glc slc
	v_add_co_u32_e32 v7, vcc, 0x80, v7
	v_addc_co_u32_e32 v8, vcc, 0, v8, vcc
	s_cmp_eq_u32 s34, 0
	v_mov_b32_e32 v10, s9
	s_cselect_b64 vcc, -1, 0
	s_lshr_b32 s9, s33, 6
	s_add_i32 s9, s9, 58
	v_cndmask_b32_e32 v5, v5, v8, vcc
	v_cndmask_b32_e32 v6, v6, v7, vcc
	v_cndmask_b32_e64 v3, v3, v8, s[28:29]
	v_cndmask_b32_e64 v4, v4, v7, s[28:29]
	s_mov_b64 s[34:35], 1
	s_and_b64 vcc, exec, s[30:31]
	s_mov_b64 s[30:31], 0
	s_waitcnt vmcnt(0) lgkmcnt(0)
	buffer_store_short v9, v10, s[0:3], 0 offen
	s_cbranch_vccnz .LBB12_2857
.LBB12_2858:                            ;   in Loop: Header=BB12_2843 Depth=4
	s_or_b64 exec, exec, s[94:95]
	s_trap 2
	buffer_load_ushort v7, off, s[0:3], s33 offset:64
	ds_read_b32 v8, v0
	s_waitcnt lgkmcnt(0)
	v_lshlrev_b32_e32 v8, 16, v8
	s_waitcnt vmcnt(0)
	v_lshlrev_b32_e32 v7, 16, v7
	v_mul_f32_e32 v7, v8, v7
	v_and_b32_e32 v8, 0x7f800000, v7
	v_cmp_ne_u32_e32 vcc, s97, v8
                                        ; implicit-def: $vgpr8
	s_and_saveexec_b64 s[28:29], vcc
	s_xor_b64 s[28:29], exec, s[28:29]
; %bb.2859:                             ;   in Loop: Header=BB12_2843 Depth=4
	v_bfe_u32 v8, v7, 16, 1
	v_add3_u32 v8, v7, v8, s46
                                        ; implicit-def: $vgpr7
; %bb.2860:                             ;   in Loop: Header=BB12_2843 Depth=4
	s_andn2_saveexec_b64 s[28:29], s[28:29]
	s_cbranch_execz .LBB12_2862
; %bb.2861:                             ;   in Loop: Header=BB12_2843 Depth=4
	buffer_load_dword v9, off, s[0:3], s33 offset:128 ; 4-byte Folded Reload
	buffer_load_dword v10, off, s[0:3], s33 offset:132 ; 4-byte Folded Reload
	v_or_b32_e32 v8, 0x10000, v7
	s_waitcnt vmcnt(1)
	v_cmp_eq_u32_sdwa vcc, v7, v9 src0_sel:WORD_0 src1_sel:DWORD
	v_cndmask_b32_e32 v8, v8, v7, vcc
.LBB12_2862:                            ;   in Loop: Header=BB12_2843 Depth=4
	s_or_b64 exec, exec, s[28:29]
	buffer_load_ushort v7, off, s[0:3], s33 offset:96
	v_and_b32_e32 v8, 0xffff0000, v8
	s_waitcnt vmcnt(0)
	v_lshlrev_b32_e32 v7, 16, v7
	v_add_f32_e32 v7, v8, v7
	v_and_b32_e32 v8, 0x7f800000, v7
	v_cmp_ne_u32_e32 vcc, s97, v8
                                        ; implicit-def: $vgpr8
	s_and_saveexec_b64 s[28:29], vcc
	s_xor_b64 s[28:29], exec, s[28:29]
; %bb.2863:                             ;   in Loop: Header=BB12_2843 Depth=4
	v_bfe_u32 v8, v7, 16, 1
	v_add3_u32 v8, v7, v8, s46
                                        ; implicit-def: $vgpr7
; %bb.2864:                             ;   in Loop: Header=BB12_2843 Depth=4
	s_andn2_saveexec_b64 s[28:29], s[28:29]
	s_cbranch_execz .LBB12_2842
; %bb.2865:                             ;   in Loop: Header=BB12_2843 Depth=4
	buffer_load_dword v9, off, s[0:3], s33 offset:128 ; 4-byte Folded Reload
	buffer_load_dword v10, off, s[0:3], s33 offset:132 ; 4-byte Folded Reload
	v_or_b32_e32 v8, 0x10000, v7
	s_waitcnt vmcnt(1)
	v_cmp_eq_u32_sdwa vcc, v7, v9 src0_sel:WORD_0 src1_sel:DWORD
	v_cndmask_b32_e32 v8, v8, v7, vcc
	s_branch .LBB12_2842
.LBB12_2866:                            ;   in Loop: Header=BB12_1371 Depth=3
	s_or_b64 exec, exec, s[88:89]
	s_and_b64 exec, exec, s[90:91]
	s_cbranch_execz .LBB12_2876
; %bb.2867:                             ;   in Loop: Header=BB12_1371 Depth=3
	s_trap 2
	buffer_load_ushort v2, off, s[0:3], s33 offset:56
	ds_read_b32 v3, v0
	s_waitcnt lgkmcnt(0)
	v_lshlrev_b32_e32 v3, 16, v3
	s_waitcnt vmcnt(0)
	v_lshlrev_b32_e32 v2, 16, v2
	v_mul_f32_e32 v3, v3, v2
	v_and_b32_e32 v2, 0x7f800000, v3
	v_cmp_ne_u32_e32 vcc, s97, v2
                                        ; implicit-def: $vgpr2
	s_and_saveexec_b64 s[28:29], vcc
	s_xor_b64 s[28:29], exec, s[28:29]
; %bb.2868:                             ;   in Loop: Header=BB12_1371 Depth=3
	v_bfe_u32 v2, v3, 16, 1
	v_add3_u32 v2, v3, v2, s46
                                        ; implicit-def: $vgpr3
; %bb.2869:                             ;   in Loop: Header=BB12_1371 Depth=3
	s_andn2_saveexec_b64 s[28:29], s[28:29]
	s_cbranch_execz .LBB12_2871
; %bb.2870:                             ;   in Loop: Header=BB12_1371 Depth=3
	buffer_load_dword v4, off, s[0:3], s33 offset:128 ; 4-byte Folded Reload
	buffer_load_dword v5, off, s[0:3], s33 offset:132 ; 4-byte Folded Reload
	v_or_b32_e32 v2, 0x10000, v3
	s_waitcnt vmcnt(1)
	v_cmp_eq_u32_sdwa vcc, v3, v4 src0_sel:WORD_0 src1_sel:DWORD
	v_cndmask_b32_e32 v2, v2, v3, vcc
.LBB12_2871:                            ;   in Loop: Header=BB12_1371 Depth=3
	s_or_b64 exec, exec, s[28:29]
	buffer_load_ushort v3, off, s[0:3], s33 offset:58
	v_and_b32_e32 v2, 0xffff0000, v2
	s_waitcnt vmcnt(0)
	v_lshlrev_b32_e32 v3, 16, v3
	v_add_f32_e32 v2, v2, v3
	v_and_b32_e32 v3, 0x7f800000, v2
	v_cmp_ne_u32_e32 vcc, s97, v3
                                        ; implicit-def: $vgpr3
	s_and_saveexec_b64 s[28:29], vcc
	s_xor_b64 s[28:29], exec, s[28:29]
; %bb.2872:                             ;   in Loop: Header=BB12_1371 Depth=3
	v_bfe_u32 v3, v2, 16, 1
	v_add3_u32 v3, v2, v3, s46
                                        ; implicit-def: $vgpr2
; %bb.2873:                             ;   in Loop: Header=BB12_1371 Depth=3
	s_andn2_saveexec_b64 s[28:29], s[28:29]
	s_cbranch_execz .LBB12_2875
; %bb.2874:                             ;   in Loop: Header=BB12_1371 Depth=3
	buffer_load_dword v4, off, s[0:3], s33 offset:128 ; 4-byte Folded Reload
	buffer_load_dword v5, off, s[0:3], s33 offset:132 ; 4-byte Folded Reload
	v_or_b32_e32 v3, 0x10000, v2
	s_waitcnt vmcnt(1)
	v_cmp_eq_u32_sdwa vcc, v2, v4 src0_sel:WORD_0 src1_sel:DWORD
	v_cndmask_b32_e32 v3, v3, v2, vcc
.LBB12_2875:                            ;   in Loop: Header=BB12_1371 Depth=3
	s_or_b64 exec, exec, s[28:29]
	flat_store_short_d16_hi v[0:1], v3 glc slc
.LBB12_2876:                            ;   in Loop: Header=BB12_1371 Depth=3
	s_or_b64 exec, exec, s[40:41]
	v_cmp_lt_i32_e64 s[28:29], 0, v53
	s_and_saveexec_b64 s[40:41], s[10:11]
	s_cbranch_execz .LBB12_1446
.LBB12_2877:                            ;   in Loop: Header=BB12_1371 Depth=3
	s_and_saveexec_b64 s[88:89], s[56:57]
	s_xor_b64 s[88:89], exec, s[88:89]
	s_cbranch_execz .LBB12_2892
; %bb.2878:                             ;   in Loop: Header=BB12_1371 Depth=3
	s_and_saveexec_b64 s[90:91], s[16:17]
	s_cbranch_execz .LBB12_2891
; %bb.2879:                             ;   in Loop: Header=BB12_1371 Depth=3
	s_mov_b64 s[94:95], exec
	s_waitcnt vmcnt(0)
	v_mbcnt_lo_u32_b32 v0, s94, 0
	v_mbcnt_hi_u32_b32 v0, s95, v0
	v_cmp_eq_u32_e32 vcc, 0, v0
	s_waitcnt lgkmcnt(0)
	buffer_wbinvl1_vol
	s_and_saveexec_b64 s[92:93], vcc
	s_cbranch_execz .LBB12_2881
; %bb.2880:                             ;   in Loop: Header=BB12_1371 Depth=3
	buffer_load_dword v1, off, s[0:3], s33 offset:128 ; 4-byte Folded Reload
	buffer_load_dword v2, off, s[0:3], s33 offset:132 ; 4-byte Folded Reload
	s_bcnt1_i32_b64 s9, s[94:95]
	v_mov_b32_e32 v0, s9
	s_waitcnt vmcnt(1)
	ds_add_u64 v0, v[0:1]
	s_trap 2
.LBB12_2881:                            ;   in Loop: Header=BB12_1371 Depth=3
	s_or_b64 exec, exec, s[92:93]
	s_trap 2
	ds_read_b64 v[0:1], v0
	s_waitcnt lgkmcnt(0)
	buffer_load_dword v2, off, s[0:3], s33 offset:152 ; 4-byte Folded Reload
	buffer_load_dword v3, off, s[0:3], s33 offset:160 ; 4-byte Folded Reload
	;; [unrolled: 1-line block ×3, first 2 shown]
	s_waitcnt vmcnt(1)
	v_add_co_u32_e32 v3, vcc, v3, v2
	s_waitcnt vmcnt(0)
	v_addc_co_u32_e32 v4, vcc, 0, v4, vcc
	buffer_store_dword v3, off, s[0:3], s33 offset:160 ; 4-byte Folded Spill
	s_nop 0
	buffer_store_dword v4, off, s[0:3], s33 offset:164 ; 4-byte Folded Spill
	v_cmp_lt_u64_e32 vcc, v[0:1], v[3:4]
	s_and_saveexec_b64 s[92:93], vcc
	s_cbranch_execz .LBB12_2890
; %bb.2882:                             ;   in Loop: Header=BB12_1371 Depth=3
	s_mov_b32 s9, 0
	s_mov_b64 s[94:95], 0
                                        ; implicit-def: $sgpr30_sgpr31
                                        ; implicit-def: $sgpr34_sgpr35
	s_branch .LBB12_2884
.LBB12_2883:                            ;   in Loop: Header=BB12_2884 Depth=4
	s_or_b64 exec, exec, s[38:39]
	s_and_b64 vcc, exec, vcc
	s_or_b64 s[94:95], vcc, s[94:95]
	s_andn2_b64 vcc, s[30:31], exec
	s_and_b64 s[30:31], s[34:35], exec
	s_or_b64 s[30:31], vcc, s[30:31]
	s_andn2_b64 exec, exec, s[94:95]
	s_cbranch_execz .LBB12_2888
.LBB12_2884:                            ;   Parent Loop BB12_47 Depth=1
                                        ;     Parent Loop BB12_1368 Depth=2
                                        ;       Parent Loop BB12_1371 Depth=3
                                        ; =>      This Inner Loop Header: Depth=4
	s_add_i32 s9, s9, 1
	s_cmpk_lg_i32 s9, 0x2710
	s_cselect_b64 s[36:37], -1, 0
	s_and_b64 vcc, exec, s[36:37]
	s_cbranch_vccz .LBB12_2886
; %bb.2885:                             ;   in Loop: Header=BB12_2884 Depth=4
	s_mov_b64 vcc, -1
	s_or_b64 s[34:35], s[34:35], exec
	s_and_saveexec_b64 s[38:39], s[36:37]
	s_cbranch_execz .LBB12_2883
	s_branch .LBB12_2887
.LBB12_2886:                            ;   in Loop: Header=BB12_2884 Depth=4
	s_trap 2
	ds_read_b64 v[0:1], v0
	s_andn2_b64 s[36:37], s[36:37], exec
	s_mov_b32 s9, 0
	s_waitcnt vmcnt(0) lgkmcnt(0)
	flat_load_dword v0, v[0:1] glc
	s_waitcnt vmcnt(0) lgkmcnt(0)
	buffer_wbinvl1_vol
	v_cmp_eq_u32_e32 vcc, 0, v0
	s_and_b64 vcc, vcc, exec
	s_or_b64 s[36:37], s[36:37], vcc
	s_mov_b64 vcc, -1
	s_or_b64 s[34:35], s[34:35], exec
	s_and_saveexec_b64 s[38:39], s[36:37]
	s_cbranch_execz .LBB12_2883
.LBB12_2887:                            ;   in Loop: Header=BB12_2884 Depth=4
	s_sleep 1
	s_trap 2
	ds_read_b64 v[0:1], v0
	s_waitcnt lgkmcnt(0)
	buffer_load_dword v2, off, s[0:3], s33 offset:160 ; 4-byte Folded Reload
	buffer_load_dword v3, off, s[0:3], s33 offset:164 ; 4-byte Folded Reload
	s_andn2_b64 s[34:35], s[34:35], exec
	s_waitcnt vmcnt(0)
	v_cmp_ge_u64_e32 vcc, v[0:1], v[2:3]
	s_orn2_b64 vcc, vcc, exec
	s_branch .LBB12_2883
.LBB12_2888:                            ;   in Loop: Header=BB12_1371 Depth=3
	s_or_b64 exec, exec, s[94:95]
	s_and_saveexec_b64 s[94:95], s[30:31]
	s_xor_b64 s[94:95], exec, s[94:95]
	s_cbranch_execz .LBB12_2890
; %bb.2889:                             ;   in Loop: Header=BB12_1371 Depth=3
	v_mov_b32_e32 v0, 1
	ds_write_b32 v0, v0
	s_trap 2
.LBB12_2890:                            ;   in Loop: Header=BB12_1371 Depth=3
	s_or_b64 exec, exec, s[92:93]
	;;#ASMSTART
	s_wakeup
	;;#ASMEND
.LBB12_2891:                            ;   in Loop: Header=BB12_1371 Depth=3
	s_or_b64 exec, exec, s[90:91]
.LBB12_2892:                            ;   in Loop: Header=BB12_1371 Depth=3
	s_andn2_saveexec_b64 s[88:89], s[88:89]
	s_cbranch_execz .LBB12_2894
; %bb.2893:                             ;   in Loop: Header=BB12_1371 Depth=3
	s_waitcnt vmcnt(0) lgkmcnt(0)
	buffer_wbinvl1_vol
	s_barrier
.LBB12_2894:                            ;   in Loop: Header=BB12_1371 Depth=3
	s_or_b64 exec, exec, s[88:89]
	s_or_b64 exec, exec, s[40:41]
                                        ; implicit-def: $vgpr0
	s_and_saveexec_b64 s[40:41], s[24:25]
	s_xor_b64 s[40:41], exec, s[40:41]
	s_cbranch_execnz .LBB12_1447
.LBB12_2895:                            ;   in Loop: Header=BB12_1371 Depth=3
	s_andn2_saveexec_b64 s[28:29], s[40:41]
	s_cbranch_execz .LBB12_2914
.LBB12_2896:                            ;   in Loop: Header=BB12_1371 Depth=3
	s_and_saveexec_b64 s[40:41], s[56:57]
	s_xor_b64 s[40:41], exec, s[40:41]
	s_cbranch_execz .LBB12_2911
; %bb.2897:                             ;   in Loop: Header=BB12_1371 Depth=3
	s_and_saveexec_b64 s[88:89], s[16:17]
	s_cbranch_execz .LBB12_2910
; %bb.2898:                             ;   in Loop: Header=BB12_1371 Depth=3
	s_mov_b64 s[92:93], exec
	s_waitcnt vmcnt(0)
	v_mbcnt_lo_u32_b32 v0, s92, 0
	v_mbcnt_hi_u32_b32 v0, s93, v0
	v_cmp_eq_u32_e32 vcc, 0, v0
	;;#ASMSTART
	s_waitcnt lgkmcnt(0) vmcnt(0)
	;;#ASMEND
	s_and_saveexec_b64 s[90:91], vcc
	s_cbranch_execz .LBB12_2900
; %bb.2899:                             ;   in Loop: Header=BB12_1371 Depth=3
	buffer_load_dword v1, off, s[0:3], s33 offset:128 ; 4-byte Folded Reload
	buffer_load_dword v2, off, s[0:3], s33 offset:132 ; 4-byte Folded Reload
	s_bcnt1_i32_b64 s9, s[92:93]
	v_mov_b32_e32 v0, s9
	s_waitcnt vmcnt(0) lgkmcnt(0)
	ds_add_u64 v0, v[0:1]
	s_trap 2
.LBB12_2900:                            ;   in Loop: Header=BB12_1371 Depth=3
	s_or_b64 exec, exec, s[90:91]
	s_trap 2
	ds_read_b64 v[0:1], v0
	s_waitcnt lgkmcnt(0)
	buffer_load_dword v2, off, s[0:3], s33 offset:152 ; 4-byte Folded Reload
	buffer_load_dword v3, off, s[0:3], s33 offset:160 ; 4-byte Folded Reload
	;; [unrolled: 1-line block ×3, first 2 shown]
	s_waitcnt vmcnt(1)
	v_add_co_u32_e32 v3, vcc, v3, v2
	s_waitcnt vmcnt(0)
	v_addc_co_u32_e32 v4, vcc, 0, v4, vcc
	buffer_store_dword v3, off, s[0:3], s33 offset:160 ; 4-byte Folded Spill
	s_nop 0
	buffer_store_dword v4, off, s[0:3], s33 offset:164 ; 4-byte Folded Spill
	v_cmp_lt_u64_e32 vcc, v[0:1], v[3:4]
	s_and_saveexec_b64 s[90:91], vcc
	s_cbranch_execz .LBB12_2909
; %bb.2901:                             ;   in Loop: Header=BB12_1371 Depth=3
	s_mov_b32 s9, 0
	s_mov_b64 s[92:93], 0
                                        ; implicit-def: $sgpr94_sgpr95
                                        ; implicit-def: $sgpr30_sgpr31
	s_branch .LBB12_2903
.LBB12_2902:                            ;   in Loop: Header=BB12_2903 Depth=4
	s_or_b64 exec, exec, s[36:37]
	s_and_b64 vcc, exec, vcc
	s_or_b64 s[92:93], vcc, s[92:93]
	s_andn2_b64 s[94:95], s[94:95], exec
	s_and_b64 vcc, s[30:31], exec
	s_or_b64 s[94:95], s[94:95], vcc
	s_andn2_b64 exec, exec, s[92:93]
	s_cbranch_execz .LBB12_2907
.LBB12_2903:                            ;   Parent Loop BB12_47 Depth=1
                                        ;     Parent Loop BB12_1368 Depth=2
                                        ;       Parent Loop BB12_1371 Depth=3
                                        ; =>      This Inner Loop Header: Depth=4
	s_add_i32 s9, s9, 1
	s_cmpk_lg_i32 s9, 0x2710
	s_cselect_b64 s[34:35], -1, 0
	s_and_b64 vcc, exec, s[34:35]
	s_cbranch_vccz .LBB12_2905
; %bb.2904:                             ;   in Loop: Header=BB12_2903 Depth=4
	s_mov_b64 vcc, -1
	s_or_b64 s[30:31], s[30:31], exec
	s_and_saveexec_b64 s[36:37], s[34:35]
	s_cbranch_execz .LBB12_2902
	s_branch .LBB12_2906
.LBB12_2905:                            ;   in Loop: Header=BB12_2903 Depth=4
	s_trap 2
	ds_read_b64 v[0:1], v0
	s_andn2_b64 s[34:35], s[34:35], exec
	s_mov_b32 s9, 0
	s_waitcnt vmcnt(0) lgkmcnt(0)
	flat_load_dword v0, v[0:1] glc
	s_waitcnt vmcnt(0) lgkmcnt(0)
	buffer_wbinvl1_vol
	v_cmp_eq_u32_e32 vcc, 0, v0
	s_and_b64 vcc, vcc, exec
	s_or_b64 s[34:35], s[34:35], vcc
	s_mov_b64 vcc, -1
	s_or_b64 s[30:31], s[30:31], exec
	s_and_saveexec_b64 s[36:37], s[34:35]
	s_cbranch_execz .LBB12_2902
.LBB12_2906:                            ;   in Loop: Header=BB12_2903 Depth=4
	s_sleep 1
	s_trap 2
	ds_read_b64 v[0:1], v0
	s_waitcnt lgkmcnt(0)
	buffer_load_dword v2, off, s[0:3], s33 offset:160 ; 4-byte Folded Reload
	buffer_load_dword v3, off, s[0:3], s33 offset:164 ; 4-byte Folded Reload
	s_andn2_b64 s[30:31], s[30:31], exec
	s_waitcnt vmcnt(0)
	v_cmp_ge_u64_e32 vcc, v[0:1], v[2:3]
	s_orn2_b64 vcc, vcc, exec
	s_branch .LBB12_2902
.LBB12_2907:                            ;   in Loop: Header=BB12_1371 Depth=3
	s_or_b64 exec, exec, s[92:93]
	s_and_saveexec_b64 s[92:93], s[94:95]
	s_xor_b64 s[92:93], exec, s[92:93]
	s_cbranch_execz .LBB12_2909
; %bb.2908:                             ;   in Loop: Header=BB12_1371 Depth=3
	v_mov_b32_e32 v0, 1
	ds_write_b32 v0, v0
	s_trap 2
.LBB12_2909:                            ;   in Loop: Header=BB12_1371 Depth=3
	s_or_b64 exec, exec, s[90:91]
	;;#ASMSTART
	s_wakeup
	;;#ASMEND
.LBB12_2910:                            ;   in Loop: Header=BB12_1371 Depth=3
	s_or_b64 exec, exec, s[88:89]
.LBB12_2911:                            ;   in Loop: Header=BB12_1371 Depth=3
	s_andn2_saveexec_b64 s[40:41], s[40:41]
	s_cbranch_execz .LBB12_2913
; %bb.2912:                             ;   in Loop: Header=BB12_1371 Depth=3
	;;#ASMSTART
	s_waitcnt lgkmcnt(0) vmcnt(0)
	;;#ASMEND
	s_waitcnt vmcnt(0) lgkmcnt(0)
	s_barrier
.LBB12_2913:                            ;   in Loop: Header=BB12_1371 Depth=3
	s_or_b64 exec, exec, s[40:41]
	buffer_load_dword v0, off, s[0:3], s33 offset:156 ; 4-byte Folded Reload
	s_waitcnt vmcnt(0)
	v_and_b32_e32 v0, 16, v0
.LBB12_2914:                            ;   in Loop: Header=BB12_1371 Depth=3
	s_or_b64 exec, exec, s[28:29]
	s_waitcnt vmcnt(0)
	v_cmp_ne_u32_e32 vcc, 0, v0
	s_xor_b64 s[28:29], s[12:13], -1
	s_and_b64 s[40:41], vcc, s[28:29]
	s_and_saveexec_b64 s[28:29], s[40:41]
	s_cbranch_execz .LBB12_2916
; %bb.2915:                             ;   in Loop: Header=BB12_1371 Depth=3
	buffer_load_dword v0, off, s[0:3], s33 offset:548 ; 4-byte Folded Reload
	buffer_load_dword v1, off, s[0:3], s33 offset:552 ; 4-byte Folded Reload
	v_mov_b32_e32 v2, 1
	s_waitcnt vmcnt(0)
	flat_store_dword v[0:1], v2
.LBB12_2916:                            ;   in Loop: Header=BB12_1371 Depth=3
	s_or_b64 exec, exec, s[28:29]
	buffer_load_dword v0, off, s[0:3], s33 offset:156 ; 4-byte Folded Reload
	s_waitcnt vmcnt(0)
	v_and_b32_e32 v0, 48, v0
	v_cmp_ne_u32_e32 vcc, 0, v0
	s_and_saveexec_b64 s[28:29], vcc
	s_cbranch_execz .LBB12_1370
; %bb.2917:                             ;   in Loop: Header=BB12_1371 Depth=3
	buffer_load_dword v2, off, s[0:3], s33 offset:256 ; 4-byte Folded Reload
	buffer_load_dword v3, off, s[0:3], s33 offset:260 ; 4-byte Folded Reload
	;; [unrolled: 1-line block ×4, first 2 shown]
	s_waitcnt vmcnt(0)
	v_add_co_u32_e32 v2, vcc, 2, v2
	v_addc_co_u32_e32 v3, vcc, 0, v3, vcc
	buffer_store_dword v2, off, s[0:3], s33 offset:256 ; 4-byte Folded Spill
	s_nop 0
	buffer_store_dword v3, off, s[0:3], s33 offset:260 ; 4-byte Folded Spill
	flat_store_dwordx2 v[0:1], v[2:3]
	s_branch .LBB12_1370
.LBB12_2918:                            ;   in Loop: Header=BB12_1368 Depth=2
	s_or_b64 exec, exec, s[76:77]
.LBB12_2919:                            ;   in Loop: Header=BB12_1368 Depth=2
	s_or_b64 exec, exec, s[42:43]
	v_cmp_gt_i32_e32 vcc, 2, v2
	s_and_saveexec_b64 s[40:41], vcc
	s_cbranch_execz .LBB12_1367
; %bb.2920:                             ;   in Loop: Header=BB12_1368 Depth=2
	v_cmp_eq_u32_e64 s[76:77], 0, v2
	s_mov_b64 s[42:43], 0
	s_branch .LBB12_2922
.LBB12_2921:                            ;   in Loop: Header=BB12_2922 Depth=3
	s_or_b64 exec, exec, s[28:29]
	v_add_u32_e32 v54, v52, v54
	s_mov_b64 s[76:77], 0
	s_andn2_b64 exec, exec, s[42:43]
	s_cbranch_execz .LBB12_1366
.LBB12_2922:                            ;   Parent Loop BB12_47 Depth=1
                                        ;     Parent Loop BB12_1368 Depth=2
                                        ; =>    This Loop Header: Depth=3
                                        ;         Child Loop BB12_2928 Depth 4
                                        ;         Child Loop BB12_2956 Depth 4
	;; [unrolled: 1-line block ×3, first 2 shown]
	v_sub_u32_e32 v0, v39, v54
	v_min_i32_e32 v52, v52, v0
	buffer_load_dword v0, off, s[0:3], s33 offset:156 ; 4-byte Folded Reload
	s_waitcnt vmcnt(0)
	v_and_b32_e32 v0, 12, v0
	v_cmp_ne_u32_e32 vcc, 0, v0
	s_and_saveexec_b64 s[78:79], vcc
	s_cbranch_execz .LBB12_2948
; %bb.2923:                             ;   in Loop: Header=BB12_2922 Depth=3
	buffer_load_dword v0, off, s[0:3], s33 offset:156 ; 4-byte Folded Reload
	s_waitcnt vmcnt(0)
	v_and_b32_e32 v8, 8, v0
	buffer_load_dword v0, off, s[0:3], s33 offset:136 ; 4-byte Folded Reload
	buffer_load_dword v1, off, s[0:3], s33 offset:140 ; 4-byte Folded Reload
	s_waitcnt vmcnt(0)
	v_add_co_u32_e32 v2, vcc, v0, v8
	v_addc_co_u32_e32 v3, vcc, 0, v1, vcc
	buffer_load_dword v0, off, s[0:3], s33 offset:256 ; 4-byte Folded Reload
	buffer_load_dword v1, off, s[0:3], s33 offset:260 ; 4-byte Folded Reload
	s_waitcnt vmcnt(0)
	v_add_co_u32_e32 v0, vcc, 2, v0
	v_addc_co_u32_e32 v1, vcc, 0, v1, vcc
	v_cmp_lt_u64_e32 vcc, v[2:3], v[0:1]
	s_and_saveexec_b64 s[88:89], vcc
	s_cbranch_execz .LBB12_2935
; %bb.2924:                             ;   in Loop: Header=BB12_2922 Depth=3
	buffer_load_dword v2, off, s[0:3], s33 offset:156 ; 4-byte Folded Reload
	s_mov_b32 s9, 0
	s_mov_b64 s[90:91], 0
                                        ; implicit-def: $sgpr92_sgpr93
                                        ; implicit-def: $sgpr94_sgpr95
                                        ; implicit-def: $sgpr30_sgpr31
	s_waitcnt vmcnt(0)
	v_and_b32_e32 v2, 64, v2
	v_cmp_eq_u32_e32 vcc, 0, v2
	s_branch .LBB12_2928
.LBB12_2925:                            ;   in Loop: Header=BB12_2928 Depth=4
	buffer_load_dword v3, off, s[0:3], s33 offset:136 ; 4-byte Folded Reload
	buffer_load_dword v4, off, s[0:3], s33 offset:140 ; 4-byte Folded Reload
	s_or_b64 s[38:39], s[38:39], exec
	s_waitcnt vmcnt(1)
	v_add_co_u32_e64 v3, s[28:29], v3, v8
	s_waitcnt vmcnt(0)
	v_addc_co_u32_e64 v4, s[28:29], 0, v4, s[28:29]
	v_cmp_ge_u64_e64 s[28:29], v[3:4], v[0:1]
	s_orn2_b64 s[36:37], s[28:29], exec
.LBB12_2926:                            ;   in Loop: Header=BB12_2928 Depth=4
	s_or_b64 exec, exec, s[50:51]
	s_andn2_b64 s[28:29], s[30:31], exec
	s_and_b64 s[30:31], s[38:39], exec
	s_or_b64 s[30:31], s[28:29], s[30:31]
	s_andn2_b64 s[28:29], s[94:95], exec
	s_and_b64 s[94:95], s[36:37], exec
	s_or_b64 s[94:95], s[28:29], s[94:95]
.LBB12_2927:                            ;   in Loop: Header=BB12_2928 Depth=4
	s_or_b64 exec, exec, s[34:35]
	s_and_b64 s[28:29], exec, s[94:95]
	s_or_b64 s[90:91], s[28:29], s[90:91]
	s_andn2_b64 s[28:29], s[92:93], exec
	s_and_b64 s[92:93], s[30:31], exec
	s_or_b64 s[92:93], s[28:29], s[92:93]
	s_andn2_b64 exec, exec, s[90:91]
	s_cbranch_execz .LBB12_2932
.LBB12_2928:                            ;   Parent Loop BB12_47 Depth=1
                                        ;     Parent Loop BB12_1368 Depth=2
                                        ;       Parent Loop BB12_2922 Depth=3
                                        ; =>      This Inner Loop Header: Depth=4
	s_sleep 1
	buffer_load_dword v2, off, s[0:3], s33 offset:144 ; 4-byte Folded Reload
	buffer_load_dword v3, off, s[0:3], s33 offset:148 ; 4-byte Folded Reload
	s_or_b64 s[30:31], s[30:31], exec
	s_or_b64 s[94:95], s[94:95], exec
	s_waitcnt vmcnt(0)
	flat_load_dwordx2 v[2:3], v[2:3] glc
	s_waitcnt vmcnt(0) lgkmcnt(0)
	buffer_store_dword v2, off, s[0:3], s33 offset:136 ; 4-byte Folded Spill
	s_nop 0
	buffer_store_dword v3, off, s[0:3], s33 offset:140 ; 4-byte Folded Spill
                                        ; implicit-def: $vgpr2
	s_and_saveexec_b64 s[34:35], vcc
	s_cbranch_execz .LBB12_2927
; %bb.2929:                             ;   in Loop: Header=BB12_2928 Depth=4
	s_cmpk_lt_i32 s9, 0x270f
	s_cselect_b64 s[48:49], -1, 0
	s_cmpk_gt_i32 s9, 0x270e
	s_mov_b64 s[36:37], -1
	s_cbranch_scc0 .LBB12_2931
; %bb.2930:                             ;   in Loop: Header=BB12_2928 Depth=4
	s_trap 2
	ds_read_b64 v[2:3], v0
	s_andn2_b64 s[48:49], s[48:49], exec
	s_mov_b32 s9, 0
	s_mov_b64 s[38:39], 0
	s_waitcnt vmcnt(0) lgkmcnt(0)
	flat_load_dword v2, v[2:3] glc
	s_waitcnt vmcnt(0) lgkmcnt(0)
	buffer_wbinvl1_vol
	v_cmp_eq_u32_e64 s[28:29], 0, v2
	s_and_b64 s[28:29], s[28:29], exec
	s_or_b64 s[48:49], s[48:49], s[28:29]
	s_and_saveexec_b64 s[50:51], s[48:49]
	s_cbranch_execz .LBB12_2926
	s_branch .LBB12_2925
.LBB12_2931:                            ;   in Loop: Header=BB12_2928 Depth=4
	s_add_i32 s9, s9, 1
	s_mov_b64 s[38:39], -1
                                        ; implicit-def: $vgpr2
	s_and_saveexec_b64 s[50:51], s[48:49]
	s_cbranch_execz .LBB12_2926
	s_branch .LBB12_2925
.LBB12_2932:                            ;   in Loop: Header=BB12_2922 Depth=3
	s_or_b64 exec, exec, s[90:91]
	s_xor_b64 s[28:29], s[92:93], -1
	s_and_saveexec_b64 s[90:91], s[28:29]
	s_xor_b64 s[28:29], exec, s[90:91]
	s_cbranch_execz .LBB12_2934
; %bb.2933:                             ;   in Loop: Header=BB12_2922 Depth=3
	ds_write_b32 v0, v2
	s_trap 2
	buffer_load_dword v2, off, s[0:3], s33 offset:156 ; 4-byte Folded Reload
	s_waitcnt vmcnt(0)
	v_or_b32_e32 v2, 64, v2
	buffer_store_dword v2, off, s[0:3], s33 offset:156 ; 4-byte Folded Spill
.LBB12_2934:                            ;   in Loop: Header=BB12_2922 Depth=3
	s_or_b64 exec, exec, s[28:29]
.LBB12_2935:                            ;   in Loop: Header=BB12_2922 Depth=3
	s_or_b64 exec, exec, s[88:89]
	;;#ASMSTART
	s_wakeup
	;;#ASMEND
	buffer_load_dword v2, off, s[0:3], s33 offset:156 ; 4-byte Folded Reload
	s_waitcnt vmcnt(0)
	v_and_b32_e32 v2, 0x108, v2
	v_cmp_ne_u32_e32 vcc, s44, v2
                                        ; implicit-def: $vgpr2_vgpr3
	s_and_saveexec_b64 s[28:29], vcc
	s_xor_b64 s[28:29], exec, s[28:29]
	s_cbranch_execz .LBB12_2937
; %bb.2936:                             ;   in Loop: Header=BB12_2922 Depth=3
	buffer_load_dword v2, off, s[0:3], s33 offset:256 ; 4-byte Folded Reload
	buffer_load_dword v3, off, s[0:3], s33 offset:260 ; 4-byte Folded Reload
	;; [unrolled: 1-line block ×4, first 2 shown]
                                        ; implicit-def: $vgpr4_vgpr5
                                        ; kill: killed $vgpr4_vgpr5
	s_waitcnt vmcnt(0)
	v_and_b32_e32 v2, 7, v2
.LBB12_2937:                            ;   in Loop: Header=BB12_2922 Depth=3
	s_andn2_saveexec_b64 s[28:29], s[28:29]
	s_cbranch_execz .LBB12_2939
; %bb.2938:                             ;   in Loop: Header=BB12_2922 Depth=3
	buffer_load_dword v2, off, s[0:3], s33 offset:256 ; 4-byte Folded Reload
	buffer_load_dword v3, off, s[0:3], s33 offset:260 ; 4-byte Folded Reload
	;; [unrolled: 1-line block ×8, first 2 shown]
	v_ashrrev_i32_e32 v53, 31, v52
	s_waitcnt vmcnt(0)
	v_lshlrev_b64 v[6:7], 1, v[52:53]
	v_and_b32_e32 v2, 7, v2
	v_mad_u64_u32 v[4:5], s[88:89], v2, 24, v[3:4]
	v_mov_b32_e32 v3, v9
	flat_store_dwordx2 v[4:5], v[6:7] offset:8
.LBB12_2939:                            ;   in Loop: Header=BB12_2922 Depth=3
	s_or_b64 exec, exec, s[28:29]
	buffer_load_dword v4, off, s[0:3], s33 offset:156 ; 4-byte Folded Reload
	s_mov_b64 s[28:29], -1
	s_waitcnt vmcnt(0)
	v_and_b32_e32 v4, 0x100, v4
	v_cmp_ne_u32_e32 vcc, 0, v4
                                        ; implicit-def: $vgpr4_vgpr5
	s_and_saveexec_b64 s[88:89], vcc
	s_cbranch_execz .LBB12_2943
; %bb.2940:                             ;   in Loop: Header=BB12_2922 Depth=3
	buffer_load_dword v4, off, s[0:3], s33 offset:532 ; 4-byte Folded Reload
	buffer_load_dword v5, off, s[0:3], s33 offset:536 ; 4-byte Folded Reload
	;; [unrolled: 1-line block ×4, first 2 shown]
	s_waitcnt vmcnt(0)
	v_mad_u64_u32 v[6:7], s[28:29], v2, 24, v[4:5]
	v_mov_b32_e32 v4, v7
	v_mad_u64_u32 v[4:5], s[28:29], v3, 24, v[4:5]
	v_mov_b32_e32 v7, v4
	flat_load_dword v4, v[6:7]
	s_waitcnt vmcnt(0) lgkmcnt(0)
	v_cmp_ne_u32_e32 vcc, 1, v4
	v_cmp_eq_u32_e64 s[28:29], 1, v4
                                        ; implicit-def: $vgpr4_vgpr5
	s_and_saveexec_b64 s[90:91], s[28:29]
	s_cbranch_execz .LBB12_2942
; %bb.2941:                             ;   in Loop: Header=BB12_2922 Depth=3
	flat_load_dword v4, v[6:7] offset:4 glc
	s_waitcnt vmcnt(0) lgkmcnt(0)
	v_ashrrev_i32_e32 v5, 31, v4
	v_lshrrev_b64 v[4:5], 1, v[4:5]
.LBB12_2942:                            ;   in Loop: Header=BB12_2922 Depth=3
	s_or_b64 exec, exec, s[90:91]
	s_orn2_b64 s[28:29], vcc, exec
.LBB12_2943:                            ;   in Loop: Header=BB12_2922 Depth=3
	s_or_b64 exec, exec, s[88:89]
	s_and_saveexec_b64 s[88:89], s[28:29]
	s_cbranch_execz .LBB12_2945
; %bb.2944:                             ;   in Loop: Header=BB12_2922 Depth=3
	buffer_load_dword v4, off, s[0:3], s33 offset:564 ; 4-byte Folded Reload
	buffer_load_dword v5, off, s[0:3], s33 offset:576 ; 4-byte Folded Reload
	s_waitcnt vmcnt(0)
	v_mul_lo_u32 v3, v3, v4
	v_mul_lo_u32 v6, v2, v5
	v_mad_u64_u32 v[4:5], s[28:29], v2, v4, 0
	v_add3_u32 v5, v5, v6, v3
.LBB12_2945:                            ;   in Loop: Header=BB12_2922 Depth=3
	s_or_b64 exec, exec, s[88:89]
	v_cmp_eq_u32_e32 vcc, 0, v8
	v_mov_b32_e32 v2, 0xc8
	v_mov_b32_e32 v3, 0x90
	v_cndmask_b32_e32 v6, v2, v3, vcc
	v_lshlrev_b64 v[2:3], 1, v[4:5]
	buffer_load_dword v4, off, s[0:3], s33 offset:524 ; 4-byte Folded Reload
	buffer_load_dword v5, off, s[0:3], s33 offset:528 ; 4-byte Folded Reload
	s_waitcnt vmcnt(0)
	v_add_co_u32_e32 v2, vcc, v4, v2
	v_addc_co_u32_e32 v3, vcc, v5, v3, vcc
	v_add_u32_e32 v4, v0, v6
	ds_write_b64 v4, v[2:3] offset:584
	buffer_load_dword v2, off, s[0:3], s33 offset:156 ; 4-byte Folded Reload
	s_waitcnt vmcnt(0)
	v_and_b32_e32 v2, 0x2000, v2
	v_cmp_ne_u32_e32 vcc, 0, v2
	s_and_saveexec_b64 s[28:29], vcc
	s_cbranch_execz .LBB12_2947
; %bb.2946:                             ;   in Loop: Header=BB12_2922 Depth=3
	ds_read_b64 v[2:3], v0 offset:872
	s_waitcnt lgkmcnt(0)
	v_add_co_u32_e32 v2, vcc, 1, v2
	v_addc_co_u32_e32 v3, vcc, 0, v3, vcc
	ds_write_b64 v0, v[2:3] offset:872
.LBB12_2947:                            ;   in Loop: Header=BB12_2922 Depth=3
	s_or_b64 exec, exec, s[28:29]
	buffer_store_dword v0, off, s[0:3], s33 offset:256 ; 4-byte Folded Spill
	s_nop 0
	buffer_store_dword v1, off, s[0:3], s33 offset:260 ; 4-byte Folded Spill
.LBB12_2948:                            ;   in Loop: Header=BB12_2922 Depth=3
	s_or_b64 exec, exec, s[78:79]
	s_xor_b64 s[28:29], s[76:77], -1
	s_and_b64 s[28:29], exec, s[28:29]
	s_or_b64 s[42:43], s[28:29], s[42:43]
	s_and_saveexec_b64 s[28:29], s[10:11]
	s_cbranch_execz .LBB12_2967
; %bb.2949:                             ;   in Loop: Header=BB12_2922 Depth=3
	s_and_saveexec_b64 s[76:77], s[56:57]
	s_xor_b64 s[76:77], exec, s[76:77]
	s_cbranch_execz .LBB12_2964
; %bb.2950:                             ;   in Loop: Header=BB12_2922 Depth=3
	s_and_saveexec_b64 s[78:79], s[16:17]
	s_cbranch_execz .LBB12_2963
; %bb.2951:                             ;   in Loop: Header=BB12_2922 Depth=3
	s_mov_b64 s[90:91], exec
	v_mbcnt_lo_u32_b32 v0, s90, 0
	v_mbcnt_hi_u32_b32 v0, s91, v0
	v_cmp_eq_u32_e32 vcc, 0, v0
	s_waitcnt vmcnt(0) lgkmcnt(0)
	buffer_wbinvl1_vol
	s_and_saveexec_b64 s[88:89], vcc
	s_cbranch_execz .LBB12_2953
; %bb.2952:                             ;   in Loop: Header=BB12_2922 Depth=3
	buffer_load_dword v1, off, s[0:3], s33 offset:128 ; 4-byte Folded Reload
	buffer_load_dword v2, off, s[0:3], s33 offset:132 ; 4-byte Folded Reload
	s_bcnt1_i32_b64 s9, s[90:91]
	v_mov_b32_e32 v0, s9
	s_waitcnt vmcnt(1)
	ds_add_u64 v0, v[0:1]
	s_trap 2
.LBB12_2953:                            ;   in Loop: Header=BB12_2922 Depth=3
	s_or_b64 exec, exec, s[88:89]
	s_trap 2
	ds_read_b64 v[0:1], v0
	s_waitcnt lgkmcnt(0)
	buffer_load_dword v2, off, s[0:3], s33 offset:152 ; 4-byte Folded Reload
	buffer_load_dword v3, off, s[0:3], s33 offset:160 ; 4-byte Folded Reload
	;; [unrolled: 1-line block ×3, first 2 shown]
	s_waitcnt vmcnt(1)
	v_add_co_u32_e32 v3, vcc, v3, v2
	s_waitcnt vmcnt(0)
	v_addc_co_u32_e32 v4, vcc, 0, v4, vcc
	buffer_store_dword v3, off, s[0:3], s33 offset:160 ; 4-byte Folded Spill
	s_nop 0
	buffer_store_dword v4, off, s[0:3], s33 offset:164 ; 4-byte Folded Spill
	v_cmp_lt_u64_e32 vcc, v[0:1], v[3:4]
	s_and_saveexec_b64 s[88:89], vcc
	s_cbranch_execz .LBB12_2962
; %bb.2954:                             ;   in Loop: Header=BB12_2922 Depth=3
	s_mov_b32 s9, 0
	s_mov_b64 s[90:91], 0
                                        ; implicit-def: $sgpr92_sgpr93
                                        ; implicit-def: $sgpr94_sgpr95
	s_branch .LBB12_2956
.LBB12_2955:                            ;   in Loop: Header=BB12_2956 Depth=4
	s_or_b64 exec, exec, s[34:35]
	s_and_b64 vcc, exec, vcc
	s_or_b64 s[90:91], vcc, s[90:91]
	s_andn2_b64 s[92:93], s[92:93], exec
	s_and_b64 vcc, s[94:95], exec
	s_or_b64 s[92:93], s[92:93], vcc
	s_andn2_b64 exec, exec, s[90:91]
	s_cbranch_execz .LBB12_2960
.LBB12_2956:                            ;   Parent Loop BB12_47 Depth=1
                                        ;     Parent Loop BB12_1368 Depth=2
                                        ;       Parent Loop BB12_2922 Depth=3
                                        ; =>      This Inner Loop Header: Depth=4
	s_add_i32 s9, s9, 1
	s_cmpk_lg_i32 s9, 0x2710
	s_cselect_b64 s[30:31], -1, 0
	s_and_b64 vcc, exec, s[30:31]
	s_cbranch_vccz .LBB12_2958
; %bb.2957:                             ;   in Loop: Header=BB12_2956 Depth=4
	s_mov_b64 vcc, -1
	s_or_b64 s[94:95], s[94:95], exec
	s_and_saveexec_b64 s[34:35], s[30:31]
	s_cbranch_execz .LBB12_2955
	s_branch .LBB12_2959
.LBB12_2958:                            ;   in Loop: Header=BB12_2956 Depth=4
	s_trap 2
	ds_read_b64 v[0:1], v0
	s_andn2_b64 s[30:31], s[30:31], exec
	s_mov_b32 s9, 0
	s_waitcnt vmcnt(0) lgkmcnt(0)
	flat_load_dword v0, v[0:1] glc
	s_waitcnt vmcnt(0) lgkmcnt(0)
	buffer_wbinvl1_vol
	v_cmp_eq_u32_e32 vcc, 0, v0
	s_and_b64 vcc, vcc, exec
	s_or_b64 s[30:31], s[30:31], vcc
	s_mov_b64 vcc, -1
	s_or_b64 s[94:95], s[94:95], exec
	s_and_saveexec_b64 s[34:35], s[30:31]
	s_cbranch_execz .LBB12_2955
.LBB12_2959:                            ;   in Loop: Header=BB12_2956 Depth=4
	s_sleep 1
	s_trap 2
	ds_read_b64 v[0:1], v0
	s_waitcnt lgkmcnt(0)
	buffer_load_dword v2, off, s[0:3], s33 offset:160 ; 4-byte Folded Reload
	buffer_load_dword v3, off, s[0:3], s33 offset:164 ; 4-byte Folded Reload
	s_andn2_b64 s[94:95], s[94:95], exec
	s_waitcnt vmcnt(0)
	v_cmp_ge_u64_e32 vcc, v[0:1], v[2:3]
	s_orn2_b64 vcc, vcc, exec
	s_branch .LBB12_2955
.LBB12_2960:                            ;   in Loop: Header=BB12_2922 Depth=3
	s_or_b64 exec, exec, s[90:91]
	s_and_saveexec_b64 s[90:91], s[92:93]
	s_xor_b64 s[90:91], exec, s[90:91]
	s_cbranch_execz .LBB12_2962
; %bb.2961:                             ;   in Loop: Header=BB12_2922 Depth=3
	v_mov_b32_e32 v0, 1
	ds_write_b32 v0, v0
	s_trap 2
.LBB12_2962:                            ;   in Loop: Header=BB12_2922 Depth=3
	s_or_b64 exec, exec, s[88:89]
	;;#ASMSTART
	s_wakeup
	;;#ASMEND
.LBB12_2963:                            ;   in Loop: Header=BB12_2922 Depth=3
	s_or_b64 exec, exec, s[78:79]
.LBB12_2964:                            ;   in Loop: Header=BB12_2922 Depth=3
	s_andn2_saveexec_b64 s[76:77], s[76:77]
	s_cbranch_execz .LBB12_2966
; %bb.2965:                             ;   in Loop: Header=BB12_2922 Depth=3
	s_waitcnt vmcnt(0) lgkmcnt(0)
	buffer_wbinvl1_vol
	s_barrier
.LBB12_2966:                            ;   in Loop: Header=BB12_2922 Depth=3
	s_or_b64 exec, exec, s[76:77]
.LBB12_2967:                            ;   in Loop: Header=BB12_2922 Depth=3
	s_or_b64 exec, exec, s[28:29]
                                        ; implicit-def: $vgpr0
	s_and_saveexec_b64 s[28:29], s[62:63]
	s_xor_b64 s[28:29], exec, s[28:29]
	s_cbranch_execz .LBB12_2979
; %bb.2968:                             ;   in Loop: Header=BB12_2922 Depth=3
	s_and_saveexec_b64 s[76:77], s[56:57]
	s_xor_b64 s[76:77], exec, s[76:77]
	s_cbranch_execz .LBB12_2984
; %bb.2969:                             ;   in Loop: Header=BB12_2922 Depth=3
	s_and_saveexec_b64 s[78:79], s[16:17]
	s_cbranch_execz .LBB12_2983
; %bb.2970:                             ;   in Loop: Header=BB12_2922 Depth=3
	s_mov_b64 s[90:91], exec
	v_mbcnt_lo_u32_b32 v0, s90, 0
	v_mbcnt_hi_u32_b32 v0, s91, v0
	v_cmp_eq_u32_e32 vcc, 0, v0
	;;#ASMSTART
	s_waitcnt lgkmcnt(0) vmcnt(0)
	;;#ASMEND
	s_and_saveexec_b64 s[88:89], vcc
	s_cbranch_execz .LBB12_2972
; %bb.2971:                             ;   in Loop: Header=BB12_2922 Depth=3
	buffer_load_dword v1, off, s[0:3], s33 offset:128 ; 4-byte Folded Reload
	buffer_load_dword v2, off, s[0:3], s33 offset:132 ; 4-byte Folded Reload
	s_bcnt1_i32_b64 s9, s[90:91]
	v_mov_b32_e32 v0, s9
	s_waitcnt vmcnt(0) lgkmcnt(0)
	ds_add_u64 v0, v[0:1]
	s_trap 2
.LBB12_2972:                            ;   in Loop: Header=BB12_2922 Depth=3
	s_or_b64 exec, exec, s[88:89]
	s_trap 2
	ds_read_b64 v[0:1], v0
	s_waitcnt lgkmcnt(0)
	buffer_load_dword v2, off, s[0:3], s33 offset:152 ; 4-byte Folded Reload
	buffer_load_dword v3, off, s[0:3], s33 offset:160 ; 4-byte Folded Reload
	;; [unrolled: 1-line block ×3, first 2 shown]
	s_waitcnt vmcnt(1)
	v_add_co_u32_e32 v3, vcc, v3, v2
	s_waitcnt vmcnt(0)
	v_addc_co_u32_e32 v4, vcc, 0, v4, vcc
	buffer_store_dword v3, off, s[0:3], s33 offset:160 ; 4-byte Folded Spill
	s_nop 0
	buffer_store_dword v4, off, s[0:3], s33 offset:164 ; 4-byte Folded Spill
	v_cmp_lt_u64_e32 vcc, v[0:1], v[3:4]
	s_and_saveexec_b64 s[88:89], vcc
	s_cbranch_execz .LBB12_2982
; %bb.2973:                             ;   in Loop: Header=BB12_2922 Depth=3
	s_mov_b32 s9, 0
	s_mov_b64 s[90:91], 0
                                        ; implicit-def: $sgpr92_sgpr93
                                        ; implicit-def: $sgpr94_sgpr95
	s_branch .LBB12_2975
.LBB12_2974:                            ;   in Loop: Header=BB12_2975 Depth=4
	s_or_b64 exec, exec, s[34:35]
	s_and_b64 vcc, exec, vcc
	s_or_b64 s[90:91], vcc, s[90:91]
	s_andn2_b64 s[92:93], s[92:93], exec
	s_and_b64 vcc, s[94:95], exec
	s_or_b64 s[92:93], s[92:93], vcc
	s_andn2_b64 exec, exec, s[90:91]
	s_cbranch_execz .LBB12_2980
.LBB12_2975:                            ;   Parent Loop BB12_47 Depth=1
                                        ;     Parent Loop BB12_1368 Depth=2
                                        ;       Parent Loop BB12_2922 Depth=3
                                        ; =>      This Inner Loop Header: Depth=4
	s_add_i32 s9, s9, 1
	s_cmpk_lg_i32 s9, 0x2710
	s_cselect_b64 s[30:31], -1, 0
	s_and_b64 vcc, exec, s[30:31]
	s_cbranch_vccz .LBB12_2977
; %bb.2976:                             ;   in Loop: Header=BB12_2975 Depth=4
	s_mov_b64 vcc, -1
	s_or_b64 s[94:95], s[94:95], exec
	s_and_saveexec_b64 s[34:35], s[30:31]
	s_cbranch_execz .LBB12_2974
	s_branch .LBB12_2978
.LBB12_2977:                            ;   in Loop: Header=BB12_2975 Depth=4
	s_trap 2
	ds_read_b64 v[0:1], v0
	s_andn2_b64 s[30:31], s[30:31], exec
	s_mov_b32 s9, 0
	s_waitcnt vmcnt(0) lgkmcnt(0)
	flat_load_dword v0, v[0:1] glc
	s_waitcnt vmcnt(0) lgkmcnt(0)
	buffer_wbinvl1_vol
	v_cmp_eq_u32_e32 vcc, 0, v0
	s_and_b64 vcc, vcc, exec
	s_or_b64 s[30:31], s[30:31], vcc
	s_mov_b64 vcc, -1
	s_or_b64 s[94:95], s[94:95], exec
	s_and_saveexec_b64 s[34:35], s[30:31]
	s_cbranch_execz .LBB12_2974
.LBB12_2978:                            ;   in Loop: Header=BB12_2975 Depth=4
	s_sleep 1
	s_trap 2
	ds_read_b64 v[0:1], v0
	s_waitcnt lgkmcnt(0)
	buffer_load_dword v2, off, s[0:3], s33 offset:160 ; 4-byte Folded Reload
	buffer_load_dword v3, off, s[0:3], s33 offset:164 ; 4-byte Folded Reload
	s_andn2_b64 s[94:95], s[94:95], exec
	s_waitcnt vmcnt(0)
	v_cmp_ge_u64_e32 vcc, v[0:1], v[2:3]
	s_orn2_b64 vcc, vcc, exec
	s_branch .LBB12_2974
.LBB12_2979:                            ;   in Loop: Header=BB12_2922 Depth=3
	s_andn2_saveexec_b64 s[28:29], s[28:29]
	s_cbranch_execnz .LBB12_2987
	s_branch .LBB12_2990
.LBB12_2980:                            ;   in Loop: Header=BB12_2922 Depth=3
	s_or_b64 exec, exec, s[90:91]
	s_and_saveexec_b64 s[90:91], s[92:93]
	s_xor_b64 s[90:91], exec, s[90:91]
	s_cbranch_execz .LBB12_2982
; %bb.2981:                             ;   in Loop: Header=BB12_2922 Depth=3
	v_mov_b32_e32 v0, 1
	ds_write_b32 v0, v0
	s_trap 2
.LBB12_2982:                            ;   in Loop: Header=BB12_2922 Depth=3
	s_or_b64 exec, exec, s[88:89]
	;;#ASMSTART
	s_wakeup
	;;#ASMEND
.LBB12_2983:                            ;   in Loop: Header=BB12_2922 Depth=3
	s_or_b64 exec, exec, s[78:79]
.LBB12_2984:                            ;   in Loop: Header=BB12_2922 Depth=3
	s_andn2_saveexec_b64 s[76:77], s[76:77]
	s_cbranch_execz .LBB12_2986
; %bb.2985:                             ;   in Loop: Header=BB12_2922 Depth=3
	;;#ASMSTART
	s_waitcnt lgkmcnt(0) vmcnt(0)
	;;#ASMEND
	s_waitcnt vmcnt(0) lgkmcnt(0)
	s_barrier
.LBB12_2986:                            ;   in Loop: Header=BB12_2922 Depth=3
	s_or_b64 exec, exec, s[76:77]
	buffer_load_dword v0, off, s[0:3], s33 offset:156 ; 4-byte Folded Reload
	s_waitcnt vmcnt(0)
	v_and_b32_e32 v0, 16, v0
	s_andn2_saveexec_b64 s[28:29], s[28:29]
	s_cbranch_execz .LBB12_2990
.LBB12_2987:                            ;   in Loop: Header=BB12_2922 Depth=3
	s_trap 2
	buffer_load_dword v1, off, s[0:3], s33 offset:156 ; 4-byte Folded Reload
	ds_read_b32 v0, v0
	v_cmp_lt_i32_e32 vcc, 0, v52
	s_waitcnt lgkmcnt(0)
	v_readfirstlane_b32 s9, v0
	s_cmp_eq_u32 s9, 0
	s_cselect_b64 s[76:77], -1, 0
	s_and_b64 s[76:77], vcc, s[76:77]
	s_waitcnt vmcnt(0)
	v_and_b32_e32 v0, 16, v1
	v_and_b32_e32 v1, 16, v1
	v_cmp_ne_u32_e32 vcc, 0, v1
	s_and_b64 s[78:79], vcc, s[76:77]
	s_and_saveexec_b64 s[76:77], s[78:79]
	s_cbranch_execz .LBB12_2989
; %bb.2988:                             ;   in Loop: Header=BB12_2922 Depth=3
	v_mov_b32_e32 v0, 1
	buffer_wbinvl1_vol
.LBB12_2989:                            ;   in Loop: Header=BB12_2922 Depth=3
	s_or_b64 exec, exec, s[76:77]
.LBB12_2990:                            ;   in Loop: Header=BB12_2922 Depth=3
	s_or_b64 exec, exec, s[28:29]
	v_cmp_ne_u32_e32 vcc, 0, v0
	s_xor_b64 s[28:29], s[12:13], -1
	s_and_b64 s[76:77], vcc, s[28:29]
	s_and_saveexec_b64 s[28:29], s[76:77]
	s_cbranch_execz .LBB12_2992
; %bb.2991:                             ;   in Loop: Header=BB12_2922 Depth=3
	buffer_load_dword v0, off, s[0:3], s33 offset:548 ; 4-byte Folded Reload
	buffer_load_dword v1, off, s[0:3], s33 offset:552 ; 4-byte Folded Reload
	v_mov_b32_e32 v2, 1
	s_waitcnt vmcnt(0)
	flat_store_dword v[0:1], v2
.LBB12_2992:                            ;   in Loop: Header=BB12_2922 Depth=3
	s_or_b64 exec, exec, s[28:29]
	buffer_load_dword v0, off, s[0:3], s33 offset:156 ; 4-byte Folded Reload
	s_waitcnt vmcnt(0)
	v_and_b32_e32 v0, 48, v0
	v_cmp_ne_u32_e32 vcc, 0, v0
	s_and_saveexec_b64 s[28:29], vcc
	s_cbranch_execz .LBB12_2921
; %bb.2993:                             ;   in Loop: Header=BB12_2922 Depth=3
	buffer_load_dword v2, off, s[0:3], s33 offset:256 ; 4-byte Folded Reload
	buffer_load_dword v3, off, s[0:3], s33 offset:260 ; 4-byte Folded Reload
	;; [unrolled: 1-line block ×4, first 2 shown]
	s_waitcnt vmcnt(0)
	v_add_co_u32_e32 v2, vcc, 2, v2
	v_addc_co_u32_e32 v3, vcc, 0, v3, vcc
	buffer_store_dword v2, off, s[0:3], s33 offset:256 ; 4-byte Folded Spill
	s_nop 0
	buffer_store_dword v3, off, s[0:3], s33 offset:260 ; 4-byte Folded Spill
	flat_store_dwordx2 v[0:1], v[2:3]
	s_branch .LBB12_2921
.LBB12_2994:                            ;   in Loop: Header=BB12_47 Depth=1
	buffer_load_dword v4, off, s[0:3], s33 offset:680 ; 4-byte Folded Reload
	buffer_load_dword v5, off, s[0:3], s33 offset:684 ; 4-byte Folded Reload
	s_waitcnt vmcnt(0)
	v_mul_lo_u32 v3, v4, s53
	v_mul_lo_u32 v2, v5, s52
	v_mad_u64_u32 v[0:1], s[28:29], v4, s52, 0
	v_add3_u32 v1, v1, v3, v2
	buffer_load_dword v2, off, s[0:3], s33 offset:672 ; 4-byte Folded Reload
	buffer_load_dword v3, off, s[0:3], s33 offset:676 ; 4-byte Folded Reload
	s_waitcnt vmcnt(0)
	v_sub_co_u32_e32 v2, vcc, v2, v0
	v_subb_co_u32_e32 v3, vcc, v3, v1, vcc
	v_cmp_lt_i64_e32 vcc, v[4:5], v[2:3]
	v_cndmask_b32_e32 v3, v2, v4, vcc
	v_max_i32_e32 v4, 0, v3
	buffer_store_dword v4, off, s[0:3], s33 offset:436 ; 4-byte Folded Spill
	v_add_u32_e32 v4, 31, v4
	v_lshrrev_b32_e32 v4, 1, v4
	v_and_b32_e32 v4, 0x3ffffff0, v4
	v_max_i32_e32 v4, s70, v4
	buffer_store_dword v4, off, s[0:3], s33 offset:324 ; 4-byte Folded Spill
	s_nop 0
	buffer_store_dword v5, off, s[0:3], s33 offset:328 ; 4-byte Folded Spill
	v_cmp_lt_i32_e32 vcc, 0, v3
	v_mov_b32_e32 v2, 0
	s_and_b64 s[28:29], s[72:73], vcc
	v_mov_b32_e32 v3, 0
	buffer_store_dword v3, off, s[0:3], s33 offset:316 ; 4-byte Folded Spill
	s_nop 0
	buffer_store_dword v4, off, s[0:3], s33 offset:320 ; 4-byte Folded Spill
	s_and_saveexec_b64 s[76:77], s[28:29]
	s_cbranch_execz .LBB12_5992
; %bb.2995:                             ;   in Loop: Header=BB12_47 Depth=1
	buffer_load_dword v2, off, s[0:3], s33 offset:584 ; 4-byte Folded Reload
	buffer_load_dword v3, off, s[0:3], s33 offset:588 ; 4-byte Folded Reload
	s_mov_b32 s45, 1
	s_mov_b64 s[88:89], -1
	s_mov_b64 s[78:79], 0
	s_waitcnt vmcnt(0)
	v_add_co_u32_e32 v0, vcc, v0, v2
	v_addc_co_u32_e32 v1, vcc, v1, v3, vcc
	v_lshlrev_b64 v[0:1], 1, v[0:1]
	v_mov_b32_e32 v2, 0
	buffer_store_dword v2, off, s[0:3], s33 offset:316 ; 4-byte Folded Spill
	s_nop 0
	buffer_store_dword v3, off, s[0:3], s33 offset:320 ; 4-byte Folded Spill
	buffer_store_dword v0, off, s[0:3], s33 offset:644 ; 4-byte Folded Spill
	s_nop 0
	buffer_store_dword v1, off, s[0:3], s33 offset:648 ; 4-byte Folded Spill
	s_branch .LBB12_2997
.LBB12_2996:                            ;   in Loop: Header=BB12_2997 Depth=2
	s_or_b64 exec, exec, s[28:29]
	buffer_load_dword v0, off, s[0:3], s33 offset:324 ; 4-byte Folded Reload
	buffer_load_dword v1, off, s[0:3], s33 offset:328 ; 4-byte Folded Reload
	;; [unrolled: 1-line block ×4, first 2 shown]
	s_xor_b64 s[28:29], s[88:89], -1
	s_mov_b64 s[88:89], 0
	s_waitcnt vmcnt(0)
	v_mov_b32_e32 v2, v1
	v_add_u32_e32 v2, v0, v2
	buffer_load_dword v0, off, s[0:3], s33 offset:436 ; 4-byte Folded Reload
	v_mov_b32_e32 v1, v2
	buffer_store_dword v1, off, s[0:3], s33 offset:316 ; 4-byte Folded Spill
	s_nop 0
	buffer_store_dword v2, off, s[0:3], s33 offset:320 ; 4-byte Folded Spill
	s_waitcnt vmcnt(0)
	v_cmp_ge_i32_e32 vcc, v2, v0
	s_or_b64 s[28:29], s[28:29], vcc
	s_and_b64 s[28:29], exec, s[28:29]
	s_or_b64 s[78:79], s[28:29], s[78:79]
	v_mov_b32_e32 v2, s45
	s_mov_b32 s45, 2
	s_andn2_b64 exec, exec, s[78:79]
	s_cbranch_execz .LBB12_6067
.LBB12_2997:                            ;   Parent Loop BB12_47 Depth=1
                                        ; =>  This Loop Header: Depth=2
                                        ;       Child Loop BB12_3005 Depth 3
                                        ;       Child Loop BB12_3033 Depth 3
	;; [unrolled: 1-line block ×5, first 2 shown]
                                        ;         Child Loop BB12_3860 Depth 4
                                        ;         Child Loop BB12_3927 Depth 4
	;; [unrolled: 1-line block ×4, first 2 shown]
                                        ;       Child Loop BB12_4067 Depth 3
                                        ;       Child Loop BB12_4075 Depth 3
	;; [unrolled: 1-line block ×3, first 2 shown]
                                        ;         Child Loop BB12_4473 Depth 4
                                        ;         Child Loop BB12_4484 Depth 4
	;; [unrolled: 1-line block ×4, first 2 shown]
                                        ;       Child Loop BB12_4511 Depth 3
                                        ;       Child Loop BB12_4523 Depth 3
	;; [unrolled: 1-line block ×3, first 2 shown]
                                        ;         Child Loop BB12_5307 Depth 4
                                        ;         Child Loop BB12_5376 Depth 4
                                        ;       Child Loop BB12_5517 Depth 3
                                        ;       Child Loop BB12_5912 Depth 3
                                        ;         Child Loop BB12_5913 Depth 4
                                        ;         Child Loop BB12_5926 Depth 4
                                        ;       Child Loop BB12_5954 Depth 3
                                        ;       Child Loop BB12_5977 Depth 3
	s_and_saveexec_b64 s[28:29], s[4:5]
	s_cbranch_execz .LBB12_2999
; %bb.2998:                             ;   in Loop: Header=BB12_2997 Depth=2
	s_trap 2
	ds_read2_b64 v[0:3], v0 offset1:1
	buffer_load_dword v8, off, s[0:3], s33 offset:644 ; 4-byte Folded Reload
	buffer_load_dword v9, off, s[0:3], s33 offset:648 ; 4-byte Folded Reload
	s_waitcnt vmcnt(0) lgkmcnt(0)
	v_add_co_u32_e32 v4, vcc, v0, v8
	v_addc_co_u32_e32 v5, vcc, v1, v9, vcc
	buffer_load_dword v0, off, s[0:3], s33 offset:316 ; 4-byte Folded Reload
	buffer_load_dword v1, off, s[0:3], s33 offset:320 ; 4-byte Folded Reload
	s_waitcnt vmcnt(1)
	v_mov_b32_e32 v6, v0
	v_ashrrev_i32_e32 v7, 31, v6
	buffer_store_dword v0, off, s[0:3], s33 offset:316 ; 4-byte Folded Spill
	s_waitcnt vmcnt(1)
	buffer_store_dword v1, off, s[0:3], s33 offset:320 ; 4-byte Folded Spill
	v_lshlrev_b64 v[0:1], 1, v[6:7]
	v_add_co_u32_e32 v4, vcc, v4, v0
	v_addc_co_u32_e32 v5, vcc, v5, v1, vcc
	v_add_co_u32_e32 v2, vcc, v2, v8
	v_addc_co_u32_e32 v3, vcc, v3, v9, vcc
	;; [unrolled: 2-line block ×3, first 2 shown]
	ds_write_b64 v0, v[2:3]
	ds_read_b64 v[2:3], v0
	ds_write_b64 v0, v[4:5]
	s_waitcnt lgkmcnt(1)
	v_add_co_u32_e32 v4, vcc, v2, v8
	v_addc_co_u32_e32 v5, vcc, v3, v9, vcc
	v_add_co_u32_e32 v0, vcc, v4, v0
	v_addc_co_u32_e32 v1, vcc, v5, v1, vcc
	v_cmp_ne_u64_e32 vcc, 0, v[2:3]
	v_cndmask_b32_e32 v1, 0, v1, vcc
	v_cndmask_b32_e32 v0, 0, v0, vcc
	ds_write_b64 v0, v[0:1]
.LBB12_2999:                            ;   in Loop: Header=BB12_2997 Depth=2
	s_or_b64 exec, exec, s[28:29]
	buffer_load_dword v0, off, s[0:3], s33 offset:436 ; 4-byte Folded Reload
	buffer_load_dword v1, off, s[0:3], s33 offset:316 ; 4-byte Folded Reload
	;; [unrolled: 1-line block ×3, first 2 shown]
	s_waitcnt vmcnt(0)
	v_sub_u32_e32 v0, v0, v1
	buffer_load_dword v1, off, s[0:3], s33 offset:324 ; 4-byte Folded Reload
	buffer_load_dword v2, off, s[0:3], s33 offset:328 ; 4-byte Folded Reload
	s_waitcnt vmcnt(0)
	v_min_i32_e32 v1, v1, v0
	buffer_store_dword v1, off, s[0:3], s33 offset:324 ; 4-byte Folded Spill
	s_nop 0
	buffer_store_dword v2, off, s[0:3], s33 offset:328 ; 4-byte Folded Spill
	buffer_load_dword v0, off, s[0:3], s33 offset:156 ; 4-byte Folded Reload
	s_waitcnt vmcnt(0)
	v_and_b32_e32 v0, 12, v0
	v_cmp_ne_u32_e32 vcc, 0, v0
	s_and_saveexec_b64 s[40:41], vcc
	s_cbranch_execz .LBB12_3025
; %bb.3000:                             ;   in Loop: Header=BB12_2997 Depth=2
	buffer_load_dword v0, off, s[0:3], s33 offset:156 ; 4-byte Folded Reload
	s_waitcnt vmcnt(0)
	v_and_b32_e32 v6, 8, v0
	buffer_load_dword v0, off, s[0:3], s33 offset:136 ; 4-byte Folded Reload
	buffer_load_dword v1, off, s[0:3], s33 offset:140 ; 4-byte Folded Reload
	s_waitcnt vmcnt(0)
	v_add_co_u32_e32 v2, vcc, v0, v6
	v_addc_co_u32_e32 v3, vcc, 0, v1, vcc
	buffer_load_dword v0, off, s[0:3], s33 offset:256 ; 4-byte Folded Reload
	buffer_load_dword v1, off, s[0:3], s33 offset:260 ; 4-byte Folded Reload
	s_waitcnt vmcnt(0)
	v_add_co_u32_e32 v0, vcc, 2, v0
	v_addc_co_u32_e32 v1, vcc, 0, v1, vcc
	v_cmp_lt_u64_e32 vcc, v[2:3], v[0:1]
	s_and_saveexec_b64 s[42:43], vcc
	s_cbranch_execz .LBB12_3012
; %bb.3001:                             ;   in Loop: Header=BB12_2997 Depth=2
	buffer_load_dword v2, off, s[0:3], s33 offset:156 ; 4-byte Folded Reload
	s_mov_b32 s75, 0
	s_mov_b64 s[90:91], 0
                                        ; implicit-def: $sgpr92_sgpr93
                                        ; implicit-def: $sgpr94_sgpr95
                                        ; implicit-def: $sgpr30_sgpr31
	s_waitcnt vmcnt(0)
	v_and_b32_e32 v2, 64, v2
	v_cmp_eq_u32_e32 vcc, 0, v2
	s_branch .LBB12_3005
.LBB12_3002:                            ;   in Loop: Header=BB12_3005 Depth=3
	buffer_load_dword v3, off, s[0:3], s33 offset:136 ; 4-byte Folded Reload
	buffer_load_dword v4, off, s[0:3], s33 offset:140 ; 4-byte Folded Reload
	s_or_b64 s[38:39], s[38:39], exec
	s_waitcnt vmcnt(1)
	v_add_co_u32_e64 v3, s[28:29], v3, v6
	s_waitcnt vmcnt(0)
	v_addc_co_u32_e64 v4, s[28:29], 0, v4, s[28:29]
	v_cmp_ge_u64_e64 s[28:29], v[3:4], v[0:1]
	s_orn2_b64 s[36:37], s[28:29], exec
.LBB12_3003:                            ;   in Loop: Header=BB12_3005 Depth=3
	s_or_b64 exec, exec, s[50:51]
	s_andn2_b64 s[28:29], s[30:31], exec
	s_and_b64 s[30:31], s[38:39], exec
	s_or_b64 s[30:31], s[28:29], s[30:31]
	s_andn2_b64 s[28:29], s[94:95], exec
	s_and_b64 s[94:95], s[36:37], exec
	s_or_b64 s[94:95], s[28:29], s[94:95]
.LBB12_3004:                            ;   in Loop: Header=BB12_3005 Depth=3
	s_or_b64 exec, exec, s[34:35]
	s_and_b64 s[28:29], exec, s[94:95]
	s_or_b64 s[90:91], s[28:29], s[90:91]
	s_andn2_b64 s[28:29], s[92:93], exec
	s_and_b64 s[92:93], s[30:31], exec
	s_or_b64 s[92:93], s[28:29], s[92:93]
	s_andn2_b64 exec, exec, s[90:91]
	s_cbranch_execz .LBB12_3009
.LBB12_3005:                            ;   Parent Loop BB12_47 Depth=1
                                        ;     Parent Loop BB12_2997 Depth=2
                                        ; =>    This Inner Loop Header: Depth=3
	s_sleep 1
	buffer_load_dword v2, off, s[0:3], s33 offset:144 ; 4-byte Folded Reload
	buffer_load_dword v3, off, s[0:3], s33 offset:148 ; 4-byte Folded Reload
	s_or_b64 s[30:31], s[30:31], exec
	s_or_b64 s[94:95], s[94:95], exec
	s_waitcnt vmcnt(0)
	flat_load_dwordx2 v[2:3], v[2:3] glc
	s_waitcnt vmcnt(0) lgkmcnt(0)
	buffer_store_dword v2, off, s[0:3], s33 offset:136 ; 4-byte Folded Spill
	s_nop 0
	buffer_store_dword v3, off, s[0:3], s33 offset:140 ; 4-byte Folded Spill
                                        ; implicit-def: $vgpr2
	s_and_saveexec_b64 s[34:35], vcc
	s_cbranch_execz .LBB12_3004
; %bb.3006:                             ;   in Loop: Header=BB12_3005 Depth=3
	s_cmpk_lt_i32 s75, 0x270f
	s_cselect_b64 s[48:49], -1, 0
	s_cmpk_gt_i32 s75, 0x270e
	s_mov_b64 s[36:37], -1
	s_cbranch_scc0 .LBB12_3008
; %bb.3007:                             ;   in Loop: Header=BB12_3005 Depth=3
	s_trap 2
	ds_read_b64 v[2:3], v0
	s_andn2_b64 s[48:49], s[48:49], exec
	s_mov_b32 s75, 0
	s_mov_b64 s[38:39], 0
	s_waitcnt vmcnt(0) lgkmcnt(0)
	flat_load_dword v2, v[2:3] glc
	s_waitcnt vmcnt(0) lgkmcnt(0)
	buffer_wbinvl1_vol
	v_cmp_eq_u32_e64 s[28:29], 0, v2
	s_and_b64 s[28:29], s[28:29], exec
	s_or_b64 s[48:49], s[48:49], s[28:29]
	s_and_saveexec_b64 s[50:51], s[48:49]
	s_cbranch_execz .LBB12_3003
	s_branch .LBB12_3002
.LBB12_3008:                            ;   in Loop: Header=BB12_3005 Depth=3
	s_add_i32 s75, s75, 1
	s_mov_b64 s[38:39], -1
                                        ; implicit-def: $vgpr2
	s_and_saveexec_b64 s[50:51], s[48:49]
	s_cbranch_execz .LBB12_3003
	s_branch .LBB12_3002
.LBB12_3009:                            ;   in Loop: Header=BB12_2997 Depth=2
	s_or_b64 exec, exec, s[90:91]
	s_xor_b64 s[28:29], s[92:93], -1
	s_and_saveexec_b64 s[90:91], s[28:29]
	s_xor_b64 s[28:29], exec, s[90:91]
	s_cbranch_execz .LBB12_3011
; %bb.3010:                             ;   in Loop: Header=BB12_2997 Depth=2
	ds_write_b32 v0, v2
	s_trap 2
	buffer_load_dword v2, off, s[0:3], s33 offset:156 ; 4-byte Folded Reload
	s_waitcnt vmcnt(0)
	v_or_b32_e32 v2, 64, v2
	buffer_store_dword v2, off, s[0:3], s33 offset:156 ; 4-byte Folded Spill
.LBB12_3011:                            ;   in Loop: Header=BB12_2997 Depth=2
	s_or_b64 exec, exec, s[28:29]
.LBB12_3012:                            ;   in Loop: Header=BB12_2997 Depth=2
	s_or_b64 exec, exec, s[42:43]
	;;#ASMSTART
	s_wakeup
	;;#ASMEND
	buffer_load_dword v2, off, s[0:3], s33 offset:156 ; 4-byte Folded Reload
	s_waitcnt vmcnt(0)
	v_and_b32_e32 v2, 0x108, v2
	v_cmp_ne_u32_e32 vcc, s44, v2
	buffer_load_dword v2, off, s[0:3], s33 offset:256 ; 4-byte Folded Reload
	buffer_load_dword v3, off, s[0:3], s33 offset:260 ; 4-byte Folded Reload
	s_waitcnt vmcnt(0)
	v_and_b32_e32 v7, 7, v2
	s_and_saveexec_b64 s[28:29], vcc
	s_xor_b64 s[28:29], exec, s[28:29]
                                        ; implicit-def: $vgpr8
	s_cbranch_execz .LBB12_3014
; %bb.3013:                             ;   in Loop: Header=BB12_2997 Depth=2
	buffer_load_dword v2, off, s[0:3], s33 offset:128 ; 4-byte Folded Reload
	buffer_load_dword v3, off, s[0:3], s33 offset:132 ; 4-byte Folded Reload
	s_waitcnt vmcnt(0)
	v_mov_b32_e32 v8, v2
.LBB12_3014:                            ;   in Loop: Header=BB12_2997 Depth=2
	s_andn2_saveexec_b64 s[28:29], s[28:29]
	s_cbranch_execz .LBB12_3016
; %bb.3015:                             ;   in Loop: Header=BB12_2997 Depth=2
	buffer_load_dword v2, off, s[0:3], s33 offset:532 ; 4-byte Folded Reload
	buffer_load_dword v3, off, s[0:3], s33 offset:536 ; 4-byte Folded Reload
	;; [unrolled: 1-line block ×6, first 2 shown]
	s_waitcnt vmcnt(0)
	v_mad_u64_u32 v[2:3], s[42:43], v7, 24, v[2:3]
	v_mov_b32_e32 v8, v4
	v_ashrrev_i32_e32 v9, 31, v8
	buffer_store_dword v4, off, s[0:3], s33 offset:324 ; 4-byte Folded Spill
	s_nop 0
	buffer_store_dword v5, off, s[0:3], s33 offset:328 ; 4-byte Folded Spill
	v_lshlrev_b64 v[4:5], 1, v[8:9]
	buffer_load_dword v8, off, s[0:3], s33 offset:128 ; 4-byte Folded Reload
	buffer_load_dword v9, off, s[0:3], s33 offset:132 ; 4-byte Folded Reload
	s_nop 0
	flat_store_dwordx2 v[2:3], v[4:5] offset:8
.LBB12_3016:                            ;   in Loop: Header=BB12_2997 Depth=2
	s_or_b64 exec, exec, s[28:29]
	buffer_load_dword v2, off, s[0:3], s33 offset:156 ; 4-byte Folded Reload
	s_mov_b64 s[28:29], -1
	s_waitcnt vmcnt(0)
	v_and_b32_e32 v2, 0x100, v2
	v_cmp_ne_u32_e32 vcc, 0, v2
                                        ; implicit-def: $vgpr2_vgpr3
	s_and_saveexec_b64 s[42:43], vcc
	s_cbranch_execz .LBB12_3020
; %bb.3017:                             ;   in Loop: Header=BB12_2997 Depth=2
	buffer_load_dword v2, off, s[0:3], s33 offset:532 ; 4-byte Folded Reload
	buffer_load_dword v3, off, s[0:3], s33 offset:536 ; 4-byte Folded Reload
	;; [unrolled: 1-line block ×4, first 2 shown]
	s_waitcnt vmcnt(0)
	v_mad_u64_u32 v[4:5], s[28:29], v7, 24, v[2:3]
	v_mov_b32_e32 v2, v5
	v_mad_u64_u32 v[2:3], s[28:29], v8, 24, v[2:3]
	v_mov_b32_e32 v5, v2
	flat_load_dword v2, v[4:5]
	s_waitcnt vmcnt(0) lgkmcnt(0)
	v_cmp_ne_u32_e32 vcc, 1, v2
	v_cmp_eq_u32_e64 s[28:29], 1, v2
                                        ; implicit-def: $vgpr2_vgpr3
	s_and_saveexec_b64 s[90:91], s[28:29]
	s_cbranch_execz .LBB12_3019
; %bb.3018:                             ;   in Loop: Header=BB12_2997 Depth=2
	flat_load_dword v2, v[4:5] offset:4 glc
	s_waitcnt vmcnt(0) lgkmcnt(0)
	v_ashrrev_i32_e32 v3, 31, v2
	v_lshrrev_b64 v[2:3], 1, v[2:3]
.LBB12_3019:                            ;   in Loop: Header=BB12_2997 Depth=2
	s_or_b64 exec, exec, s[90:91]
	s_orn2_b64 s[28:29], vcc, exec
.LBB12_3020:                            ;   in Loop: Header=BB12_2997 Depth=2
	s_or_b64 exec, exec, s[42:43]
	s_and_saveexec_b64 s[42:43], s[28:29]
	s_cbranch_execz .LBB12_3022
; %bb.3021:                             ;   in Loop: Header=BB12_2997 Depth=2
	buffer_load_dword v2, off, s[0:3], s33 offset:564 ; 4-byte Folded Reload
	buffer_load_dword v3, off, s[0:3], s33 offset:576 ; 4-byte Folded Reload
	s_waitcnt vmcnt(0)
	v_mul_lo_u32 v4, v8, v2
	v_mul_lo_u32 v5, v7, v3
	v_mad_u64_u32 v[2:3], s[28:29], v7, v2, 0
	v_add3_u32 v3, v3, v5, v4
.LBB12_3022:                            ;   in Loop: Header=BB12_2997 Depth=2
	s_or_b64 exec, exec, s[42:43]
	v_cmp_eq_u32_e32 vcc, 0, v6
	v_mov_b32_e32 v4, 0x90
	v_mov_b32_e32 v5, 0xd0
	v_cndmask_b32_e32 v4, v5, v4, vcc
	buffer_load_dword v5, off, s[0:3], s33 offset:524 ; 4-byte Folded Reload
	buffer_load_dword v6, off, s[0:3], s33 offset:528 ; 4-byte Folded Reload
	v_lshlrev_b64 v[2:3], 1, v[2:3]
	v_add_u32_e32 v4, v0, v4
	s_waitcnt vmcnt(0)
	v_add_co_u32_e32 v2, vcc, v5, v2
	v_addc_co_u32_e32 v3, vcc, v6, v3, vcc
	ds_write_b64 v4, v[2:3] offset:584
	buffer_load_dword v2, off, s[0:3], s33 offset:156 ; 4-byte Folded Reload
	s_waitcnt vmcnt(0)
	v_and_b32_e32 v2, 0x2000, v2
	v_cmp_ne_u32_e32 vcc, 0, v2
	s_and_saveexec_b64 s[28:29], vcc
	s_cbranch_execz .LBB12_3024
; %bb.3023:                             ;   in Loop: Header=BB12_2997 Depth=2
	ds_read_b64 v[2:3], v0 offset:872
	s_waitcnt lgkmcnt(0)
	v_add_co_u32_e32 v2, vcc, 1, v2
	v_addc_co_u32_e32 v3, vcc, 0, v3, vcc
	ds_write_b64 v0, v[2:3] offset:872
.LBB12_3024:                            ;   in Loop: Header=BB12_2997 Depth=2
	s_or_b64 exec, exec, s[28:29]
	buffer_store_dword v0, off, s[0:3], s33 offset:256 ; 4-byte Folded Spill
	s_nop 0
	buffer_store_dword v1, off, s[0:3], s33 offset:260 ; 4-byte Folded Spill
.LBB12_3025:                            ;   in Loop: Header=BB12_2997 Depth=2
	s_or_b64 exec, exec, s[40:41]
	s_and_saveexec_b64 s[28:29], s[10:11]
	s_cbranch_execz .LBB12_3044
; %bb.3026:                             ;   in Loop: Header=BB12_2997 Depth=2
	s_and_saveexec_b64 s[40:41], s[56:57]
	s_xor_b64 s[40:41], exec, s[40:41]
	s_cbranch_execz .LBB12_3041
; %bb.3027:                             ;   in Loop: Header=BB12_2997 Depth=2
	s_and_saveexec_b64 s[42:43], s[16:17]
	s_cbranch_execz .LBB12_3040
; %bb.3028:                             ;   in Loop: Header=BB12_2997 Depth=2
	s_mov_b64 s[92:93], exec
	v_mbcnt_lo_u32_b32 v0, s92, 0
	v_mbcnt_hi_u32_b32 v0, s93, v0
	v_cmp_eq_u32_e32 vcc, 0, v0
	s_waitcnt vmcnt(0) lgkmcnt(0)
	buffer_wbinvl1_vol
	s_and_saveexec_b64 s[90:91], vcc
	s_cbranch_execz .LBB12_3030
; %bb.3029:                             ;   in Loop: Header=BB12_2997 Depth=2
	buffer_load_dword v1, off, s[0:3], s33 offset:128 ; 4-byte Folded Reload
	buffer_load_dword v2, off, s[0:3], s33 offset:132 ; 4-byte Folded Reload
	s_bcnt1_i32_b64 s9, s[92:93]
	v_mov_b32_e32 v0, s9
	s_waitcnt vmcnt(1)
	ds_add_u64 v0, v[0:1]
	s_trap 2
.LBB12_3030:                            ;   in Loop: Header=BB12_2997 Depth=2
	s_or_b64 exec, exec, s[90:91]
	s_trap 2
	ds_read_b64 v[0:1], v0
	s_waitcnt lgkmcnt(0)
	buffer_load_dword v2, off, s[0:3], s33 offset:152 ; 4-byte Folded Reload
	buffer_load_dword v3, off, s[0:3], s33 offset:160 ; 4-byte Folded Reload
	buffer_load_dword v4, off, s[0:3], s33 offset:164 ; 4-byte Folded Reload
	s_waitcnt vmcnt(1)
	v_add_co_u32_e32 v3, vcc, v3, v2
	s_waitcnt vmcnt(0)
	v_addc_co_u32_e32 v4, vcc, 0, v4, vcc
	buffer_store_dword v3, off, s[0:3], s33 offset:160 ; 4-byte Folded Spill
	s_nop 0
	buffer_store_dword v4, off, s[0:3], s33 offset:164 ; 4-byte Folded Spill
	v_cmp_lt_u64_e32 vcc, v[0:1], v[3:4]
	s_and_saveexec_b64 s[90:91], vcc
	s_cbranch_execz .LBB12_3039
; %bb.3031:                             ;   in Loop: Header=BB12_2997 Depth=2
	s_mov_b32 s9, 0
	s_mov_b64 s[92:93], 0
                                        ; implicit-def: $sgpr94_sgpr95
                                        ; implicit-def: $sgpr30_sgpr31
	s_branch .LBB12_3033
.LBB12_3032:                            ;   in Loop: Header=BB12_3033 Depth=3
	s_or_b64 exec, exec, s[36:37]
	s_and_b64 vcc, exec, vcc
	s_or_b64 s[92:93], vcc, s[92:93]
	s_andn2_b64 s[94:95], s[94:95], exec
	s_and_b64 vcc, s[30:31], exec
	s_or_b64 s[94:95], s[94:95], vcc
	s_andn2_b64 exec, exec, s[92:93]
	s_cbranch_execz .LBB12_3037
.LBB12_3033:                            ;   Parent Loop BB12_47 Depth=1
                                        ;     Parent Loop BB12_2997 Depth=2
                                        ; =>    This Inner Loop Header: Depth=3
	s_add_i32 s9, s9, 1
	s_cmpk_lg_i32 s9, 0x2710
	s_cselect_b64 s[34:35], -1, 0
	s_and_b64 vcc, exec, s[34:35]
	s_cbranch_vccz .LBB12_3035
; %bb.3034:                             ;   in Loop: Header=BB12_3033 Depth=3
	s_mov_b64 vcc, -1
	s_or_b64 s[30:31], s[30:31], exec
	s_and_saveexec_b64 s[36:37], s[34:35]
	s_cbranch_execz .LBB12_3032
	s_branch .LBB12_3036
.LBB12_3035:                            ;   in Loop: Header=BB12_3033 Depth=3
	s_trap 2
	ds_read_b64 v[0:1], v0
	s_andn2_b64 s[34:35], s[34:35], exec
	s_mov_b32 s9, 0
	s_waitcnt vmcnt(0) lgkmcnt(0)
	flat_load_dword v0, v[0:1] glc
	s_waitcnt vmcnt(0) lgkmcnt(0)
	buffer_wbinvl1_vol
	v_cmp_eq_u32_e32 vcc, 0, v0
	s_and_b64 vcc, vcc, exec
	s_or_b64 s[34:35], s[34:35], vcc
	s_mov_b64 vcc, -1
	s_or_b64 s[30:31], s[30:31], exec
	s_and_saveexec_b64 s[36:37], s[34:35]
	s_cbranch_execz .LBB12_3032
.LBB12_3036:                            ;   in Loop: Header=BB12_3033 Depth=3
	s_sleep 1
	s_trap 2
	ds_read_b64 v[0:1], v0
	s_waitcnt lgkmcnt(0)
	buffer_load_dword v2, off, s[0:3], s33 offset:160 ; 4-byte Folded Reload
	buffer_load_dword v3, off, s[0:3], s33 offset:164 ; 4-byte Folded Reload
	s_andn2_b64 s[30:31], s[30:31], exec
	s_waitcnt vmcnt(0)
	v_cmp_ge_u64_e32 vcc, v[0:1], v[2:3]
	s_orn2_b64 vcc, vcc, exec
	s_branch .LBB12_3032
.LBB12_3037:                            ;   in Loop: Header=BB12_2997 Depth=2
	s_or_b64 exec, exec, s[92:93]
	s_and_saveexec_b64 s[92:93], s[94:95]
	s_xor_b64 s[92:93], exec, s[92:93]
	s_cbranch_execz .LBB12_3039
; %bb.3038:                             ;   in Loop: Header=BB12_2997 Depth=2
	v_mov_b32_e32 v0, 1
	ds_write_b32 v0, v0
	s_trap 2
.LBB12_3039:                            ;   in Loop: Header=BB12_2997 Depth=2
	s_or_b64 exec, exec, s[90:91]
	;;#ASMSTART
	s_wakeup
	;;#ASMEND
.LBB12_3040:                            ;   in Loop: Header=BB12_2997 Depth=2
	s_or_b64 exec, exec, s[42:43]
.LBB12_3041:                            ;   in Loop: Header=BB12_2997 Depth=2
	s_andn2_saveexec_b64 s[40:41], s[40:41]
	s_cbranch_execz .LBB12_3043
; %bb.3042:                             ;   in Loop: Header=BB12_2997 Depth=2
	s_waitcnt vmcnt(0) lgkmcnt(0)
	buffer_wbinvl1_vol
	s_barrier
.LBB12_3043:                            ;   in Loop: Header=BB12_2997 Depth=2
	s_or_b64 exec, exec, s[40:41]
.LBB12_3044:                            ;   in Loop: Header=BB12_2997 Depth=2
	s_or_b64 exec, exec, s[28:29]
	s_trap 2
	buffer_load_dword v1, off, s[0:3], s33 offset:156 ; 4-byte Folded Reload
	ds_read_b32 v0, v0
	s_xor_b64 s[28:29], s[6:7], -1
	s_waitcnt vmcnt(0)
	v_and_b32_e32 v1, 0x4000, v1
	v_cmp_ne_u32_e32 vcc, 0, v1
	s_and_b64 s[40:41], s[28:29], vcc
	s_and_saveexec_b64 s[28:29], s[40:41]
	s_cbranch_execz .LBB12_3063
; %bb.3045:                             ;   in Loop: Header=BB12_2997 Depth=2
	s_and_saveexec_b64 s[40:41], s[56:57]
	s_xor_b64 s[40:41], exec, s[40:41]
	s_cbranch_execz .LBB12_3060
; %bb.3046:                             ;   in Loop: Header=BB12_2997 Depth=2
	s_and_saveexec_b64 s[42:43], s[16:17]
	s_cbranch_execz .LBB12_3059
; %bb.3047:                             ;   in Loop: Header=BB12_2997 Depth=2
	s_mov_b64 s[92:93], exec
	v_mbcnt_lo_u32_b32 v1, s92, 0
	v_mbcnt_hi_u32_b32 v1, s93, v1
	v_cmp_eq_u32_e32 vcc, 0, v1
	s_waitcnt lgkmcnt(0)
	buffer_wbinvl1_vol
	s_and_saveexec_b64 s[90:91], vcc
	s_cbranch_execz .LBB12_3049
; %bb.3048:                             ;   in Loop: Header=BB12_2997 Depth=2
	buffer_load_dword v2, off, s[0:3], s33 offset:128 ; 4-byte Folded Reload
	buffer_load_dword v3, off, s[0:3], s33 offset:132 ; 4-byte Folded Reload
	s_bcnt1_i32_b64 s9, s[92:93]
	v_mov_b32_e32 v1, s9
	s_waitcnt vmcnt(1)
	ds_add_u64 v0, v[1:2]
	s_trap 2
.LBB12_3049:                            ;   in Loop: Header=BB12_2997 Depth=2
	s_or_b64 exec, exec, s[90:91]
	s_trap 2
	ds_read_b64 v[1:2], v0
	s_waitcnt lgkmcnt(0)
	buffer_load_dword v3, off, s[0:3], s33 offset:152 ; 4-byte Folded Reload
	buffer_load_dword v4, off, s[0:3], s33 offset:160 ; 4-byte Folded Reload
	;; [unrolled: 1-line block ×3, first 2 shown]
	s_waitcnt vmcnt(1)
	v_add_co_u32_e32 v4, vcc, v4, v3
	s_waitcnt vmcnt(0)
	v_addc_co_u32_e32 v5, vcc, 0, v5, vcc
	buffer_store_dword v4, off, s[0:3], s33 offset:160 ; 4-byte Folded Spill
	s_nop 0
	buffer_store_dword v5, off, s[0:3], s33 offset:164 ; 4-byte Folded Spill
	v_cmp_lt_u64_e32 vcc, v[1:2], v[4:5]
	s_and_saveexec_b64 s[90:91], vcc
	s_cbranch_execz .LBB12_3058
; %bb.3050:                             ;   in Loop: Header=BB12_2997 Depth=2
	s_mov_b32 s9, 0
	s_mov_b64 s[92:93], 0
                                        ; implicit-def: $sgpr94_sgpr95
                                        ; implicit-def: $sgpr30_sgpr31
	s_branch .LBB12_3052
.LBB12_3051:                            ;   in Loop: Header=BB12_3052 Depth=3
	s_or_b64 exec, exec, s[36:37]
	s_and_b64 vcc, exec, vcc
	s_or_b64 s[92:93], vcc, s[92:93]
	s_andn2_b64 s[94:95], s[94:95], exec
	s_and_b64 vcc, s[30:31], exec
	s_or_b64 s[94:95], s[94:95], vcc
	s_andn2_b64 exec, exec, s[92:93]
	s_cbranch_execz .LBB12_3056
.LBB12_3052:                            ;   Parent Loop BB12_47 Depth=1
                                        ;     Parent Loop BB12_2997 Depth=2
                                        ; =>    This Inner Loop Header: Depth=3
	s_add_i32 s9, s9, 1
	s_cmpk_lg_i32 s9, 0x2710
	s_cselect_b64 s[34:35], -1, 0
	s_and_b64 vcc, exec, s[34:35]
	s_cbranch_vccz .LBB12_3054
; %bb.3053:                             ;   in Loop: Header=BB12_3052 Depth=3
	s_mov_b64 vcc, -1
	s_or_b64 s[30:31], s[30:31], exec
	s_and_saveexec_b64 s[36:37], s[34:35]
	s_cbranch_execz .LBB12_3051
	s_branch .LBB12_3055
.LBB12_3054:                            ;   in Loop: Header=BB12_3052 Depth=3
	s_trap 2
	ds_read_b64 v[1:2], v0
	s_andn2_b64 s[34:35], s[34:35], exec
	s_mov_b32 s9, 0
	s_waitcnt vmcnt(0) lgkmcnt(0)
	flat_load_dword v1, v[1:2] glc
	s_waitcnt vmcnt(0) lgkmcnt(0)
	buffer_wbinvl1_vol
	v_cmp_eq_u32_e32 vcc, 0, v1
	s_and_b64 vcc, vcc, exec
	s_or_b64 s[34:35], s[34:35], vcc
	s_mov_b64 vcc, -1
	s_or_b64 s[30:31], s[30:31], exec
	s_and_saveexec_b64 s[36:37], s[34:35]
	s_cbranch_execz .LBB12_3051
.LBB12_3055:                            ;   in Loop: Header=BB12_3052 Depth=3
	s_sleep 1
	s_trap 2
	ds_read_b64 v[1:2], v0
	s_waitcnt lgkmcnt(0)
	buffer_load_dword v3, off, s[0:3], s33 offset:160 ; 4-byte Folded Reload
	buffer_load_dword v4, off, s[0:3], s33 offset:164 ; 4-byte Folded Reload
	s_andn2_b64 s[30:31], s[30:31], exec
	s_waitcnt vmcnt(0)
	v_cmp_ge_u64_e32 vcc, v[1:2], v[3:4]
	s_orn2_b64 vcc, vcc, exec
	s_branch .LBB12_3051
.LBB12_3056:                            ;   in Loop: Header=BB12_2997 Depth=2
	s_or_b64 exec, exec, s[92:93]
	s_and_saveexec_b64 s[92:93], s[94:95]
	s_xor_b64 s[92:93], exec, s[92:93]
	s_cbranch_execz .LBB12_3058
; %bb.3057:                             ;   in Loop: Header=BB12_2997 Depth=2
	v_mov_b32_e32 v1, 1
	ds_write_b32 v0, v1
	s_trap 2
.LBB12_3058:                            ;   in Loop: Header=BB12_2997 Depth=2
	s_or_b64 exec, exec, s[90:91]
	;;#ASMSTART
	s_wakeup
	;;#ASMEND
.LBB12_3059:                            ;   in Loop: Header=BB12_2997 Depth=2
	s_or_b64 exec, exec, s[42:43]
.LBB12_3060:                            ;   in Loop: Header=BB12_2997 Depth=2
	s_andn2_saveexec_b64 s[40:41], s[40:41]
	s_cbranch_execz .LBB12_3062
; %bb.3061:                             ;   in Loop: Header=BB12_2997 Depth=2
	s_waitcnt vmcnt(0) lgkmcnt(0)
	buffer_wbinvl1_vol
	s_barrier
.LBB12_3062:                            ;   in Loop: Header=BB12_2997 Depth=2
	s_or_b64 exec, exec, s[40:41]
.LBB12_3063:                            ;   in Loop: Header=BB12_2997 Depth=2
	s_or_b64 exec, exec, s[28:29]
	s_trap 2
	s_waitcnt lgkmcnt(0)
	ds_read_b64 v[1:2], v0
	s_waitcnt lgkmcnt(0)
	v_cmp_eq_u64_e32 vcc, 0, v[1:2]
	s_cbranch_vccnz .LBB12_3593
; %bb.3064:                             ;   in Loop: Header=BB12_2997 Depth=2
	s_trap 2
	ds_read_b64 v[3:4], v0
	s_waitcnt lgkmcnt(0)
	buffer_store_dword v3, off, s[0:3], s33 offset:620 ; 4-byte Folded Spill
	s_nop 0
	buffer_store_dword v4, off, s[0:3], s33 offset:624 ; 4-byte Folded Spill
	v_cmp_eq_u64_e32 vcc, 0, v[3:4]
	s_cbranch_vccnz .LBB12_3593
; %bb.3065:                             ;   in Loop: Header=BB12_2997 Depth=2
	buffer_store_dword v1, off, s[0:3], s33 offset:636 ; 4-byte Folded Spill
	s_nop 0
	buffer_store_dword v2, off, s[0:3], s33 offset:640 ; 4-byte Folded Spill
	v_cmp_eq_u32_e32 vcc, 0, v0
	buffer_load_dword v0, off, s[0:3], s33 offset:324 ; 4-byte Folded Reload
	buffer_load_dword v1, off, s[0:3], s33 offset:328 ; 4-byte Folded Reload
	s_trap 2
	s_mov_b64 s[28:29], -1
	s_waitcnt vmcnt(1)
	v_cndmask_b32_e32 v0, 0, v0, vcc
	ds_read_b64 v[52:53], v0
	buffer_store_dword v0, off, s[0:3], s33 offset:628 ; 4-byte Folded Spill
	v_lshlrev_b32_e32 v0, 1, v0
	buffer_store_dword v0, off, s[0:3], s33 offset:612 ; 4-byte Folded Spill
	s_waitcnt lgkmcnt(0)
	v_cmp_ne_u64_e32 vcc, 0, v[52:53]
	s_cbranch_vccz .LBB12_4513
; %bb.3066:                             ;   in Loop: Header=BB12_2997 Depth=2
	s_and_saveexec_b64 s[40:41], s[22:23]
	s_cbranch_execz .LBB12_3068
; %bb.3067:                             ;   in Loop: Header=BB12_2997 Depth=2
	ds_read_b32 v0, v0 offset:720
	s_waitcnt lgkmcnt(0)
	v_and_b32_e32 v0, 15, v0
	v_cmp_eq_u32_e32 vcc, 0, v0
	s_orn2_b64 s[28:29], vcc, exec
.LBB12_3068:                            ;   in Loop: Header=BB12_2997 Depth=2
	s_or_b64 exec, exec, s[40:41]
	s_and_saveexec_b64 s[40:41], s[22:23]
	s_cbranch_execz .LBB12_3070
; %bb.3069:                             ;   in Loop: Header=BB12_2997 Depth=2
	ds_read_b32 v0, v0 offset:784
	s_waitcnt lgkmcnt(0)
	v_and_b32_e32 v0, 15, v0
	v_cmp_eq_u32_e32 vcc, 0, v0
	s_and_b64 s[42:43], s[28:29], vcc
	s_andn2_b64 s[28:29], s[28:29], exec
	s_and_b64 s[42:43], s[42:43], exec
	s_or_b64 s[28:29], s[28:29], s[42:43]
.LBB12_3070:                            ;   in Loop: Header=BB12_2997 Depth=2
	s_or_b64 exec, exec, s[40:41]
	s_xor_b64 s[28:29], s[28:29], -1
	v_cndmask_b32_e64 v0, 0, 1, s[28:29]
	s_mov_b64 s[40:41], -1
	v_cmp_ne_u32_e32 vcc, 0, v0
	s_cbranch_vccz .LBB12_3594
; %bb.3071:                             ;   in Loop: Header=BB12_2997 Depth=2
	s_mov_b64 s[90:91], -1
	v_mov_b32_e32 v5, 0
	s_cbranch_execnz .LBB12_3595
.LBB12_3072:                            ;   in Loop: Header=BB12_2997 Depth=2
	buffer_load_dword v1, off, s[0:3], s33 offset:612 ; 4-byte Folded Reload
	s_mov_b64 s[40:41], 0
                                        ; implicit-def: $vgpr28_vgpr29
                                        ; implicit-def: $vgpr44_vgpr45
                                        ; implicit-def: $vgpr48_vgpr49
	s_waitcnt vmcnt(0)
	v_ashrrev_i32_e32 v0, 31, v1
	v_lshrrev_b32_e32 v0, 20, v0
	v_add_u32_e32 v0, v1, v0
	v_ashrrev_i32_e32 v54, 12, v0
	buffer_load_dword v0, off, s[0:3], s33 offset:592 ; 4-byte Folded Reload
	buffer_load_dword v1, off, s[0:3], s33 offset:620 ; 4-byte Folded Reload
	;; [unrolled: 1-line block ×3, first 2 shown]
	s_waitcnt vmcnt(1)
	v_add_co_u32_e32 v16, vcc, v1, v0
	s_waitcnt vmcnt(0)
	v_addc_co_u32_e32 v17, vcc, 0, v2, vcc
	v_add_co_u32_e32 v14, vcc, v52, v0
	buffer_load_dword v0, off, s[0:3], s33 offset:600 ; 4-byte Folded Reload
	v_addc_co_u32_e32 v15, vcc, 0, v53, vcc
	s_waitcnt vmcnt(0)
	v_sub_u32_e32 v0, v54, v0
	buffer_store_dword v0, off, s[0:3], s33 offset:300 ; 4-byte Folded Spill
	v_cmp_lt_i32_e32 vcc, 0, v0
                                        ; implicit-def: $vgpr0_vgpr1
	buffer_store_dword v0, off, s[0:3], s33 offset:184 ; 4-byte Folded Spill
	s_nop 0
	buffer_store_dword v1, off, s[0:3], s33 offset:188 ; 4-byte Folded Spill
	buffer_store_dword v2, off, s[0:3], s33 offset:192 ; 4-byte Folded Spill
	buffer_store_dword v3, off, s[0:3], s33 offset:196 ; 4-byte Folded Spill
                                        ; implicit-def: $vgpr0_vgpr1
	buffer_store_dword v0, off, s[0:3], s33 offset:284 ; 4-byte Folded Spill
	s_nop 0
	buffer_store_dword v1, off, s[0:3], s33 offset:288 ; 4-byte Folded Spill
	buffer_store_dword v2, off, s[0:3], s33 offset:292 ; 4-byte Folded Spill
	buffer_store_dword v3, off, s[0:3], s33 offset:296 ; 4-byte Folded Spill
	;; [unrolled: 6-line block ×5, first 2 shown]
	s_and_saveexec_b64 s[28:29], vcc
	s_cbranch_execz .LBB12_3597
; %bb.3073:                             ;   in Loop: Header=BB12_2997 Depth=2
	buffer_store_dword v54, off, s[0:3], s33 offset:488 ; 4-byte Folded Spill
	buffer_store_dword v52, off, s[0:3], s33 offset:480 ; 4-byte Folded Spill
	s_nop 0
	buffer_store_dword v53, off, s[0:3], s33 offset:484 ; 4-byte Folded Spill
	s_trap 2
	ds_read_b64 v[0:1], v0
	buffer_load_dword v3, off, s[0:3], s33 offset:592 ; 4-byte Folded Reload
	s_mov_b64 s[92:93], 0
                                        ; implicit-def: $sgpr42_sgpr43
                                        ; implicit-def: $vgpr28_vgpr29
                                        ; implicit-def: $vgpr44_vgpr45
                                        ; implicit-def: $vgpr48_vgpr49
	s_waitcnt lgkmcnt(0)
	ds_read_b32 v2, v0
	buffer_load_dword v4, off, s[0:3], s33 offset:636 ; 4-byte Folded Reload
	buffer_load_dword v5, off, s[0:3], s33 offset:640 ; 4-byte Folded Reload
	s_waitcnt lgkmcnt(0)
	v_lshlrev_b32_e32 v61, 16, v2
	s_waitcnt vmcnt(2)
	v_add_co_u32_e32 v0, vcc, v0, v3
	v_addc_co_u32_e32 v1, vcc, 0, v1, vcc
	s_waitcnt vmcnt(1)
	v_add_co_u32_e32 v18, vcc, v4, v3
	s_waitcnt vmcnt(0)
	v_addc_co_u32_e32 v19, vcc, 0, v5, vcc
                                        ; implicit-def: $vgpr2_vgpr3
	buffer_store_dword v2, off, s[0:3], s33 offset:184 ; 4-byte Folded Spill
	s_nop 0
	buffer_store_dword v3, off, s[0:3], s33 offset:188 ; 4-byte Folded Spill
	buffer_store_dword v4, off, s[0:3], s33 offset:192 ; 4-byte Folded Spill
	buffer_store_dword v5, off, s[0:3], s33 offset:196 ; 4-byte Folded Spill
                                        ; implicit-def: $vgpr2_vgpr3
	buffer_store_dword v2, off, s[0:3], s33 offset:284 ; 4-byte Folded Spill
	s_nop 0
	buffer_store_dword v3, off, s[0:3], s33 offset:288 ; 4-byte Folded Spill
	buffer_store_dword v4, off, s[0:3], s33 offset:292 ; 4-byte Folded Spill
	buffer_store_dword v5, off, s[0:3], s33 offset:296 ; 4-byte Folded Spill
	;; [unrolled: 6-line block ×5, first 2 shown]
	s_branch .LBB12_3075
.LBB12_3074:                            ;   in Loop: Header=BB12_3075 Depth=3
	s_or_b64 exec, exec, s[94:95]
	buffer_load_dword v2, off, s[0:3], s33 offset:300 ; 4-byte Folded Reload
	s_waitcnt vmcnt(0)
	v_cmp_gt_i32_e32 vcc, 1, v2
	s_or_b64 s[40:41], vcc, s[40:41]
	s_andn2_b64 s[42:43], s[42:43], exec
	s_and_b64 s[94:95], s[92:93], exec
	s_or_b64 s[42:43], s[42:43], s[94:95]
	s_andn2_b64 exec, exec, s[40:41]
	s_cbranch_execz .LBB12_3596
.LBB12_3075:                            ;   Parent Loop BB12_47 Depth=1
                                        ;     Parent Loop BB12_2997 Depth=2
                                        ; =>    This Inner Loop Header: Depth=3
	global_load_dwordx4 v[10:13], v[18:19], off glc slc
	global_load_dwordx4 v[6:9], v[18:19], off offset:1024 glc slc
	global_load_dwordx4 v[2:5], v[18:19], off offset:2048 glc slc
	global_load_dwordx4 v[56:59], v[18:19], off offset:3072 glc slc
	global_load_dwordx4 v[40:43], v[0:1], off glc slc
	global_load_dwordx4 v[52:55], v[0:1], off offset:1024 glc slc
	global_load_dwordx4 v[36:39], v[0:1], off offset:2048 glc slc
	;; [unrolled: 1-line block ×3, first 2 shown]
	s_waitcnt vmcnt(0)
	buffer_store_dword v20, off, s[0:3], s33 offset:168 ; 4-byte Folded Spill
	s_nop 0
	buffer_store_dword v21, off, s[0:3], s33 offset:172 ; 4-byte Folded Spill
	buffer_store_dword v22, off, s[0:3], s33 offset:176 ; 4-byte Folded Spill
	;; [unrolled: 1-line block ×3, first 2 shown]
	s_and_saveexec_b64 s[94:95], s[92:93]
	s_cbranch_execz .LBB12_3333
; %bb.3076:                             ;   in Loop: Header=BB12_3075 Depth=3
	v_lshlrev_b32_e32 v20, 16, v28
	v_mul_f32_e32 v20, v61, v20
	v_and_b32_e32 v21, 0x7f800000, v20
	v_cmp_ne_u32_e32 vcc, s97, v21
                                        ; implicit-def: $vgpr21
	s_and_saveexec_b64 s[92:93], vcc
	s_xor_b64 s[92:93], exec, s[92:93]
; %bb.3077:                             ;   in Loop: Header=BB12_3075 Depth=3
	v_bfe_u32 v21, v20, 16, 1
	v_add3_u32 v21, v20, v21, s46
                                        ; implicit-def: $vgpr20
; %bb.3078:                             ;   in Loop: Header=BB12_3075 Depth=3
	s_andn2_saveexec_b64 s[92:93], s[92:93]
	s_cbranch_execz .LBB12_3080
; %bb.3079:                             ;   in Loop: Header=BB12_3075 Depth=3
	buffer_load_dword v22, off, s[0:3], s33 offset:128 ; 4-byte Folded Reload
	buffer_load_dword v23, off, s[0:3], s33 offset:132 ; 4-byte Folded Reload
	v_or_b32_e32 v21, 0x10000, v20
	s_waitcnt vmcnt(1)
	v_cmp_eq_u32_sdwa vcc, v20, v22 src0_sel:WORD_0 src1_sel:DWORD
	v_cndmask_b32_e32 v21, v21, v20, vcc
.LBB12_3080:                            ;   in Loop: Header=BB12_3075 Depth=3
	s_or_b64 exec, exec, s[92:93]
	v_and_b32_e32 v20, 0xffff0000, v28
	v_mul_f32_e32 v20, v61, v20
	v_and_b32_e32 v22, 0x7f800000, v20
	v_cmp_ne_u32_e32 vcc, s97, v22
                                        ; implicit-def: $vgpr60
	s_and_saveexec_b64 s[92:93], vcc
	s_xor_b64 s[92:93], exec, s[92:93]
; %bb.3081:                             ;   in Loop: Header=BB12_3075 Depth=3
	v_bfe_u32 v22, v20, 16, 1
	v_add3_u32 v60, v20, v22, s46
                                        ; implicit-def: $vgpr20
; %bb.3082:                             ;   in Loop: Header=BB12_3075 Depth=3
	s_andn2_saveexec_b64 s[92:93], s[92:93]
	s_cbranch_execz .LBB12_3084
; %bb.3083:                             ;   in Loop: Header=BB12_3075 Depth=3
	buffer_load_dword v23, off, s[0:3], s33 offset:128 ; 4-byte Folded Reload
	buffer_load_dword v24, off, s[0:3], s33 offset:132 ; 4-byte Folded Reload
	v_or_b32_e32 v22, 0x10000, v20
	s_waitcnt vmcnt(1)
	v_cmp_eq_u32_sdwa vcc, v20, v23 src0_sel:WORD_0 src1_sel:DWORD
	v_cndmask_b32_e32 v60, v22, v20, vcc
.LBB12_3084:                            ;   in Loop: Header=BB12_3075 Depth=3
	s_or_b64 exec, exec, s[92:93]
	v_lshlrev_b32_e32 v20, 16, v29
	v_mul_f32_e32 v22, v61, v20
	v_and_b32_e32 v20, 0x7f800000, v22
	v_cmp_ne_u32_e32 vcc, s97, v20
                                        ; implicit-def: $vgpr20
	s_and_saveexec_b64 s[92:93], vcc
	s_xor_b64 s[92:93], exec, s[92:93]
; %bb.3085:                             ;   in Loop: Header=BB12_3075 Depth=3
	v_bfe_u32 v20, v22, 16, 1
	v_add3_u32 v20, v22, v20, s46
                                        ; implicit-def: $vgpr22
; %bb.3086:                             ;   in Loop: Header=BB12_3075 Depth=3
	s_andn2_saveexec_b64 s[92:93], s[92:93]
	s_cbranch_execz .LBB12_3088
; %bb.3087:                             ;   in Loop: Header=BB12_3075 Depth=3
	buffer_load_dword v23, off, s[0:3], s33 offset:128 ; 4-byte Folded Reload
	buffer_load_dword v24, off, s[0:3], s33 offset:132 ; 4-byte Folded Reload
	v_or_b32_e32 v20, 0x10000, v22
	s_waitcnt vmcnt(1)
	v_cmp_eq_u32_sdwa vcc, v22, v23 src0_sel:WORD_0 src1_sel:DWORD
	v_cndmask_b32_e32 v20, v20, v22, vcc
.LBB12_3088:                            ;   in Loop: Header=BB12_3075 Depth=3
	s_or_b64 exec, exec, s[92:93]
	v_and_b32_e32 v22, 0xffff0000, v29
	v_mul_f32_e32 v22, v61, v22
	s_waitcnt vmcnt(0)
	v_and_b32_e32 v23, 0x7f800000, v22
	v_cmp_ne_u32_e32 vcc, s97, v23
                                        ; implicit-def: $vgpr28
	s_and_saveexec_b64 s[92:93], vcc
	s_xor_b64 s[92:93], exec, s[92:93]
; %bb.3089:                             ;   in Loop: Header=BB12_3075 Depth=3
	v_bfe_u32 v23, v22, 16, 1
	v_add3_u32 v28, v22, v23, s46
                                        ; implicit-def: $vgpr22
; %bb.3090:                             ;   in Loop: Header=BB12_3075 Depth=3
	s_andn2_saveexec_b64 s[92:93], s[92:93]
	s_cbranch_execz .LBB12_3092
; %bb.3091:                             ;   in Loop: Header=BB12_3075 Depth=3
	buffer_load_dword v24, off, s[0:3], s33 offset:128 ; 4-byte Folded Reload
	buffer_load_dword v25, off, s[0:3], s33 offset:132 ; 4-byte Folded Reload
	v_or_b32_e32 v23, 0x10000, v22
	s_waitcnt vmcnt(1)
	v_cmp_eq_u32_sdwa vcc, v22, v24 src0_sel:WORD_0 src1_sel:DWORD
	v_cndmask_b32_e32 v28, v23, v22, vcc
.LBB12_3092:                            ;   in Loop: Header=BB12_3075 Depth=3
	s_or_b64 exec, exec, s[92:93]
	v_lshlrev_b32_e32 v22, 16, v30
	v_mul_f32_e32 v22, v61, v22
	v_and_b32_e32 v23, 0x7f800000, v22
	v_cmp_ne_u32_e32 vcc, s97, v23
                                        ; implicit-def: $vgpr29
	s_and_saveexec_b64 s[92:93], vcc
	s_xor_b64 s[92:93], exec, s[92:93]
; %bb.3093:                             ;   in Loop: Header=BB12_3075 Depth=3
	v_bfe_u32 v23, v22, 16, 1
	v_add3_u32 v29, v22, v23, s46
                                        ; implicit-def: $vgpr22
; %bb.3094:                             ;   in Loop: Header=BB12_3075 Depth=3
	s_andn2_saveexec_b64 s[92:93], s[92:93]
	s_cbranch_execz .LBB12_3096
; %bb.3095:                             ;   in Loop: Header=BB12_3075 Depth=3
	buffer_load_dword v24, off, s[0:3], s33 offset:128 ; 4-byte Folded Reload
	buffer_load_dword v25, off, s[0:3], s33 offset:132 ; 4-byte Folded Reload
	v_or_b32_e32 v23, 0x10000, v22
	s_waitcnt vmcnt(1)
	v_cmp_eq_u32_sdwa vcc, v22, v24 src0_sel:WORD_0 src1_sel:DWORD
	v_cndmask_b32_e32 v29, v23, v22, vcc
.LBB12_3096:                            ;   in Loop: Header=BB12_3075 Depth=3
	s_or_b64 exec, exec, s[92:93]
	v_and_b32_e32 v22, 0xffff0000, v30
	v_mul_f32_e32 v23, v61, v22
	v_and_b32_e32 v22, 0x7f800000, v23
	v_cmp_ne_u32_e32 vcc, s97, v22
                                        ; implicit-def: $vgpr22
	s_and_saveexec_b64 s[92:93], vcc
	s_xor_b64 s[92:93], exec, s[92:93]
; %bb.3097:                             ;   in Loop: Header=BB12_3075 Depth=3
	v_bfe_u32 v22, v23, 16, 1
	v_add3_u32 v22, v23, v22, s46
                                        ; implicit-def: $vgpr23
; %bb.3098:                             ;   in Loop: Header=BB12_3075 Depth=3
	s_andn2_saveexec_b64 s[92:93], s[92:93]
	s_cbranch_execz .LBB12_3100
; %bb.3099:                             ;   in Loop: Header=BB12_3075 Depth=3
	buffer_load_dword v24, off, s[0:3], s33 offset:128 ; 4-byte Folded Reload
	buffer_load_dword v25, off, s[0:3], s33 offset:132 ; 4-byte Folded Reload
	v_or_b32_e32 v22, 0x10000, v23
	s_waitcnt vmcnt(1)
	v_cmp_eq_u32_sdwa vcc, v23, v24 src0_sel:WORD_0 src1_sel:DWORD
	v_cndmask_b32_e32 v22, v22, v23, vcc
.LBB12_3100:                            ;   in Loop: Header=BB12_3075 Depth=3
	s_or_b64 exec, exec, s[92:93]
	v_lshlrev_b32_e32 v23, 16, v31
	v_mul_f32_e32 v24, v61, v23
	v_and_b32_e32 v23, 0x7f800000, v24
	v_cmp_ne_u32_e32 vcc, s97, v23
                                        ; implicit-def: $vgpr23
	s_and_saveexec_b64 s[92:93], vcc
	s_xor_b64 s[92:93], exec, s[92:93]
; %bb.3101:                             ;   in Loop: Header=BB12_3075 Depth=3
	v_bfe_u32 v23, v24, 16, 1
	v_add3_u32 v23, v24, v23, s46
                                        ; implicit-def: $vgpr24
; %bb.3102:                             ;   in Loop: Header=BB12_3075 Depth=3
	s_andn2_saveexec_b64 s[92:93], s[92:93]
	s_cbranch_execz .LBB12_3104
; %bb.3103:                             ;   in Loop: Header=BB12_3075 Depth=3
	buffer_load_dword v25, off, s[0:3], s33 offset:128 ; 4-byte Folded Reload
	buffer_load_dword v26, off, s[0:3], s33 offset:132 ; 4-byte Folded Reload
	v_or_b32_e32 v23, 0x10000, v24
	s_waitcnt vmcnt(1)
	v_cmp_eq_u32_sdwa vcc, v24, v25 src0_sel:WORD_0 src1_sel:DWORD
	v_cndmask_b32_e32 v23, v23, v24, vcc
.LBB12_3104:                            ;   in Loop: Header=BB12_3075 Depth=3
	s_or_b64 exec, exec, s[92:93]
	v_and_b32_e32 v24, 0xffff0000, v31
	v_mul_f32_e32 v24, v61, v24
	s_waitcnt vmcnt(0)
	v_and_b32_e32 v25, 0x7f800000, v24
	v_cmp_ne_u32_e32 vcc, s97, v25
                                        ; implicit-def: $vgpr30
	s_and_saveexec_b64 s[92:93], vcc
	s_xor_b64 s[92:93], exec, s[92:93]
; %bb.3105:                             ;   in Loop: Header=BB12_3075 Depth=3
	v_bfe_u32 v25, v24, 16, 1
	v_add3_u32 v30, v24, v25, s46
                                        ; implicit-def: $vgpr24
; %bb.3106:                             ;   in Loop: Header=BB12_3075 Depth=3
	s_andn2_saveexec_b64 s[92:93], s[92:93]
	s_cbranch_execz .LBB12_3108
; %bb.3107:                             ;   in Loop: Header=BB12_3075 Depth=3
	buffer_load_dword v26, off, s[0:3], s33 offset:128 ; 4-byte Folded Reload
	buffer_load_dword v27, off, s[0:3], s33 offset:132 ; 4-byte Folded Reload
	v_or_b32_e32 v25, 0x10000, v24
	s_waitcnt vmcnt(1)
	v_cmp_eq_u32_sdwa vcc, v24, v26 src0_sel:WORD_0 src1_sel:DWORD
	v_cndmask_b32_e32 v30, v25, v24, vcc
.LBB12_3108:                            ;   in Loop: Header=BB12_3075 Depth=3
	s_or_b64 exec, exec, s[92:93]
	v_lshlrev_b32_e32 v24, 16, v44
	v_mul_f32_e32 v24, v61, v24
	v_and_b32_e32 v25, 0x7f800000, v24
	v_cmp_ne_u32_e32 vcc, s97, v25
                                        ; implicit-def: $vgpr31
	s_and_saveexec_b64 s[92:93], vcc
	s_xor_b64 s[92:93], exec, s[92:93]
; %bb.3109:                             ;   in Loop: Header=BB12_3075 Depth=3
	v_bfe_u32 v25, v24, 16, 1
	v_add3_u32 v31, v24, v25, s46
                                        ; implicit-def: $vgpr24
; %bb.3110:                             ;   in Loop: Header=BB12_3075 Depth=3
	s_andn2_saveexec_b64 s[92:93], s[92:93]
	s_cbranch_execz .LBB12_3112
; %bb.3111:                             ;   in Loop: Header=BB12_3075 Depth=3
	buffer_load_dword v26, off, s[0:3], s33 offset:128 ; 4-byte Folded Reload
	buffer_load_dword v27, off, s[0:3], s33 offset:132 ; 4-byte Folded Reload
	v_or_b32_e32 v25, 0x10000, v24
	s_waitcnt vmcnt(1)
	v_cmp_eq_u32_sdwa vcc, v24, v26 src0_sel:WORD_0 src1_sel:DWORD
	v_cndmask_b32_e32 v31, v25, v24, vcc
.LBB12_3112:                            ;   in Loop: Header=BB12_3075 Depth=3
	s_or_b64 exec, exec, s[92:93]
	v_and_b32_e32 v24, 0xffff0000, v44
	v_mul_f32_e32 v24, v61, v24
	v_and_b32_e32 v25, 0x7f800000, v24
	v_cmp_ne_u32_e32 vcc, s97, v25
                                        ; implicit-def: $vgpr25
                                        ; kill: killed $vgpr25
	s_and_saveexec_b64 s[92:93], vcc
	s_xor_b64 s[92:93], exec, s[92:93]
	s_cbranch_execz .LBB12_3114
; %bb.3113:                             ;   in Loop: Header=BB12_3075 Depth=3
	v_bfe_u32 v25, v24, 16, 1
	v_add3_u32 v24, v24, v25, s46
	buffer_store_dword v24, off, s[0:3], s33 offset:444 ; 4-byte Folded Spill
                                        ; implicit-def: $vgpr24
.LBB12_3114:                            ;   in Loop: Header=BB12_3075 Depth=3
	s_andn2_saveexec_b64 s[92:93], s[92:93]
	s_cbranch_execz .LBB12_3116
; %bb.3115:                             ;   in Loop: Header=BB12_3075 Depth=3
	buffer_load_dword v26, off, s[0:3], s33 offset:128 ; 4-byte Folded Reload
	buffer_load_dword v27, off, s[0:3], s33 offset:132 ; 4-byte Folded Reload
	v_or_b32_e32 v25, 0x10000, v24
	s_waitcnt vmcnt(1)
	v_cmp_eq_u32_sdwa vcc, v24, v26 src0_sel:WORD_0 src1_sel:DWORD
	v_cndmask_b32_e32 v24, v25, v24, vcc
	buffer_store_dword v24, off, s[0:3], s33 offset:444 ; 4-byte Folded Spill
.LBB12_3116:                            ;   in Loop: Header=BB12_3075 Depth=3
	s_or_b64 exec, exec, s[92:93]
	v_lshlrev_b32_e32 v24, 16, v45
	v_mul_f32_e32 v24, v61, v24
	v_and_b32_e32 v25, 0x7f800000, v24
	v_cmp_ne_u32_e32 vcc, s97, v25
                                        ; implicit-def: $vgpr44
	s_and_saveexec_b64 s[92:93], vcc
	s_xor_b64 s[92:93], exec, s[92:93]
; %bb.3117:                             ;   in Loop: Header=BB12_3075 Depth=3
	v_bfe_u32 v25, v24, 16, 1
	v_add3_u32 v44, v24, v25, s46
                                        ; implicit-def: $vgpr24
; %bb.3118:                             ;   in Loop: Header=BB12_3075 Depth=3
	s_andn2_saveexec_b64 s[92:93], s[92:93]
	s_cbranch_execz .LBB12_3120
; %bb.3119:                             ;   in Loop: Header=BB12_3075 Depth=3
	buffer_load_dword v26, off, s[0:3], s33 offset:128 ; 4-byte Folded Reload
	buffer_load_dword v27, off, s[0:3], s33 offset:132 ; 4-byte Folded Reload
	v_or_b32_e32 v25, 0x10000, v24
	s_waitcnt vmcnt(1)
	v_cmp_eq_u32_sdwa vcc, v24, v26 src0_sel:WORD_0 src1_sel:DWORD
	v_cndmask_b32_e32 v44, v25, v24, vcc
.LBB12_3120:                            ;   in Loop: Header=BB12_3075 Depth=3
	s_or_b64 exec, exec, s[92:93]
	v_and_b32_e32 v24, 0xffff0000, v45
	v_mul_f32_e32 v24, v61, v24
	v_and_b32_e32 v25, 0x7f800000, v24
	v_cmp_ne_u32_e32 vcc, s97, v25
                                        ; implicit-def: $vgpr45
	s_and_saveexec_b64 s[92:93], vcc
	s_xor_b64 s[92:93], exec, s[92:93]
; %bb.3121:                             ;   in Loop: Header=BB12_3075 Depth=3
	v_bfe_u32 v25, v24, 16, 1
	v_add3_u32 v45, v24, v25, s46
                                        ; implicit-def: $vgpr24
; %bb.3122:                             ;   in Loop: Header=BB12_3075 Depth=3
	s_andn2_saveexec_b64 s[92:93], s[92:93]
	s_cbranch_execz .LBB12_3124
; %bb.3123:                             ;   in Loop: Header=BB12_3075 Depth=3
	buffer_load_dword v26, off, s[0:3], s33 offset:128 ; 4-byte Folded Reload
	buffer_load_dword v27, off, s[0:3], s33 offset:132 ; 4-byte Folded Reload
	v_or_b32_e32 v25, 0x10000, v24
	s_waitcnt vmcnt(1)
	v_cmp_eq_u32_sdwa vcc, v24, v26 src0_sel:WORD_0 src1_sel:DWORD
	v_cndmask_b32_e32 v45, v25, v24, vcc
.LBB12_3124:                            ;   in Loop: Header=BB12_3075 Depth=3
	s_or_b64 exec, exec, s[92:93]
	v_lshlrev_b32_e32 v24, 16, v46
	v_mul_f32_e32 v24, v61, v24
	v_and_b32_e32 v25, 0x7f800000, v24
	v_cmp_ne_u32_e32 vcc, s97, v25
                                        ; implicit-def: $vgpr25
                                        ; kill: killed $vgpr25
	s_and_saveexec_b64 s[92:93], vcc
	s_xor_b64 s[92:93], exec, s[92:93]
	s_cbranch_execz .LBB12_3126
; %bb.3125:                             ;   in Loop: Header=BB12_3075 Depth=3
	v_bfe_u32 v25, v24, 16, 1
	v_add3_u32 v24, v24, v25, s46
	buffer_store_dword v24, off, s[0:3], s33 offset:440 ; 4-byte Folded Spill
                                        ; implicit-def: $vgpr24
.LBB12_3126:                            ;   in Loop: Header=BB12_3075 Depth=3
	s_andn2_saveexec_b64 s[92:93], s[92:93]
	s_cbranch_execz .LBB12_3128
; %bb.3127:                             ;   in Loop: Header=BB12_3075 Depth=3
	buffer_load_dword v26, off, s[0:3], s33 offset:128 ; 4-byte Folded Reload
	buffer_load_dword v27, off, s[0:3], s33 offset:132 ; 4-byte Folded Reload
	v_or_b32_e32 v25, 0x10000, v24
	s_waitcnt vmcnt(1)
	v_cmp_eq_u32_sdwa vcc, v24, v26 src0_sel:WORD_0 src1_sel:DWORD
	v_cndmask_b32_e32 v24, v25, v24, vcc
	buffer_store_dword v24, off, s[0:3], s33 offset:440 ; 4-byte Folded Spill
.LBB12_3128:                            ;   in Loop: Header=BB12_3075 Depth=3
	s_or_b64 exec, exec, s[92:93]
	v_and_b32_e32 v24, 0xffff0000, v46
	v_mul_f32_e32 v24, v61, v24
	v_and_b32_e32 v25, 0x7f800000, v24
	v_cmp_ne_u32_e32 vcc, s97, v25
                                        ; implicit-def: $vgpr25
                                        ; kill: killed $vgpr25
	s_and_saveexec_b64 s[92:93], vcc
	s_xor_b64 s[92:93], exec, s[92:93]
	s_cbranch_execz .LBB12_3130
; %bb.3129:                             ;   in Loop: Header=BB12_3075 Depth=3
	v_bfe_u32 v25, v24, 16, 1
	v_add3_u32 v24, v24, v25, s46
	buffer_store_dword v24, off, s[0:3], s33 offset:380 ; 4-byte Folded Spill
                                        ; implicit-def: $vgpr24
.LBB12_3130:                            ;   in Loop: Header=BB12_3075 Depth=3
	s_andn2_saveexec_b64 s[92:93], s[92:93]
	s_cbranch_execz .LBB12_3132
; %bb.3131:                             ;   in Loop: Header=BB12_3075 Depth=3
	buffer_load_dword v26, off, s[0:3], s33 offset:128 ; 4-byte Folded Reload
	buffer_load_dword v27, off, s[0:3], s33 offset:132 ; 4-byte Folded Reload
	v_or_b32_e32 v25, 0x10000, v24
	s_waitcnt vmcnt(1)
	v_cmp_eq_u32_sdwa vcc, v24, v26 src0_sel:WORD_0 src1_sel:DWORD
	v_cndmask_b32_e32 v24, v25, v24, vcc
	buffer_store_dword v24, off, s[0:3], s33 offset:380 ; 4-byte Folded Spill
.LBB12_3132:                            ;   in Loop: Header=BB12_3075 Depth=3
	s_or_b64 exec, exec, s[92:93]
	v_lshlrev_b32_e32 v24, 16, v47
	v_mul_f32_e32 v24, v61, v24
	v_and_b32_e32 v25, 0x7f800000, v24
	v_cmp_ne_u32_e32 vcc, s97, v25
                                        ; implicit-def: $vgpr46
	s_and_saveexec_b64 s[92:93], vcc
	s_xor_b64 s[92:93], exec, s[92:93]
; %bb.3133:                             ;   in Loop: Header=BB12_3075 Depth=3
	v_bfe_u32 v25, v24, 16, 1
	v_add3_u32 v46, v24, v25, s46
                                        ; implicit-def: $vgpr24
; %bb.3134:                             ;   in Loop: Header=BB12_3075 Depth=3
	s_andn2_saveexec_b64 s[92:93], s[92:93]
	s_cbranch_execz .LBB12_3136
; %bb.3135:                             ;   in Loop: Header=BB12_3075 Depth=3
	buffer_load_dword v26, off, s[0:3], s33 offset:128 ; 4-byte Folded Reload
	buffer_load_dword v27, off, s[0:3], s33 offset:132 ; 4-byte Folded Reload
	v_or_b32_e32 v25, 0x10000, v24
	s_waitcnt vmcnt(1)
	v_cmp_eq_u32_sdwa vcc, v24, v26 src0_sel:WORD_0 src1_sel:DWORD
	v_cndmask_b32_e32 v46, v25, v24, vcc
.LBB12_3136:                            ;   in Loop: Header=BB12_3075 Depth=3
	s_or_b64 exec, exec, s[92:93]
	v_and_b32_e32 v24, 0xffff0000, v47
	v_mul_f32_e32 v24, v61, v24
	v_and_b32_e32 v25, 0x7f800000, v24
	v_cmp_ne_u32_e32 vcc, s97, v25
                                        ; implicit-def: $vgpr47
	s_and_saveexec_b64 s[92:93], vcc
	s_xor_b64 s[92:93], exec, s[92:93]
; %bb.3137:                             ;   in Loop: Header=BB12_3075 Depth=3
	v_bfe_u32 v25, v24, 16, 1
	v_add3_u32 v47, v24, v25, s46
                                        ; implicit-def: $vgpr24
; %bb.3138:                             ;   in Loop: Header=BB12_3075 Depth=3
	s_andn2_saveexec_b64 s[92:93], s[92:93]
	s_cbranch_execz .LBB12_3140
; %bb.3139:                             ;   in Loop: Header=BB12_3075 Depth=3
	buffer_load_dword v26, off, s[0:3], s33 offset:128 ; 4-byte Folded Reload
	buffer_load_dword v27, off, s[0:3], s33 offset:132 ; 4-byte Folded Reload
	v_or_b32_e32 v25, 0x10000, v24
	s_waitcnt vmcnt(1)
	v_cmp_eq_u32_sdwa vcc, v24, v26 src0_sel:WORD_0 src1_sel:DWORD
	v_cndmask_b32_e32 v47, v25, v24, vcc
.LBB12_3140:                            ;   in Loop: Header=BB12_3075 Depth=3
	s_or_b64 exec, exec, s[92:93]
	v_lshlrev_b32_e32 v24, 16, v48
	v_mul_f32_e32 v24, v61, v24
	v_and_b32_e32 v25, 0x7f800000, v24
	v_cmp_ne_u32_e32 vcc, s97, v25
                                        ; implicit-def: $vgpr25
                                        ; kill: killed $vgpr25
	s_and_saveexec_b64 s[92:93], vcc
	s_xor_b64 s[92:93], exec, s[92:93]
	s_cbranch_execz .LBB12_3142
; %bb.3141:                             ;   in Loop: Header=BB12_3075 Depth=3
	v_bfe_u32 v25, v24, 16, 1
	v_add3_u32 v24, v24, v25, s46
	buffer_store_dword v24, off, s[0:3], s33 offset:376 ; 4-byte Folded Spill
                                        ; implicit-def: $vgpr24
.LBB12_3142:                            ;   in Loop: Header=BB12_3075 Depth=3
	s_andn2_saveexec_b64 s[92:93], s[92:93]
	s_cbranch_execz .LBB12_3144
; %bb.3143:                             ;   in Loop: Header=BB12_3075 Depth=3
	buffer_load_dword v26, off, s[0:3], s33 offset:128 ; 4-byte Folded Reload
	buffer_load_dword v27, off, s[0:3], s33 offset:132 ; 4-byte Folded Reload
	v_or_b32_e32 v25, 0x10000, v24
	s_waitcnt vmcnt(1)
	v_cmp_eq_u32_sdwa vcc, v24, v26 src0_sel:WORD_0 src1_sel:DWORD
	v_cndmask_b32_e32 v24, v25, v24, vcc
	buffer_store_dword v24, off, s[0:3], s33 offset:376 ; 4-byte Folded Spill
.LBB12_3144:                            ;   in Loop: Header=BB12_3075 Depth=3
	s_or_b64 exec, exec, s[92:93]
	v_and_b32_e32 v24, 0xffff0000, v48
	v_mul_f32_e32 v24, v61, v24
	v_and_b32_e32 v25, 0x7f800000, v24
	v_cmp_ne_u32_e32 vcc, s97, v25
                                        ; implicit-def: $vgpr48
	s_and_saveexec_b64 s[92:93], vcc
	s_xor_b64 s[92:93], exec, s[92:93]
; %bb.3145:                             ;   in Loop: Header=BB12_3075 Depth=3
	v_bfe_u32 v25, v24, 16, 1
	v_add3_u32 v48, v24, v25, s46
                                        ; implicit-def: $vgpr24
; %bb.3146:                             ;   in Loop: Header=BB12_3075 Depth=3
	s_andn2_saveexec_b64 s[92:93], s[92:93]
	s_cbranch_execz .LBB12_3148
; %bb.3147:                             ;   in Loop: Header=BB12_3075 Depth=3
	buffer_load_dword v26, off, s[0:3], s33 offset:128 ; 4-byte Folded Reload
	buffer_load_dword v27, off, s[0:3], s33 offset:132 ; 4-byte Folded Reload
	v_or_b32_e32 v25, 0x10000, v24
	s_waitcnt vmcnt(1)
	v_cmp_eq_u32_sdwa vcc, v24, v26 src0_sel:WORD_0 src1_sel:DWORD
	v_cndmask_b32_e32 v48, v25, v24, vcc
.LBB12_3148:                            ;   in Loop: Header=BB12_3075 Depth=3
	s_or_b64 exec, exec, s[92:93]
	v_lshlrev_b32_e32 v24, 16, v49
	v_mul_f32_e32 v24, v61, v24
	v_and_b32_e32 v25, 0x7f800000, v24
	v_cmp_ne_u32_e32 vcc, s97, v25
                                        ; implicit-def: $vgpr25
                                        ; kill: killed $vgpr25
	s_and_saveexec_b64 s[92:93], vcc
	s_xor_b64 s[92:93], exec, s[92:93]
	s_cbranch_execz .LBB12_3150
; %bb.3149:                             ;   in Loop: Header=BB12_3075 Depth=3
	v_bfe_u32 v25, v24, 16, 1
	v_add3_u32 v24, v24, v25, s46
	buffer_store_dword v24, off, s[0:3], s33 offset:372 ; 4-byte Folded Spill
                                        ; implicit-def: $vgpr24
.LBB12_3150:                            ;   in Loop: Header=BB12_3075 Depth=3
	s_andn2_saveexec_b64 s[92:93], s[92:93]
	s_cbranch_execz .LBB12_3152
; %bb.3151:                             ;   in Loop: Header=BB12_3075 Depth=3
	buffer_load_dword v26, off, s[0:3], s33 offset:128 ; 4-byte Folded Reload
	buffer_load_dword v27, off, s[0:3], s33 offset:132 ; 4-byte Folded Reload
	v_or_b32_e32 v25, 0x10000, v24
	s_waitcnt vmcnt(1)
	v_cmp_eq_u32_sdwa vcc, v24, v26 src0_sel:WORD_0 src1_sel:DWORD
	v_cndmask_b32_e32 v24, v25, v24, vcc
	buffer_store_dword v24, off, s[0:3], s33 offset:372 ; 4-byte Folded Spill
.LBB12_3152:                            ;   in Loop: Header=BB12_3075 Depth=3
	s_or_b64 exec, exec, s[92:93]
	v_and_b32_e32 v24, 0xffff0000, v49
	v_mul_f32_e32 v24, v61, v24
	v_and_b32_e32 v25, 0x7f800000, v24
	v_cmp_ne_u32_e32 vcc, s97, v25
                                        ; implicit-def: $vgpr49
	s_and_saveexec_b64 s[92:93], vcc
	s_xor_b64 s[92:93], exec, s[92:93]
; %bb.3153:                             ;   in Loop: Header=BB12_3075 Depth=3
	v_bfe_u32 v25, v24, 16, 1
	v_add3_u32 v49, v24, v25, s46
                                        ; implicit-def: $vgpr24
; %bb.3154:                             ;   in Loop: Header=BB12_3075 Depth=3
	s_andn2_saveexec_b64 s[92:93], s[92:93]
	s_cbranch_execz .LBB12_3156
; %bb.3155:                             ;   in Loop: Header=BB12_3075 Depth=3
	buffer_load_dword v26, off, s[0:3], s33 offset:128 ; 4-byte Folded Reload
	buffer_load_dword v27, off, s[0:3], s33 offset:132 ; 4-byte Folded Reload
	v_or_b32_e32 v25, 0x10000, v24
	s_waitcnt vmcnt(1)
	v_cmp_eq_u32_sdwa vcc, v24, v26 src0_sel:WORD_0 src1_sel:DWORD
	v_cndmask_b32_e32 v49, v25, v24, vcc
.LBB12_3156:                            ;   in Loop: Header=BB12_3075 Depth=3
	s_or_b64 exec, exec, s[92:93]
	v_lshlrev_b32_e32 v24, 16, v50
	v_mul_f32_e32 v24, v61, v24
	v_and_b32_e32 v25, 0x7f800000, v24
	v_cmp_ne_u32_e32 vcc, s97, v25
                                        ; implicit-def: $vgpr25
                                        ; kill: killed $vgpr25
	s_and_saveexec_b64 s[92:93], vcc
	s_xor_b64 s[92:93], exec, s[92:93]
	s_cbranch_execz .LBB12_3158
; %bb.3157:                             ;   in Loop: Header=BB12_3075 Depth=3
	v_bfe_u32 v25, v24, 16, 1
	v_add3_u32 v24, v24, v25, s46
	buffer_store_dword v24, off, s[0:3], s33 offset:368 ; 4-byte Folded Spill
                                        ; implicit-def: $vgpr24
.LBB12_3158:                            ;   in Loop: Header=BB12_3075 Depth=3
	s_andn2_saveexec_b64 s[92:93], s[92:93]
	s_cbranch_execz .LBB12_3160
; %bb.3159:                             ;   in Loop: Header=BB12_3075 Depth=3
	buffer_load_dword v26, off, s[0:3], s33 offset:128 ; 4-byte Folded Reload
	buffer_load_dword v27, off, s[0:3], s33 offset:132 ; 4-byte Folded Reload
	v_or_b32_e32 v25, 0x10000, v24
	s_waitcnt vmcnt(1)
	v_cmp_eq_u32_sdwa vcc, v24, v26 src0_sel:WORD_0 src1_sel:DWORD
	v_cndmask_b32_e32 v24, v25, v24, vcc
	buffer_store_dword v24, off, s[0:3], s33 offset:368 ; 4-byte Folded Spill
.LBB12_3160:                            ;   in Loop: Header=BB12_3075 Depth=3
	s_or_b64 exec, exec, s[92:93]
	v_and_b32_e32 v24, 0xffff0000, v50
	v_mul_f32_e32 v24, v61, v24
	v_and_b32_e32 v25, 0x7f800000, v24
	v_cmp_ne_u32_e32 vcc, s97, v25
                                        ; implicit-def: $vgpr25
                                        ; kill: killed $vgpr25
	s_and_saveexec_b64 s[92:93], vcc
	s_xor_b64 s[92:93], exec, s[92:93]
	s_cbranch_execz .LBB12_3162
; %bb.3161:                             ;   in Loop: Header=BB12_3075 Depth=3
	v_bfe_u32 v25, v24, 16, 1
	v_add3_u32 v24, v24, v25, s46
	buffer_store_dword v24, off, s[0:3], s33 offset:364 ; 4-byte Folded Spill
                                        ; implicit-def: $vgpr24
.LBB12_3162:                            ;   in Loop: Header=BB12_3075 Depth=3
	s_andn2_saveexec_b64 s[92:93], s[92:93]
	s_cbranch_execz .LBB12_3164
; %bb.3163:                             ;   in Loop: Header=BB12_3075 Depth=3
	buffer_load_dword v26, off, s[0:3], s33 offset:128 ; 4-byte Folded Reload
	buffer_load_dword v27, off, s[0:3], s33 offset:132 ; 4-byte Folded Reload
	v_or_b32_e32 v25, 0x10000, v24
	s_waitcnt vmcnt(1)
	v_cmp_eq_u32_sdwa vcc, v24, v26 src0_sel:WORD_0 src1_sel:DWORD
	v_cndmask_b32_e32 v24, v25, v24, vcc
	buffer_store_dword v24, off, s[0:3], s33 offset:364 ; 4-byte Folded Spill
.LBB12_3164:                            ;   in Loop: Header=BB12_3075 Depth=3
	s_or_b64 exec, exec, s[92:93]
	v_lshlrev_b32_e32 v24, 16, v51
	v_mul_f32_e32 v24, v61, v24
	v_and_b32_e32 v25, 0x7f800000, v24
	v_cmp_ne_u32_e32 vcc, s97, v25
                                        ; implicit-def: $vgpr50
	s_and_saveexec_b64 s[92:93], vcc
	s_xor_b64 s[92:93], exec, s[92:93]
; %bb.3165:                             ;   in Loop: Header=BB12_3075 Depth=3
	v_bfe_u32 v25, v24, 16, 1
	v_add3_u32 v50, v24, v25, s46
                                        ; implicit-def: $vgpr24
; %bb.3166:                             ;   in Loop: Header=BB12_3075 Depth=3
	s_andn2_saveexec_b64 s[92:93], s[92:93]
	s_cbranch_execz .LBB12_3168
; %bb.3167:                             ;   in Loop: Header=BB12_3075 Depth=3
	buffer_load_dword v26, off, s[0:3], s33 offset:128 ; 4-byte Folded Reload
	buffer_load_dword v27, off, s[0:3], s33 offset:132 ; 4-byte Folded Reload
	v_or_b32_e32 v25, 0x10000, v24
	s_waitcnt vmcnt(1)
	v_cmp_eq_u32_sdwa vcc, v24, v26 src0_sel:WORD_0 src1_sel:DWORD
	v_cndmask_b32_e32 v50, v25, v24, vcc
.LBB12_3168:                            ;   in Loop: Header=BB12_3075 Depth=3
	s_or_b64 exec, exec, s[92:93]
	v_and_b32_e32 v24, 0xffff0000, v51
	v_mul_f32_e32 v24, v61, v24
	v_and_b32_e32 v25, 0x7f800000, v24
	v_cmp_ne_u32_e32 vcc, s97, v25
                                        ; implicit-def: $vgpr25
                                        ; kill: killed $vgpr25
	s_and_saveexec_b64 s[92:93], vcc
	s_xor_b64 s[92:93], exec, s[92:93]
	s_cbranch_execz .LBB12_3170
; %bb.3169:                             ;   in Loop: Header=BB12_3075 Depth=3
	v_bfe_u32 v25, v24, 16, 1
	v_add3_u32 v24, v24, v25, s46
	buffer_store_dword v24, off, s[0:3], s33 offset:356 ; 4-byte Folded Spill
                                        ; implicit-def: $vgpr24
.LBB12_3170:                            ;   in Loop: Header=BB12_3075 Depth=3
	s_andn2_saveexec_b64 s[92:93], s[92:93]
	s_cbranch_execz .LBB12_3172
; %bb.3171:                             ;   in Loop: Header=BB12_3075 Depth=3
	buffer_load_dword v26, off, s[0:3], s33 offset:128 ; 4-byte Folded Reload
	buffer_load_dword v27, off, s[0:3], s33 offset:132 ; 4-byte Folded Reload
	v_or_b32_e32 v25, 0x10000, v24
	s_waitcnt vmcnt(1)
	v_cmp_eq_u32_sdwa vcc, v24, v26 src0_sel:WORD_0 src1_sel:DWORD
	v_cndmask_b32_e32 v24, v25, v24, vcc
	buffer_store_dword v24, off, s[0:3], s33 offset:356 ; 4-byte Folded Spill
.LBB12_3172:                            ;   in Loop: Header=BB12_3075 Depth=3
	s_or_b64 exec, exec, s[92:93]
	buffer_load_dword v24, off, s[0:3], s33 offset:184 ; 4-byte Folded Reload
	buffer_load_dword v25, off, s[0:3], s33 offset:188 ; 4-byte Folded Reload
	;; [unrolled: 1-line block ×4, first 2 shown]
	s_waitcnt vmcnt(3)
	v_lshlrev_b32_e32 v24, 16, v24
	v_mul_f32_e32 v24, v61, v24
	s_waitcnt vmcnt(2)
	v_and_b32_e32 v25, 0x7f800000, v24
	v_cmp_ne_u32_e32 vcc, s97, v25
                                        ; implicit-def: $vgpr25
                                        ; kill: killed $vgpr25
	s_and_saveexec_b64 s[92:93], vcc
	s_xor_b64 s[92:93], exec, s[92:93]
	s_cbranch_execz .LBB12_3174
; %bb.3173:                             ;   in Loop: Header=BB12_3075 Depth=3
	v_bfe_u32 v25, v24, 16, 1
	v_add3_u32 v24, v24, v25, s46
	buffer_store_dword v24, off, s[0:3], s33 offset:360 ; 4-byte Folded Spill
                                        ; implicit-def: $vgpr24
.LBB12_3174:                            ;   in Loop: Header=BB12_3075 Depth=3
	s_andn2_saveexec_b64 s[92:93], s[92:93]
	s_cbranch_execz .LBB12_3176
; %bb.3175:                             ;   in Loop: Header=BB12_3075 Depth=3
	buffer_load_dword v26, off, s[0:3], s33 offset:128 ; 4-byte Folded Reload
	buffer_load_dword v27, off, s[0:3], s33 offset:132 ; 4-byte Folded Reload
	v_or_b32_e32 v25, 0x10000, v24
	s_waitcnt vmcnt(1)
	v_cmp_eq_u32_sdwa vcc, v24, v26 src0_sel:WORD_0 src1_sel:DWORD
	v_cndmask_b32_e32 v24, v25, v24, vcc
	buffer_store_dword v24, off, s[0:3], s33 offset:360 ; 4-byte Folded Spill
.LBB12_3176:                            ;   in Loop: Header=BB12_3075 Depth=3
	s_or_b64 exec, exec, s[92:93]
	buffer_load_dword v24, off, s[0:3], s33 offset:184 ; 4-byte Folded Reload
	buffer_load_dword v25, off, s[0:3], s33 offset:188 ; 4-byte Folded Reload
	;; [unrolled: 1-line block ×4, first 2 shown]
                                        ; implicit-def: $vgpr34
	s_waitcnt vmcnt(3)
	v_and_b32_e32 v24, 0xffff0000, v24
	v_mul_f32_e32 v24, v61, v24
	s_waitcnt vmcnt(2)
	v_and_b32_e32 v25, 0x7f800000, v24
	v_cmp_ne_u32_e32 vcc, s97, v25
	s_and_saveexec_b64 s[92:93], vcc
	s_xor_b64 s[92:93], exec, s[92:93]
; %bb.3177:                             ;   in Loop: Header=BB12_3075 Depth=3
	v_bfe_u32 v25, v24, 16, 1
	v_add3_u32 v34, v24, v25, s46
                                        ; implicit-def: $vgpr24
; %bb.3178:                             ;   in Loop: Header=BB12_3075 Depth=3
	s_andn2_saveexec_b64 s[92:93], s[92:93]
	s_cbranch_execz .LBB12_3180
; %bb.3179:                             ;   in Loop: Header=BB12_3075 Depth=3
	buffer_load_dword v26, off, s[0:3], s33 offset:128 ; 4-byte Folded Reload
	buffer_load_dword v27, off, s[0:3], s33 offset:132 ; 4-byte Folded Reload
	v_or_b32_e32 v25, 0x10000, v24
	s_waitcnt vmcnt(1)
	v_cmp_eq_u32_sdwa vcc, v24, v26 src0_sel:WORD_0 src1_sel:DWORD
	v_cndmask_b32_e32 v34, v25, v24, vcc
.LBB12_3180:                            ;   in Loop: Header=BB12_3075 Depth=3
	s_or_b64 exec, exec, s[92:93]
	buffer_load_dword v24, off, s[0:3], s33 offset:184 ; 4-byte Folded Reload
	buffer_load_dword v25, off, s[0:3], s33 offset:188 ; 4-byte Folded Reload
	;; [unrolled: 1-line block ×4, first 2 shown]
                                        ; implicit-def: $vgpr35
	s_waitcnt vmcnt(2)
	v_lshlrev_b32_e32 v24, 16, v25
	v_mul_f32_e32 v24, v61, v24
	v_and_b32_e32 v25, 0x7f800000, v24
	v_cmp_ne_u32_e32 vcc, s97, v25
	s_and_saveexec_b64 s[92:93], vcc
	s_xor_b64 s[92:93], exec, s[92:93]
; %bb.3181:                             ;   in Loop: Header=BB12_3075 Depth=3
	v_bfe_u32 v25, v24, 16, 1
	v_add3_u32 v35, v24, v25, s46
                                        ; implicit-def: $vgpr24
; %bb.3182:                             ;   in Loop: Header=BB12_3075 Depth=3
	s_andn2_saveexec_b64 s[92:93], s[92:93]
	s_cbranch_execz .LBB12_3184
; %bb.3183:                             ;   in Loop: Header=BB12_3075 Depth=3
	buffer_load_dword v26, off, s[0:3], s33 offset:128 ; 4-byte Folded Reload
	buffer_load_dword v27, off, s[0:3], s33 offset:132 ; 4-byte Folded Reload
	v_or_b32_e32 v25, 0x10000, v24
	s_waitcnt vmcnt(1)
	v_cmp_eq_u32_sdwa vcc, v24, v26 src0_sel:WORD_0 src1_sel:DWORD
	v_cndmask_b32_e32 v35, v25, v24, vcc
.LBB12_3184:                            ;   in Loop: Header=BB12_3075 Depth=3
	s_or_b64 exec, exec, s[92:93]
	buffer_load_dword v24, off, s[0:3], s33 offset:184 ; 4-byte Folded Reload
	buffer_load_dword v25, off, s[0:3], s33 offset:188 ; 4-byte Folded Reload
	;; [unrolled: 1-line block ×4, first 2 shown]
                                        ; implicit-def: $vgpr32
	s_waitcnt vmcnt(2)
	v_and_b32_e32 v24, 0xffff0000, v25
	v_mul_f32_e32 v24, v61, v24
	v_and_b32_e32 v25, 0x7f800000, v24
	v_cmp_ne_u32_e32 vcc, s97, v25
	s_and_saveexec_b64 s[92:93], vcc
	s_xor_b64 s[92:93], exec, s[92:93]
; %bb.3185:                             ;   in Loop: Header=BB12_3075 Depth=3
	v_bfe_u32 v25, v24, 16, 1
	v_add3_u32 v32, v24, v25, s46
                                        ; implicit-def: $vgpr24
; %bb.3186:                             ;   in Loop: Header=BB12_3075 Depth=3
	s_andn2_saveexec_b64 s[92:93], s[92:93]
	s_cbranch_execz .LBB12_3188
; %bb.3187:                             ;   in Loop: Header=BB12_3075 Depth=3
	buffer_load_dword v26, off, s[0:3], s33 offset:128 ; 4-byte Folded Reload
	buffer_load_dword v27, off, s[0:3], s33 offset:132 ; 4-byte Folded Reload
	v_or_b32_e32 v25, 0x10000, v24
	s_waitcnt vmcnt(1)
	v_cmp_eq_u32_sdwa vcc, v24, v26 src0_sel:WORD_0 src1_sel:DWORD
	v_cndmask_b32_e32 v32, v25, v24, vcc
.LBB12_3188:                            ;   in Loop: Header=BB12_3075 Depth=3
	s_or_b64 exec, exec, s[92:93]
	buffer_load_dword v24, off, s[0:3], s33 offset:184 ; 4-byte Folded Reload
	buffer_load_dword v25, off, s[0:3], s33 offset:188 ; 4-byte Folded Reload
	;; [unrolled: 1-line block ×4, first 2 shown]
                                        ; implicit-def: $vgpr33
	s_waitcnt vmcnt(1)
	v_lshlrev_b32_e32 v24, 16, v26
	v_mul_f32_e32 v24, v61, v24
	v_and_b32_e32 v25, 0x7f800000, v24
	v_cmp_ne_u32_e32 vcc, s97, v25
	s_and_saveexec_b64 s[92:93], vcc
	s_xor_b64 s[92:93], exec, s[92:93]
; %bb.3189:                             ;   in Loop: Header=BB12_3075 Depth=3
	v_bfe_u32 v25, v24, 16, 1
	v_add3_u32 v33, v24, v25, s46
                                        ; implicit-def: $vgpr24
; %bb.3190:                             ;   in Loop: Header=BB12_3075 Depth=3
	s_andn2_saveexec_b64 s[92:93], s[92:93]
	s_cbranch_execz .LBB12_3192
; %bb.3191:                             ;   in Loop: Header=BB12_3075 Depth=3
	buffer_load_dword v26, off, s[0:3], s33 offset:128 ; 4-byte Folded Reload
	buffer_load_dword v27, off, s[0:3], s33 offset:132 ; 4-byte Folded Reload
	v_or_b32_e32 v25, 0x10000, v24
	s_waitcnt vmcnt(1)
	v_cmp_eq_u32_sdwa vcc, v24, v26 src0_sel:WORD_0 src1_sel:DWORD
	v_cndmask_b32_e32 v33, v25, v24, vcc
.LBB12_3192:                            ;   in Loop: Header=BB12_3075 Depth=3
	s_or_b64 exec, exec, s[92:93]
	buffer_load_dword v24, off, s[0:3], s33 offset:184 ; 4-byte Folded Reload
	buffer_load_dword v25, off, s[0:3], s33 offset:188 ; 4-byte Folded Reload
	;; [unrolled: 1-line block ×4, first 2 shown]
	s_waitcnt vmcnt(1)
	v_and_b32_e32 v24, 0xffff0000, v26
	v_mul_f32_e32 v24, v61, v24
	v_and_b32_e32 v25, 0x7f800000, v24
	v_cmp_ne_u32_e32 vcc, s97, v25
                                        ; implicit-def: $vgpr25
                                        ; kill: killed $vgpr25
	s_and_saveexec_b64 s[92:93], vcc
	s_xor_b64 s[92:93], exec, s[92:93]
	s_cbranch_execz .LBB12_3194
; %bb.3193:                             ;   in Loop: Header=BB12_3075 Depth=3
	v_bfe_u32 v25, v24, 16, 1
	v_add3_u32 v24, v24, v25, s46
	buffer_store_dword v24, off, s[0:3], s33 offset:340 ; 4-byte Folded Spill
                                        ; implicit-def: $vgpr24
.LBB12_3194:                            ;   in Loop: Header=BB12_3075 Depth=3
	s_andn2_saveexec_b64 s[92:93], s[92:93]
	s_cbranch_execz .LBB12_3196
; %bb.3195:                             ;   in Loop: Header=BB12_3075 Depth=3
	buffer_load_dword v26, off, s[0:3], s33 offset:128 ; 4-byte Folded Reload
	buffer_load_dword v27, off, s[0:3], s33 offset:132 ; 4-byte Folded Reload
	v_or_b32_e32 v25, 0x10000, v24
	s_waitcnt vmcnt(1)
	v_cmp_eq_u32_sdwa vcc, v24, v26 src0_sel:WORD_0 src1_sel:DWORD
	v_cndmask_b32_e32 v24, v25, v24, vcc
	buffer_store_dword v24, off, s[0:3], s33 offset:340 ; 4-byte Folded Spill
.LBB12_3196:                            ;   in Loop: Header=BB12_3075 Depth=3
	s_or_b64 exec, exec, s[92:93]
	buffer_load_dword v24, off, s[0:3], s33 offset:184 ; 4-byte Folded Reload
	buffer_load_dword v25, off, s[0:3], s33 offset:188 ; 4-byte Folded Reload
	;; [unrolled: 1-line block ×4, first 2 shown]
	s_waitcnt vmcnt(0)
	v_lshlrev_b32_e32 v24, 16, v27
	v_mul_f32_e32 v24, v61, v24
	v_and_b32_e32 v25, 0x7f800000, v24
	v_cmp_ne_u32_e32 vcc, s97, v25
                                        ; implicit-def: $vgpr25
                                        ; kill: killed $vgpr25
	s_and_saveexec_b64 s[92:93], vcc
	s_xor_b64 s[92:93], exec, s[92:93]
	s_cbranch_execz .LBB12_3198
; %bb.3197:                             ;   in Loop: Header=BB12_3075 Depth=3
	v_bfe_u32 v25, v24, 16, 1
	v_add3_u32 v24, v24, v25, s46
	buffer_store_dword v24, off, s[0:3], s33 offset:344 ; 4-byte Folded Spill
                                        ; implicit-def: $vgpr24
.LBB12_3198:                            ;   in Loop: Header=BB12_3075 Depth=3
	s_andn2_saveexec_b64 s[92:93], s[92:93]
	s_cbranch_execz .LBB12_3200
; %bb.3199:                             ;   in Loop: Header=BB12_3075 Depth=3
	buffer_load_dword v26, off, s[0:3], s33 offset:128 ; 4-byte Folded Reload
	buffer_load_dword v27, off, s[0:3], s33 offset:132 ; 4-byte Folded Reload
	v_or_b32_e32 v25, 0x10000, v24
	s_waitcnt vmcnt(1)
	v_cmp_eq_u32_sdwa vcc, v24, v26 src0_sel:WORD_0 src1_sel:DWORD
	v_cndmask_b32_e32 v24, v25, v24, vcc
	buffer_store_dword v24, off, s[0:3], s33 offset:344 ; 4-byte Folded Spill
.LBB12_3200:                            ;   in Loop: Header=BB12_3075 Depth=3
	s_or_b64 exec, exec, s[92:93]
	buffer_load_dword v24, off, s[0:3], s33 offset:184 ; 4-byte Folded Reload
	buffer_load_dword v25, off, s[0:3], s33 offset:188 ; 4-byte Folded Reload
	;; [unrolled: 1-line block ×4, first 2 shown]
	s_waitcnt vmcnt(0)
	v_and_b32_e32 v24, 0xffff0000, v27
	v_mul_f32_e32 v24, v61, v24
	v_and_b32_e32 v25, 0x7f800000, v24
	v_cmp_ne_u32_e32 vcc, s97, v25
                                        ; implicit-def: $vgpr25
                                        ; kill: killed $vgpr25
	s_and_saveexec_b64 s[92:93], vcc
	s_xor_b64 s[92:93], exec, s[92:93]
	s_cbranch_execz .LBB12_3202
; %bb.3201:                             ;   in Loop: Header=BB12_3075 Depth=3
	v_bfe_u32 v25, v24, 16, 1
	v_add3_u32 v24, v24, v25, s46
	buffer_store_dword v24, off, s[0:3], s33 offset:332 ; 4-byte Folded Spill
                                        ; implicit-def: $vgpr24
.LBB12_3202:                            ;   in Loop: Header=BB12_3075 Depth=3
	s_andn2_saveexec_b64 s[92:93], s[92:93]
	s_cbranch_execz .LBB12_3204
; %bb.3203:                             ;   in Loop: Header=BB12_3075 Depth=3
	buffer_load_dword v26, off, s[0:3], s33 offset:128 ; 4-byte Folded Reload
	buffer_load_dword v27, off, s[0:3], s33 offset:132 ; 4-byte Folded Reload
	v_or_b32_e32 v25, 0x10000, v24
	s_waitcnt vmcnt(1)
	v_cmp_eq_u32_sdwa vcc, v24, v26 src0_sel:WORD_0 src1_sel:DWORD
	v_cndmask_b32_e32 v24, v25, v24, vcc
	buffer_store_dword v24, off, s[0:3], s33 offset:332 ; 4-byte Folded Spill
.LBB12_3204:                            ;   in Loop: Header=BB12_3075 Depth=3
	s_or_b64 exec, exec, s[92:93]
	buffer_load_dword v24, off, s[0:3], s33 offset:284 ; 4-byte Folded Reload
	buffer_load_dword v25, off, s[0:3], s33 offset:288 ; 4-byte Folded Reload
	;; [unrolled: 1-line block ×4, first 2 shown]
	v_and_b32_e32 v21, 0xffff0000, v21
	s_waitcnt vmcnt(3)
	v_lshlrev_b32_e32 v24, 16, v24
	v_add_f32_e32 v21, v24, v21
	v_and_b32_e32 v24, 0x7f800000, v21
	v_cmp_ne_u32_e32 vcc, s97, v24
                                        ; implicit-def: $vgpr24
                                        ; kill: killed $vgpr24
	s_and_saveexec_b64 s[92:93], vcc
	s_xor_b64 s[92:93], exec, s[92:93]
	s_cbranch_execz .LBB12_3206
; %bb.3205:                             ;   in Loop: Header=BB12_3075 Depth=3
	v_bfe_u32 v24, v21, 16, 1
	v_add3_u32 v21, v21, v24, s46
	buffer_store_dword v21, off, s[0:3], s33 offset:184 ; 4-byte Folded Spill
                                        ; implicit-def: $vgpr21
.LBB12_3206:                            ;   in Loop: Header=BB12_3075 Depth=3
	s_andn2_saveexec_b64 s[92:93], s[92:93]
	s_cbranch_execz .LBB12_3208
; %bb.3207:                             ;   in Loop: Header=BB12_3075 Depth=3
	buffer_load_dword v25, off, s[0:3], s33 offset:128 ; 4-byte Folded Reload
	buffer_load_dword v26, off, s[0:3], s33 offset:132 ; 4-byte Folded Reload
	v_or_b32_e32 v24, 0x10000, v21
	s_waitcnt vmcnt(1)
	v_cmp_eq_u32_sdwa vcc, v21, v25 src0_sel:WORD_0 src1_sel:DWORD
	v_cndmask_b32_e32 v21, v24, v21, vcc
	buffer_store_dword v21, off, s[0:3], s33 offset:184 ; 4-byte Folded Spill
.LBB12_3208:                            ;   in Loop: Header=BB12_3075 Depth=3
	s_or_b64 exec, exec, s[92:93]
	buffer_load_dword v24, off, s[0:3], s33 offset:284 ; 4-byte Folded Reload
	buffer_load_dword v25, off, s[0:3], s33 offset:288 ; 4-byte Folded Reload
	;; [unrolled: 1-line block ×4, first 2 shown]
	s_waitcnt vmcnt(3)
	v_and_b32_e32 v21, 0xffff0000, v24
	v_and_b32_e32 v24, 0xffff0000, v60
	v_add_f32_e32 v21, v21, v24
	v_and_b32_e32 v24, 0x7f800000, v21
	v_cmp_ne_u32_e32 vcc, s97, v24
                                        ; implicit-def: $vgpr24
                                        ; kill: killed $vgpr24
	s_and_saveexec_b64 s[92:93], vcc
	s_xor_b64 s[92:93], exec, s[92:93]
	s_cbranch_execz .LBB12_3210
; %bb.3209:                             ;   in Loop: Header=BB12_3075 Depth=3
	v_bfe_u32 v24, v21, 16, 1
	v_add3_u32 v21, v21, v24, s46
	buffer_store_dword v21, off, s[0:3], s33 offset:352 ; 4-byte Folded Spill
                                        ; implicit-def: $vgpr21
.LBB12_3210:                            ;   in Loop: Header=BB12_3075 Depth=3
	s_andn2_saveexec_b64 s[92:93], s[92:93]
	s_cbranch_execz .LBB12_3212
; %bb.3211:                             ;   in Loop: Header=BB12_3075 Depth=3
	buffer_load_dword v25, off, s[0:3], s33 offset:128 ; 4-byte Folded Reload
	buffer_load_dword v26, off, s[0:3], s33 offset:132 ; 4-byte Folded Reload
	v_or_b32_e32 v24, 0x10000, v21
	s_waitcnt vmcnt(1)
	v_cmp_eq_u32_sdwa vcc, v21, v25 src0_sel:WORD_0 src1_sel:DWORD
	v_cndmask_b32_e32 v21, v24, v21, vcc
	buffer_store_dword v21, off, s[0:3], s33 offset:352 ; 4-byte Folded Spill
.LBB12_3212:                            ;   in Loop: Header=BB12_3075 Depth=3
	s_or_b64 exec, exec, s[92:93]
	buffer_load_dword v24, off, s[0:3], s33 offset:284 ; 4-byte Folded Reload
	buffer_load_dword v25, off, s[0:3], s33 offset:288 ; 4-byte Folded Reload
	;; [unrolled: 1-line block ×4, first 2 shown]
	v_and_b32_e32 v20, 0xffff0000, v20
	s_waitcnt vmcnt(2)
	v_lshlrev_b32_e32 v21, 16, v25
	v_add_f32_e32 v20, v21, v20
	v_and_b32_e32 v21, 0x7f800000, v20
	v_cmp_ne_u32_e32 vcc, s97, v21
                                        ; implicit-def: $vgpr21
                                        ; kill: killed $vgpr21
	s_and_saveexec_b64 s[92:93], vcc
	s_xor_b64 s[92:93], exec, s[92:93]
	s_cbranch_execz .LBB12_3214
; %bb.3213:                             ;   in Loop: Header=BB12_3075 Depth=3
	v_bfe_u32 v21, v20, 16, 1
	v_add3_u32 v20, v20, v21, s46
	buffer_store_dword v20, off, s[0:3], s33 offset:448 ; 4-byte Folded Spill
                                        ; implicit-def: $vgpr20
.LBB12_3214:                            ;   in Loop: Header=BB12_3075 Depth=3
	s_andn2_saveexec_b64 s[92:93], s[92:93]
	s_cbranch_execz .LBB12_3216
; %bb.3215:                             ;   in Loop: Header=BB12_3075 Depth=3
	buffer_load_dword v24, off, s[0:3], s33 offset:128 ; 4-byte Folded Reload
	buffer_load_dword v25, off, s[0:3], s33 offset:132 ; 4-byte Folded Reload
	v_or_b32_e32 v21, 0x10000, v20
	s_waitcnt vmcnt(1)
	v_cmp_eq_u32_sdwa vcc, v20, v24 src0_sel:WORD_0 src1_sel:DWORD
	v_cndmask_b32_e32 v20, v21, v20, vcc
	buffer_store_dword v20, off, s[0:3], s33 offset:448 ; 4-byte Folded Spill
.LBB12_3216:                            ;   in Loop: Header=BB12_3075 Depth=3
	s_or_b64 exec, exec, s[92:93]
	buffer_load_dword v24, off, s[0:3], s33 offset:284 ; 4-byte Folded Reload
	buffer_load_dword v25, off, s[0:3], s33 offset:288 ; 4-byte Folded Reload
	buffer_load_dword v26, off, s[0:3], s33 offset:292 ; 4-byte Folded Reload
	buffer_load_dword v27, off, s[0:3], s33 offset:296 ; 4-byte Folded Reload
	v_and_b32_e32 v21, 0xffff0000, v28
	s_waitcnt vmcnt(2)
	v_and_b32_e32 v20, 0xffff0000, v25
	v_add_f32_e32 v20, v20, v21
	v_and_b32_e32 v21, 0x7f800000, v20
	v_cmp_ne_u32_e32 vcc, s97, v21
                                        ; implicit-def: $vgpr21
                                        ; kill: killed $vgpr21
	s_and_saveexec_b64 s[92:93], vcc
	s_xor_b64 s[92:93], exec, s[92:93]
	s_cbranch_execz .LBB12_3218
; %bb.3217:                             ;   in Loop: Header=BB12_3075 Depth=3
	v_bfe_u32 v21, v20, 16, 1
	v_add3_u32 v20, v20, v21, s46
	buffer_store_dword v20, off, s[0:3], s33 offset:452 ; 4-byte Folded Spill
                                        ; implicit-def: $vgpr20
.LBB12_3218:                            ;   in Loop: Header=BB12_3075 Depth=3
	s_andn2_saveexec_b64 s[92:93], s[92:93]
	s_cbranch_execz .LBB12_3220
; %bb.3219:                             ;   in Loop: Header=BB12_3075 Depth=3
	buffer_load_dword v24, off, s[0:3], s33 offset:128 ; 4-byte Folded Reload
	buffer_load_dword v25, off, s[0:3], s33 offset:132 ; 4-byte Folded Reload
	v_or_b32_e32 v21, 0x10000, v20
	s_waitcnt vmcnt(1)
	v_cmp_eq_u32_sdwa vcc, v20, v24 src0_sel:WORD_0 src1_sel:DWORD
	v_cndmask_b32_e32 v20, v21, v20, vcc
	buffer_store_dword v20, off, s[0:3], s33 offset:452 ; 4-byte Folded Spill
.LBB12_3220:                            ;   in Loop: Header=BB12_3075 Depth=3
	s_or_b64 exec, exec, s[92:93]
	buffer_load_dword v24, off, s[0:3], s33 offset:284 ; 4-byte Folded Reload
	buffer_load_dword v25, off, s[0:3], s33 offset:288 ; 4-byte Folded Reload
	;; [unrolled: 1-line block ×4, first 2 shown]
	v_and_b32_e32 v20, 0xffff0000, v29
	s_waitcnt vmcnt(1)
	v_lshlrev_b32_e32 v21, 16, v26
	v_add_f32_e32 v20, v21, v20
	v_and_b32_e32 v21, 0x7f800000, v20
	v_cmp_ne_u32_e32 vcc, s97, v21
                                        ; implicit-def: $vgpr21
                                        ; kill: killed $vgpr21
	s_and_saveexec_b64 s[92:93], vcc
	s_xor_b64 s[92:93], exec, s[92:93]
	s_cbranch_execz .LBB12_3222
; %bb.3221:                             ;   in Loop: Header=BB12_3075 Depth=3
	v_bfe_u32 v21, v20, 16, 1
	v_add3_u32 v20, v20, v21, s46
	buffer_store_dword v20, off, s[0:3], s33 offset:456 ; 4-byte Folded Spill
                                        ; implicit-def: $vgpr20
.LBB12_3222:                            ;   in Loop: Header=BB12_3075 Depth=3
	s_andn2_saveexec_b64 s[92:93], s[92:93]
	s_cbranch_execz .LBB12_3224
; %bb.3223:                             ;   in Loop: Header=BB12_3075 Depth=3
	buffer_load_dword v24, off, s[0:3], s33 offset:128 ; 4-byte Folded Reload
	buffer_load_dword v25, off, s[0:3], s33 offset:132 ; 4-byte Folded Reload
	v_or_b32_e32 v21, 0x10000, v20
	s_waitcnt vmcnt(1)
	v_cmp_eq_u32_sdwa vcc, v20, v24 src0_sel:WORD_0 src1_sel:DWORD
	v_cndmask_b32_e32 v20, v21, v20, vcc
	buffer_store_dword v20, off, s[0:3], s33 offset:456 ; 4-byte Folded Spill
.LBB12_3224:                            ;   in Loop: Header=BB12_3075 Depth=3
	s_or_b64 exec, exec, s[92:93]
	buffer_load_dword v24, off, s[0:3], s33 offset:284 ; 4-byte Folded Reload
	buffer_load_dword v25, off, s[0:3], s33 offset:288 ; 4-byte Folded Reload
	buffer_load_dword v26, off, s[0:3], s33 offset:292 ; 4-byte Folded Reload
	buffer_load_dword v27, off, s[0:3], s33 offset:296 ; 4-byte Folded Reload
	v_and_b32_e32 v21, 0xffff0000, v22
	s_waitcnt vmcnt(1)
	v_and_b32_e32 v20, 0xffff0000, v26
	v_add_f32_e32 v20, v20, v21
	v_and_b32_e32 v21, 0x7f800000, v20
	v_cmp_ne_u32_e32 vcc, s97, v21
                                        ; implicit-def: $vgpr21
                                        ; kill: killed $vgpr21
	s_and_saveexec_b64 s[92:93], vcc
	s_xor_b64 s[92:93], exec, s[92:93]
	s_cbranch_execz .LBB12_3226
; %bb.3225:                             ;   in Loop: Header=BB12_3075 Depth=3
	v_bfe_u32 v21, v20, 16, 1
	v_add3_u32 v20, v20, v21, s46
	buffer_store_dword v20, off, s[0:3], s33 offset:460 ; 4-byte Folded Spill
                                        ; implicit-def: $vgpr20
.LBB12_3226:                            ;   in Loop: Header=BB12_3075 Depth=3
	s_andn2_saveexec_b64 s[92:93], s[92:93]
	s_cbranch_execz .LBB12_3228
; %bb.3227:                             ;   in Loop: Header=BB12_3075 Depth=3
	buffer_load_dword v24, off, s[0:3], s33 offset:128 ; 4-byte Folded Reload
	buffer_load_dword v25, off, s[0:3], s33 offset:132 ; 4-byte Folded Reload
	v_or_b32_e32 v21, 0x10000, v20
	s_waitcnt vmcnt(1)
	v_cmp_eq_u32_sdwa vcc, v20, v24 src0_sel:WORD_0 src1_sel:DWORD
	v_cndmask_b32_e32 v20, v21, v20, vcc
	buffer_store_dword v20, off, s[0:3], s33 offset:460 ; 4-byte Folded Spill
.LBB12_3228:                            ;   in Loop: Header=BB12_3075 Depth=3
	s_or_b64 exec, exec, s[92:93]
	v_and_b32_e32 v20, 0xffff0000, v23
	buffer_load_dword v21, off, s[0:3], s33 offset:284 ; 4-byte Folded Reload
	buffer_load_dword v22, off, s[0:3], s33 offset:288 ; 4-byte Folded Reload
	buffer_load_dword v23, off, s[0:3], s33 offset:292 ; 4-byte Folded Reload
	buffer_load_dword v24, off, s[0:3], s33 offset:296 ; 4-byte Folded Reload
	s_waitcnt vmcnt(0)
	v_lshlrev_b32_e32 v21, 16, v24
	v_add_f32_e32 v20, v21, v20
	v_and_b32_e32 v21, 0x7f800000, v20
	v_cmp_ne_u32_e32 vcc, s97, v21
                                        ; implicit-def: $vgpr21
                                        ; kill: killed $vgpr21
	s_and_saveexec_b64 s[92:93], vcc
	s_xor_b64 s[92:93], exec, s[92:93]
	s_cbranch_execz .LBB12_3230
; %bb.3229:                             ;   in Loop: Header=BB12_3075 Depth=3
	v_bfe_u32 v21, v20, 16, 1
	v_add3_u32 v20, v20, v21, s46
	buffer_store_dword v20, off, s[0:3], s33 offset:464 ; 4-byte Folded Spill
                                        ; implicit-def: $vgpr20
.LBB12_3230:                            ;   in Loop: Header=BB12_3075 Depth=3
	s_andn2_saveexec_b64 s[92:93], s[92:93]
	s_cbranch_execz .LBB12_3232
; %bb.3231:                             ;   in Loop: Header=BB12_3075 Depth=3
	buffer_load_dword v22, off, s[0:3], s33 offset:128 ; 4-byte Folded Reload
	buffer_load_dword v23, off, s[0:3], s33 offset:132 ; 4-byte Folded Reload
	v_or_b32_e32 v21, 0x10000, v20
	s_waitcnt vmcnt(1)
	v_cmp_eq_u32_sdwa vcc, v20, v22 src0_sel:WORD_0 src1_sel:DWORD
	v_cndmask_b32_e32 v20, v21, v20, vcc
	buffer_store_dword v20, off, s[0:3], s33 offset:464 ; 4-byte Folded Spill
.LBB12_3232:                            ;   in Loop: Header=BB12_3075 Depth=3
	s_or_b64 exec, exec, s[92:93]
	buffer_load_dword v20, off, s[0:3], s33 offset:284 ; 4-byte Folded Reload
	buffer_load_dword v21, off, s[0:3], s33 offset:288 ; 4-byte Folded Reload
	;; [unrolled: 1-line block ×4, first 2 shown]
	s_waitcnt vmcnt(2)
	v_and_b32_e32 v21, 0xffff0000, v30
	s_waitcnt vmcnt(0)
	v_and_b32_e32 v20, 0xffff0000, v23
	v_add_f32_e32 v20, v20, v21
	v_and_b32_e32 v21, 0x7f800000, v20
	v_cmp_ne_u32_e32 vcc, s97, v21
                                        ; implicit-def: $vgpr21
                                        ; kill: killed $vgpr21
	s_and_saveexec_b64 s[92:93], vcc
	s_xor_b64 s[92:93], exec, s[92:93]
	s_cbranch_execz .LBB12_3234
; %bb.3233:                             ;   in Loop: Header=BB12_3075 Depth=3
	v_bfe_u32 v21, v20, 16, 1
	v_add3_u32 v20, v20, v21, s46
	buffer_store_dword v20, off, s[0:3], s33 offset:468 ; 4-byte Folded Spill
                                        ; implicit-def: $vgpr20
.LBB12_3234:                            ;   in Loop: Header=BB12_3075 Depth=3
	s_andn2_saveexec_b64 s[92:93], s[92:93]
	s_cbranch_execz .LBB12_3236
; %bb.3235:                             ;   in Loop: Header=BB12_3075 Depth=3
	buffer_load_dword v22, off, s[0:3], s33 offset:128 ; 4-byte Folded Reload
	buffer_load_dword v23, off, s[0:3], s33 offset:132 ; 4-byte Folded Reload
	v_or_b32_e32 v21, 0x10000, v20
	s_waitcnt vmcnt(1)
	v_cmp_eq_u32_sdwa vcc, v20, v22 src0_sel:WORD_0 src1_sel:DWORD
	v_cndmask_b32_e32 v20, v21, v20, vcc
	buffer_store_dword v20, off, s[0:3], s33 offset:468 ; 4-byte Folded Spill
.LBB12_3236:                            ;   in Loop: Header=BB12_3075 Depth=3
	s_or_b64 exec, exec, s[92:93]
	buffer_load_dword v21, off, s[0:3], s33 offset:240 ; 4-byte Folded Reload
	buffer_load_dword v22, off, s[0:3], s33 offset:244 ; 4-byte Folded Reload
	;; [unrolled: 1-line block ×4, first 2 shown]
	v_and_b32_e32 v20, 0xffff0000, v31
	s_waitcnt vmcnt(3)
	v_lshlrev_b32_e32 v21, 16, v21
	v_add_f32_e32 v20, v21, v20
	v_and_b32_e32 v21, 0x7f800000, v20
	v_cmp_ne_u32_e32 vcc, s97, v21
                                        ; implicit-def: $vgpr21
                                        ; kill: killed $vgpr21
	s_and_saveexec_b64 s[92:93], vcc
	s_xor_b64 s[92:93], exec, s[92:93]
	s_cbranch_execz .LBB12_3238
; %bb.3237:                             ;   in Loop: Header=BB12_3075 Depth=3
	v_bfe_u32 v21, v20, 16, 1
	v_add3_u32 v20, v20, v21, s46
	buffer_store_dword v20, off, s[0:3], s33 offset:472 ; 4-byte Folded Spill
                                        ; implicit-def: $vgpr20
.LBB12_3238:                            ;   in Loop: Header=BB12_3075 Depth=3
	s_andn2_saveexec_b64 s[92:93], s[92:93]
	s_cbranch_execz .LBB12_3240
; %bb.3239:                             ;   in Loop: Header=BB12_3075 Depth=3
	buffer_load_dword v22, off, s[0:3], s33 offset:128 ; 4-byte Folded Reload
	buffer_load_dword v23, off, s[0:3], s33 offset:132 ; 4-byte Folded Reload
	v_or_b32_e32 v21, 0x10000, v20
	s_waitcnt vmcnt(1)
	v_cmp_eq_u32_sdwa vcc, v20, v22 src0_sel:WORD_0 src1_sel:DWORD
	v_cndmask_b32_e32 v20, v21, v20, vcc
	buffer_store_dword v20, off, s[0:3], s33 offset:472 ; 4-byte Folded Spill
.LBB12_3240:                            ;   in Loop: Header=BB12_3075 Depth=3
	s_or_b64 exec, exec, s[92:93]
	buffer_load_dword v20, off, s[0:3], s33 offset:240 ; 4-byte Folded Reload
	buffer_load_dword v21, off, s[0:3], s33 offset:244 ; 4-byte Folded Reload
	;; [unrolled: 1-line block ×5, first 2 shown]
	s_waitcnt vmcnt(4)
	v_and_b32_e32 v20, 0xffff0000, v20
	s_waitcnt vmcnt(0)
	v_and_b32_e32 v21, 0xffff0000, v21
	v_add_f32_e32 v20, v20, v21
	v_and_b32_e32 v21, 0x7f800000, v20
	v_cmp_ne_u32_e32 vcc, s97, v21
                                        ; implicit-def: $vgpr21
                                        ; kill: killed $vgpr21
	s_and_saveexec_b64 s[92:93], vcc
	s_xor_b64 s[92:93], exec, s[92:93]
	s_cbranch_execz .LBB12_3242
; %bb.3241:                             ;   in Loop: Header=BB12_3075 Depth=3
	v_bfe_u32 v21, v20, 16, 1
	v_add3_u32 v20, v20, v21, s46
	buffer_store_dword v20, off, s[0:3], s33 offset:444 ; 4-byte Folded Spill
                                        ; implicit-def: $vgpr20
.LBB12_3242:                            ;   in Loop: Header=BB12_3075 Depth=3
	s_andn2_saveexec_b64 s[92:93], s[92:93]
	s_cbranch_execz .LBB12_3244
; %bb.3243:                             ;   in Loop: Header=BB12_3075 Depth=3
	buffer_load_dword v22, off, s[0:3], s33 offset:128 ; 4-byte Folded Reload
	buffer_load_dword v23, off, s[0:3], s33 offset:132 ; 4-byte Folded Reload
	v_or_b32_e32 v21, 0x10000, v20
	s_waitcnt vmcnt(1)
	v_cmp_eq_u32_sdwa vcc, v20, v22 src0_sel:WORD_0 src1_sel:DWORD
	v_cndmask_b32_e32 v20, v21, v20, vcc
	buffer_store_dword v20, off, s[0:3], s33 offset:444 ; 4-byte Folded Spill
.LBB12_3244:                            ;   in Loop: Header=BB12_3075 Depth=3
	s_or_b64 exec, exec, s[92:93]
	buffer_load_dword v21, off, s[0:3], s33 offset:240 ; 4-byte Folded Reload
	buffer_load_dword v22, off, s[0:3], s33 offset:244 ; 4-byte Folded Reload
	;; [unrolled: 1-line block ×4, first 2 shown]
	v_and_b32_e32 v20, 0xffff0000, v44
	s_waitcnt vmcnt(2)
	v_lshlrev_b32_e32 v21, 16, v22
	v_add_f32_e32 v20, v21, v20
	v_and_b32_e32 v21, 0x7f800000, v20
	v_cmp_ne_u32_e32 vcc, s97, v21
                                        ; implicit-def: $vgpr21
                                        ; kill: killed $vgpr21
	s_and_saveexec_b64 s[92:93], vcc
	s_xor_b64 s[92:93], exec, s[92:93]
	s_cbranch_execz .LBB12_3246
; %bb.3245:                             ;   in Loop: Header=BB12_3075 Depth=3
	v_bfe_u32 v21, v20, 16, 1
	v_add3_u32 v20, v20, v21, s46
	buffer_store_dword v20, off, s[0:3], s33 offset:476 ; 4-byte Folded Spill
                                        ; implicit-def: $vgpr20
.LBB12_3246:                            ;   in Loop: Header=BB12_3075 Depth=3
	s_andn2_saveexec_b64 s[92:93], s[92:93]
	s_cbranch_execz .LBB12_3248
; %bb.3247:                             ;   in Loop: Header=BB12_3075 Depth=3
	buffer_load_dword v22, off, s[0:3], s33 offset:128 ; 4-byte Folded Reload
	buffer_load_dword v23, off, s[0:3], s33 offset:132 ; 4-byte Folded Reload
	v_or_b32_e32 v21, 0x10000, v20
	s_waitcnt vmcnt(1)
	v_cmp_eq_u32_sdwa vcc, v20, v22 src0_sel:WORD_0 src1_sel:DWORD
	v_cndmask_b32_e32 v20, v21, v20, vcc
	buffer_store_dword v20, off, s[0:3], s33 offset:476 ; 4-byte Folded Spill
.LBB12_3248:                            ;   in Loop: Header=BB12_3075 Depth=3
	s_or_b64 exec, exec, s[92:93]
	buffer_load_dword v20, off, s[0:3], s33 offset:240 ; 4-byte Folded Reload
	buffer_load_dword v21, off, s[0:3], s33 offset:244 ; 4-byte Folded Reload
	;; [unrolled: 1-line block ×4, first 2 shown]
                                        ; implicit-def: $vgpr31
	s_waitcnt vmcnt(2)
	v_and_b32_e32 v20, 0xffff0000, v21
	v_and_b32_e32 v21, 0xffff0000, v45
	v_add_f32_e32 v20, v20, v21
	v_and_b32_e32 v21, 0x7f800000, v20
	v_cmp_ne_u32_e32 vcc, s97, v21
	s_and_saveexec_b64 s[92:93], vcc
	s_xor_b64 s[92:93], exec, s[92:93]
; %bb.3249:                             ;   in Loop: Header=BB12_3075 Depth=3
	v_bfe_u32 v21, v20, 16, 1
	v_add3_u32 v31, v20, v21, s46
                                        ; implicit-def: $vgpr20
; %bb.3250:                             ;   in Loop: Header=BB12_3075 Depth=3
	s_andn2_saveexec_b64 s[92:93], s[92:93]
	s_cbranch_execz .LBB12_3252
; %bb.3251:                             ;   in Loop: Header=BB12_3075 Depth=3
	buffer_load_dword v22, off, s[0:3], s33 offset:128 ; 4-byte Folded Reload
	buffer_load_dword v23, off, s[0:3], s33 offset:132 ; 4-byte Folded Reload
	v_or_b32_e32 v21, 0x10000, v20
	s_waitcnt vmcnt(1)
	v_cmp_eq_u32_sdwa vcc, v20, v22 src0_sel:WORD_0 src1_sel:DWORD
	v_cndmask_b32_e32 v31, v21, v20, vcc
.LBB12_3252:                            ;   in Loop: Header=BB12_3075 Depth=3
	s_or_b64 exec, exec, s[92:93]
	buffer_load_dword v20, off, s[0:3], s33 offset:440 ; 4-byte Folded Reload
	buffer_load_dword v21, off, s[0:3], s33 offset:240 ; 4-byte Folded Reload
	;; [unrolled: 1-line block ×5, first 2 shown]
                                        ; implicit-def: $vgpr30
	s_waitcnt vmcnt(1)
	v_lshlrev_b32_e32 v21, 16, v23
	v_and_b32_e32 v20, 0xffff0000, v20
	v_add_f32_e32 v20, v21, v20
	v_and_b32_e32 v21, 0x7f800000, v20
	v_cmp_ne_u32_e32 vcc, s97, v21
	s_and_saveexec_b64 s[92:93], vcc
	s_xor_b64 s[92:93], exec, s[92:93]
; %bb.3253:                             ;   in Loop: Header=BB12_3075 Depth=3
	v_bfe_u32 v21, v20, 16, 1
	v_add3_u32 v30, v20, v21, s46
                                        ; implicit-def: $vgpr20
; %bb.3254:                             ;   in Loop: Header=BB12_3075 Depth=3
	s_andn2_saveexec_b64 s[92:93], s[92:93]
	s_cbranch_execz .LBB12_3256
; %bb.3255:                             ;   in Loop: Header=BB12_3075 Depth=3
	buffer_load_dword v22, off, s[0:3], s33 offset:128 ; 4-byte Folded Reload
	buffer_load_dword v23, off, s[0:3], s33 offset:132 ; 4-byte Folded Reload
	v_or_b32_e32 v21, 0x10000, v20
	s_waitcnt vmcnt(1)
	v_cmp_eq_u32_sdwa vcc, v20, v22 src0_sel:WORD_0 src1_sel:DWORD
	v_cndmask_b32_e32 v30, v21, v20, vcc
.LBB12_3256:                            ;   in Loop: Header=BB12_3075 Depth=3
	s_or_b64 exec, exec, s[92:93]
	buffer_load_dword v20, off, s[0:3], s33 offset:240 ; 4-byte Folded Reload
	buffer_load_dword v21, off, s[0:3], s33 offset:244 ; 4-byte Folded Reload
	;; [unrolled: 1-line block ×5, first 2 shown]
                                        ; implicit-def: $vgpr29
	s_waitcnt vmcnt(2)
	v_and_b32_e32 v20, 0xffff0000, v22
	s_waitcnt vmcnt(0)
	v_and_b32_e32 v21, 0xffff0000, v21
	v_add_f32_e32 v20, v20, v21
	v_and_b32_e32 v21, 0x7f800000, v20
	v_cmp_ne_u32_e32 vcc, s97, v21
	s_and_saveexec_b64 s[92:93], vcc
	s_xor_b64 s[92:93], exec, s[92:93]
; %bb.3257:                             ;   in Loop: Header=BB12_3075 Depth=3
	v_bfe_u32 v21, v20, 16, 1
	v_add3_u32 v29, v20, v21, s46
                                        ; implicit-def: $vgpr20
; %bb.3258:                             ;   in Loop: Header=BB12_3075 Depth=3
	s_andn2_saveexec_b64 s[92:93], s[92:93]
	s_cbranch_execz .LBB12_3260
; %bb.3259:                             ;   in Loop: Header=BB12_3075 Depth=3
	buffer_load_dword v22, off, s[0:3], s33 offset:128 ; 4-byte Folded Reload
	buffer_load_dword v23, off, s[0:3], s33 offset:132 ; 4-byte Folded Reload
	v_or_b32_e32 v21, 0x10000, v20
	s_waitcnt vmcnt(1)
	v_cmp_eq_u32_sdwa vcc, v20, v22 src0_sel:WORD_0 src1_sel:DWORD
	v_cndmask_b32_e32 v29, v21, v20, vcc
.LBB12_3260:                            ;   in Loop: Header=BB12_3075 Depth=3
	s_or_b64 exec, exec, s[92:93]
	buffer_load_dword v21, off, s[0:3], s33 offset:240 ; 4-byte Folded Reload
	buffer_load_dword v22, off, s[0:3], s33 offset:244 ; 4-byte Folded Reload
	;; [unrolled: 1-line block ×4, first 2 shown]
	v_and_b32_e32 v20, 0xffff0000, v46
                                        ; implicit-def: $vgpr28
	s_waitcnt vmcnt(0)
	v_lshlrev_b32_e32 v21, 16, v24
	v_add_f32_e32 v20, v21, v20
	v_and_b32_e32 v21, 0x7f800000, v20
	v_cmp_ne_u32_e32 vcc, s97, v21
	s_and_saveexec_b64 s[92:93], vcc
	s_xor_b64 s[92:93], exec, s[92:93]
; %bb.3261:                             ;   in Loop: Header=BB12_3075 Depth=3
	v_bfe_u32 v21, v20, 16, 1
	v_add3_u32 v28, v20, v21, s46
                                        ; implicit-def: $vgpr20
; %bb.3262:                             ;   in Loop: Header=BB12_3075 Depth=3
	s_andn2_saveexec_b64 s[92:93], s[92:93]
	s_cbranch_execz .LBB12_3264
; %bb.3263:                             ;   in Loop: Header=BB12_3075 Depth=3
	buffer_load_dword v22, off, s[0:3], s33 offset:128 ; 4-byte Folded Reload
	buffer_load_dword v23, off, s[0:3], s33 offset:132 ; 4-byte Folded Reload
	v_or_b32_e32 v21, 0x10000, v20
	s_waitcnt vmcnt(1)
	v_cmp_eq_u32_sdwa vcc, v20, v22 src0_sel:WORD_0 src1_sel:DWORD
	v_cndmask_b32_e32 v28, v21, v20, vcc
.LBB12_3264:                            ;   in Loop: Header=BB12_3075 Depth=3
	s_or_b64 exec, exec, s[92:93]
	buffer_load_dword v20, off, s[0:3], s33 offset:240 ; 4-byte Folded Reload
	buffer_load_dword v21, off, s[0:3], s33 offset:244 ; 4-byte Folded Reload
	;; [unrolled: 1-line block ×4, first 2 shown]
	s_waitcnt vmcnt(2)
	v_and_b32_e32 v21, 0xffff0000, v47
                                        ; implicit-def: $vgpr47
	s_waitcnt vmcnt(0)
	v_and_b32_e32 v20, 0xffff0000, v23
	v_add_f32_e32 v20, v20, v21
	v_and_b32_e32 v21, 0x7f800000, v20
	v_cmp_ne_u32_e32 vcc, s97, v21
	s_and_saveexec_b64 s[92:93], vcc
	s_xor_b64 s[92:93], exec, s[92:93]
; %bb.3265:                             ;   in Loop: Header=BB12_3075 Depth=3
	v_bfe_u32 v21, v20, 16, 1
	v_add3_u32 v47, v20, v21, s46
                                        ; implicit-def: $vgpr20
; %bb.3266:                             ;   in Loop: Header=BB12_3075 Depth=3
	s_andn2_saveexec_b64 s[92:93], s[92:93]
	s_cbranch_execz .LBB12_3268
; %bb.3267:                             ;   in Loop: Header=BB12_3075 Depth=3
	buffer_load_dword v22, off, s[0:3], s33 offset:128 ; 4-byte Folded Reload
	buffer_load_dword v23, off, s[0:3], s33 offset:132 ; 4-byte Folded Reload
	v_or_b32_e32 v21, 0x10000, v20
	s_waitcnt vmcnt(1)
	v_cmp_eq_u32_sdwa vcc, v20, v22 src0_sel:WORD_0 src1_sel:DWORD
	v_cndmask_b32_e32 v47, v21, v20, vcc
.LBB12_3268:                            ;   in Loop: Header=BB12_3075 Depth=3
	s_or_b64 exec, exec, s[92:93]
	buffer_load_dword v20, off, s[0:3], s33 offset:376 ; 4-byte Folded Reload
	buffer_load_dword v21, off, s[0:3], s33 offset:216 ; 4-byte Folded Reload
	;; [unrolled: 1-line block ×5, first 2 shown]
                                        ; implicit-def: $vgpr44
	s_waitcnt vmcnt(3)
	v_lshlrev_b32_e32 v21, 16, v21
	v_and_b32_e32 v20, 0xffff0000, v20
	v_add_f32_e32 v20, v21, v20
	v_and_b32_e32 v21, 0x7f800000, v20
	v_cmp_ne_u32_e32 vcc, s97, v21
	s_and_saveexec_b64 s[92:93], vcc
	s_xor_b64 s[92:93], exec, s[92:93]
; %bb.3269:                             ;   in Loop: Header=BB12_3075 Depth=3
	v_bfe_u32 v21, v20, 16, 1
	v_add3_u32 v44, v20, v21, s46
                                        ; implicit-def: $vgpr20
; %bb.3270:                             ;   in Loop: Header=BB12_3075 Depth=3
	s_andn2_saveexec_b64 s[92:93], s[92:93]
	s_cbranch_execz .LBB12_3272
; %bb.3271:                             ;   in Loop: Header=BB12_3075 Depth=3
	buffer_load_dword v22, off, s[0:3], s33 offset:128 ; 4-byte Folded Reload
	buffer_load_dword v23, off, s[0:3], s33 offset:132 ; 4-byte Folded Reload
	v_or_b32_e32 v21, 0x10000, v20
	s_waitcnt vmcnt(1)
	v_cmp_eq_u32_sdwa vcc, v20, v22 src0_sel:WORD_0 src1_sel:DWORD
	v_cndmask_b32_e32 v44, v21, v20, vcc
.LBB12_3272:                            ;   in Loop: Header=BB12_3075 Depth=3
	s_or_b64 exec, exec, s[92:93]
	buffer_load_dword v20, off, s[0:3], s33 offset:216 ; 4-byte Folded Reload
	buffer_load_dword v21, off, s[0:3], s33 offset:220 ; 4-byte Folded Reload
	;; [unrolled: 1-line block ×4, first 2 shown]
	s_waitcnt vmcnt(2)
	v_and_b32_e32 v21, 0xffff0000, v48
                                        ; implicit-def: $vgpr48
	v_and_b32_e32 v20, 0xffff0000, v20
	v_add_f32_e32 v20, v20, v21
	v_and_b32_e32 v21, 0x7f800000, v20
	v_cmp_ne_u32_e32 vcc, s97, v21
	s_and_saveexec_b64 s[92:93], vcc
	s_xor_b64 s[92:93], exec, s[92:93]
; %bb.3273:                             ;   in Loop: Header=BB12_3075 Depth=3
	v_bfe_u32 v21, v20, 16, 1
	v_add3_u32 v48, v20, v21, s46
                                        ; implicit-def: $vgpr20
; %bb.3274:                             ;   in Loop: Header=BB12_3075 Depth=3
	s_andn2_saveexec_b64 s[92:93], s[92:93]
	s_cbranch_execz .LBB12_3276
; %bb.3275:                             ;   in Loop: Header=BB12_3075 Depth=3
	buffer_load_dword v22, off, s[0:3], s33 offset:128 ; 4-byte Folded Reload
	buffer_load_dword v23, off, s[0:3], s33 offset:132 ; 4-byte Folded Reload
	v_or_b32_e32 v21, 0x10000, v20
	s_waitcnt vmcnt(1)
	v_cmp_eq_u32_sdwa vcc, v20, v22 src0_sel:WORD_0 src1_sel:DWORD
	v_cndmask_b32_e32 v48, v21, v20, vcc
.LBB12_3276:                            ;   in Loop: Header=BB12_3075 Depth=3
	s_or_b64 exec, exec, s[92:93]
	buffer_load_dword v20, off, s[0:3], s33 offset:372 ; 4-byte Folded Reload
	buffer_load_dword v21, off, s[0:3], s33 offset:216 ; 4-byte Folded Reload
	;; [unrolled: 1-line block ×5, first 2 shown]
                                        ; implicit-def: $vgpr45
	s_waitcnt vmcnt(2)
	v_lshlrev_b32_e32 v21, 16, v22
	v_and_b32_e32 v20, 0xffff0000, v20
	v_add_f32_e32 v20, v21, v20
	v_and_b32_e32 v21, 0x7f800000, v20
	v_cmp_ne_u32_e32 vcc, s97, v21
	s_and_saveexec_b64 s[92:93], vcc
	s_xor_b64 s[92:93], exec, s[92:93]
; %bb.3277:                             ;   in Loop: Header=BB12_3075 Depth=3
	v_bfe_u32 v21, v20, 16, 1
	v_add3_u32 v45, v20, v21, s46
                                        ; implicit-def: $vgpr20
; %bb.3278:                             ;   in Loop: Header=BB12_3075 Depth=3
	s_andn2_saveexec_b64 s[92:93], s[92:93]
	s_cbranch_execz .LBB12_3280
; %bb.3279:                             ;   in Loop: Header=BB12_3075 Depth=3
	buffer_load_dword v22, off, s[0:3], s33 offset:128 ; 4-byte Folded Reload
	buffer_load_dword v23, off, s[0:3], s33 offset:132 ; 4-byte Folded Reload
	v_or_b32_e32 v21, 0x10000, v20
	s_waitcnt vmcnt(1)
	v_cmp_eq_u32_sdwa vcc, v20, v22 src0_sel:WORD_0 src1_sel:DWORD
	v_cndmask_b32_e32 v45, v21, v20, vcc
.LBB12_3280:                            ;   in Loop: Header=BB12_3075 Depth=3
	s_or_b64 exec, exec, s[92:93]
	buffer_load_dword v20, off, s[0:3], s33 offset:216 ; 4-byte Folded Reload
	buffer_load_dword v21, off, s[0:3], s33 offset:220 ; 4-byte Folded Reload
	buffer_load_dword v22, off, s[0:3], s33 offset:224 ; 4-byte Folded Reload
	buffer_load_dword v23, off, s[0:3], s33 offset:228 ; 4-byte Folded Reload
	s_waitcnt vmcnt(2)
	v_and_b32_e32 v20, 0xffff0000, v21
	v_and_b32_e32 v21, 0xffff0000, v49
	v_add_f32_e32 v20, v20, v21
	v_and_b32_e32 v21, 0x7f800000, v20
	v_cmp_ne_u32_e32 vcc, s97, v21
                                        ; implicit-def: $vgpr49
	s_and_saveexec_b64 s[92:93], vcc
	s_xor_b64 s[92:93], exec, s[92:93]
; %bb.3281:                             ;   in Loop: Header=BB12_3075 Depth=3
	v_bfe_u32 v21, v20, 16, 1
	v_add3_u32 v49, v20, v21, s46
                                        ; implicit-def: $vgpr20
; %bb.3282:                             ;   in Loop: Header=BB12_3075 Depth=3
	s_andn2_saveexec_b64 s[92:93], s[92:93]
	s_cbranch_execz .LBB12_3284
; %bb.3283:                             ;   in Loop: Header=BB12_3075 Depth=3
	buffer_load_dword v22, off, s[0:3], s33 offset:128 ; 4-byte Folded Reload
	buffer_load_dword v23, off, s[0:3], s33 offset:132 ; 4-byte Folded Reload
	v_or_b32_e32 v21, 0x10000, v20
	s_waitcnt vmcnt(1)
	v_cmp_eq_u32_sdwa vcc, v20, v22 src0_sel:WORD_0 src1_sel:DWORD
	v_cndmask_b32_e32 v49, v21, v20, vcc
.LBB12_3284:                            ;   in Loop: Header=BB12_3075 Depth=3
	s_or_b64 exec, exec, s[92:93]
	buffer_load_dword v20, off, s[0:3], s33 offset:368 ; 4-byte Folded Reload
	buffer_load_dword v21, off, s[0:3], s33 offset:216 ; 4-byte Folded Reload
	;; [unrolled: 1-line block ×5, first 2 shown]
                                        ; implicit-def: $vgpr46
	s_waitcnt vmcnt(1)
	v_lshlrev_b32_e32 v21, 16, v23
	v_and_b32_e32 v20, 0xffff0000, v20
	v_add_f32_e32 v20, v21, v20
	v_and_b32_e32 v21, 0x7f800000, v20
	v_cmp_ne_u32_e32 vcc, s97, v21
	s_and_saveexec_b64 s[92:93], vcc
	s_xor_b64 s[92:93], exec, s[92:93]
; %bb.3285:                             ;   in Loop: Header=BB12_3075 Depth=3
	v_bfe_u32 v21, v20, 16, 1
	v_add3_u32 v46, v20, v21, s46
                                        ; implicit-def: $vgpr20
; %bb.3286:                             ;   in Loop: Header=BB12_3075 Depth=3
	s_andn2_saveexec_b64 s[92:93], s[92:93]
	s_cbranch_execz .LBB12_3288
; %bb.3287:                             ;   in Loop: Header=BB12_3075 Depth=3
	buffer_load_dword v22, off, s[0:3], s33 offset:128 ; 4-byte Folded Reload
	buffer_load_dword v23, off, s[0:3], s33 offset:132 ; 4-byte Folded Reload
	v_or_b32_e32 v21, 0x10000, v20
	s_waitcnt vmcnt(1)
	v_cmp_eq_u32_sdwa vcc, v20, v22 src0_sel:WORD_0 src1_sel:DWORD
	v_cndmask_b32_e32 v46, v21, v20, vcc
.LBB12_3288:                            ;   in Loop: Header=BB12_3075 Depth=3
	s_or_b64 exec, exec, s[92:93]
	buffer_load_dword v20, off, s[0:3], s33 offset:216 ; 4-byte Folded Reload
	buffer_load_dword v21, off, s[0:3], s33 offset:220 ; 4-byte Folded Reload
	;; [unrolled: 1-line block ×5, first 2 shown]
                                        ; implicit-def: $vgpr51
	s_waitcnt vmcnt(2)
	v_and_b32_e32 v20, 0xffff0000, v22
	s_waitcnt vmcnt(0)
	v_and_b32_e32 v21, 0xffff0000, v21
	v_add_f32_e32 v20, v20, v21
	v_and_b32_e32 v21, 0x7f800000, v20
	v_cmp_ne_u32_e32 vcc, s97, v21
	s_and_saveexec_b64 s[92:93], vcc
	s_xor_b64 s[92:93], exec, s[92:93]
; %bb.3289:                             ;   in Loop: Header=BB12_3075 Depth=3
	v_bfe_u32 v21, v20, 16, 1
	v_add3_u32 v51, v20, v21, s46
                                        ; implicit-def: $vgpr20
; %bb.3290:                             ;   in Loop: Header=BB12_3075 Depth=3
	s_andn2_saveexec_b64 s[92:93], s[92:93]
	s_cbranch_execz .LBB12_3292
; %bb.3291:                             ;   in Loop: Header=BB12_3075 Depth=3
	buffer_load_dword v22, off, s[0:3], s33 offset:128 ; 4-byte Folded Reload
	buffer_load_dword v23, off, s[0:3], s33 offset:132 ; 4-byte Folded Reload
	v_or_b32_e32 v21, 0x10000, v20
	s_waitcnt vmcnt(1)
	v_cmp_eq_u32_sdwa vcc, v20, v22 src0_sel:WORD_0 src1_sel:DWORD
	v_cndmask_b32_e32 v51, v21, v20, vcc
.LBB12_3292:                            ;   in Loop: Header=BB12_3075 Depth=3
	s_or_b64 exec, exec, s[92:93]
	buffer_load_dword v21, off, s[0:3], s33 offset:216 ; 4-byte Folded Reload
	buffer_load_dword v22, off, s[0:3], s33 offset:220 ; 4-byte Folded Reload
	;; [unrolled: 1-line block ×4, first 2 shown]
	v_and_b32_e32 v20, 0xffff0000, v50
	s_waitcnt vmcnt(0)
	v_lshlrev_b32_e32 v21, 16, v24
	v_add_f32_e32 v21, v21, v20
	v_and_b32_e32 v20, 0x7f800000, v21
	v_cmp_ne_u32_e32 vcc, s97, v20
                                        ; implicit-def: $vgpr20
	s_and_saveexec_b64 s[92:93], vcc
	s_xor_b64 s[92:93], exec, s[92:93]
; %bb.3293:                             ;   in Loop: Header=BB12_3075 Depth=3
	v_bfe_u32 v20, v21, 16, 1
	v_add3_u32 v20, v21, v20, s46
                                        ; implicit-def: $vgpr21
; %bb.3294:                             ;   in Loop: Header=BB12_3075 Depth=3
	s_andn2_saveexec_b64 s[92:93], s[92:93]
	s_cbranch_execz .LBB12_3296
; %bb.3295:                             ;   in Loop: Header=BB12_3075 Depth=3
	buffer_load_dword v22, off, s[0:3], s33 offset:128 ; 4-byte Folded Reload
	buffer_load_dword v23, off, s[0:3], s33 offset:132 ; 4-byte Folded Reload
	v_or_b32_e32 v20, 0x10000, v21
	s_waitcnt vmcnt(1)
	v_cmp_eq_u32_sdwa vcc, v21, v22 src0_sel:WORD_0 src1_sel:DWORD
	v_cndmask_b32_e32 v20, v20, v21, vcc
.LBB12_3296:                            ;   in Loop: Header=BB12_3075 Depth=3
	s_or_b64 exec, exec, s[92:93]
	buffer_load_dword v21, off, s[0:3], s33 offset:216 ; 4-byte Folded Reload
	buffer_load_dword v22, off, s[0:3], s33 offset:220 ; 4-byte Folded Reload
	;; [unrolled: 1-line block ×5, first 2 shown]
	s_waitcnt vmcnt(1)
	v_and_b32_e32 v21, 0xffff0000, v24
	s_waitcnt vmcnt(0)
	v_and_b32_e32 v22, 0xffff0000, v22
	v_add_f32_e32 v22, v21, v22
	v_and_b32_e32 v21, 0x7f800000, v22
	v_cmp_ne_u32_e32 vcc, s97, v21
                                        ; implicit-def: $vgpr21
	s_and_saveexec_b64 s[92:93], vcc
	s_xor_b64 s[92:93], exec, s[92:93]
; %bb.3297:                             ;   in Loop: Header=BB12_3075 Depth=3
	v_bfe_u32 v21, v22, 16, 1
	v_add3_u32 v21, v22, v21, s46
                                        ; implicit-def: $vgpr22
; %bb.3298:                             ;   in Loop: Header=BB12_3075 Depth=3
	s_andn2_saveexec_b64 s[92:93], s[92:93]
	s_cbranch_execz .LBB12_3300
; %bb.3299:                             ;   in Loop: Header=BB12_3075 Depth=3
	buffer_load_dword v23, off, s[0:3], s33 offset:128 ; 4-byte Folded Reload
	buffer_load_dword v24, off, s[0:3], s33 offset:132 ; 4-byte Folded Reload
	v_or_b32_e32 v21, 0x10000, v22
	s_waitcnt vmcnt(1)
	v_cmp_eq_u32_sdwa vcc, v22, v23 src0_sel:WORD_0 src1_sel:DWORD
	v_cndmask_b32_e32 v21, v21, v22, vcc
.LBB12_3300:                            ;   in Loop: Header=BB12_3075 Depth=3
	s_or_b64 exec, exec, s[92:93]
	buffer_load_dword v22, off, s[0:3], s33 offset:360 ; 4-byte Folded Reload
	buffer_load_dword v23, off, s[0:3], s33 offset:200 ; 4-byte Folded Reload
	;; [unrolled: 1-line block ×5, first 2 shown]
                                        ; implicit-def: $vgpr60
	s_waitcnt vmcnt(3)
	v_lshlrev_b32_e32 v23, 16, v23
	v_and_b32_e32 v22, 0xffff0000, v22
	v_add_f32_e32 v22, v23, v22
	v_and_b32_e32 v23, 0x7f800000, v22
	v_cmp_ne_u32_e32 vcc, s97, v23
	s_and_saveexec_b64 s[92:93], vcc
	s_xor_b64 s[92:93], exec, s[92:93]
; %bb.3301:                             ;   in Loop: Header=BB12_3075 Depth=3
	v_bfe_u32 v23, v22, 16, 1
	v_add3_u32 v60, v22, v23, s46
                                        ; implicit-def: $vgpr22
; %bb.3302:                             ;   in Loop: Header=BB12_3075 Depth=3
	s_andn2_saveexec_b64 s[92:93], s[92:93]
	s_cbranch_execz .LBB12_3304
; %bb.3303:                             ;   in Loop: Header=BB12_3075 Depth=3
	buffer_load_dword v24, off, s[0:3], s33 offset:128 ; 4-byte Folded Reload
	buffer_load_dword v25, off, s[0:3], s33 offset:132 ; 4-byte Folded Reload
	v_or_b32_e32 v23, 0x10000, v22
	s_waitcnt vmcnt(1)
	v_cmp_eq_u32_sdwa vcc, v22, v24 src0_sel:WORD_0 src1_sel:DWORD
	v_cndmask_b32_e32 v60, v23, v22, vcc
.LBB12_3304:                            ;   in Loop: Header=BB12_3075 Depth=3
	s_or_b64 exec, exec, s[92:93]
	buffer_load_dword v22, off, s[0:3], s33 offset:200 ; 4-byte Folded Reload
	buffer_load_dword v23, off, s[0:3], s33 offset:204 ; 4-byte Folded Reload
	;; [unrolled: 1-line block ×4, first 2 shown]
	s_waitcnt vmcnt(2)
	v_and_b32_e32 v23, 0xffff0000, v34
	v_and_b32_e32 v22, 0xffff0000, v22
	v_add_f32_e32 v23, v22, v23
	v_and_b32_e32 v22, 0x7f800000, v23
	v_cmp_ne_u32_e32 vcc, s97, v22
                                        ; implicit-def: $vgpr22
	s_and_saveexec_b64 s[92:93], vcc
	s_xor_b64 s[92:93], exec, s[92:93]
; %bb.3305:                             ;   in Loop: Header=BB12_3075 Depth=3
	v_bfe_u32 v22, v23, 16, 1
	v_add3_u32 v22, v23, v22, s46
                                        ; implicit-def: $vgpr23
; %bb.3306:                             ;   in Loop: Header=BB12_3075 Depth=3
	s_andn2_saveexec_b64 s[92:93], s[92:93]
	s_cbranch_execz .LBB12_3308
; %bb.3307:                             ;   in Loop: Header=BB12_3075 Depth=3
	buffer_load_dword v24, off, s[0:3], s33 offset:128 ; 4-byte Folded Reload
	buffer_load_dword v25, off, s[0:3], s33 offset:132 ; 4-byte Folded Reload
	v_or_b32_e32 v22, 0x10000, v23
	s_waitcnt vmcnt(1)
	v_cmp_eq_u32_sdwa vcc, v23, v24 src0_sel:WORD_0 src1_sel:DWORD
	v_cndmask_b32_e32 v22, v22, v23, vcc
.LBB12_3308:                            ;   in Loop: Header=BB12_3075 Depth=3
	s_or_b64 exec, exec, s[92:93]
	buffer_load_dword v24, off, s[0:3], s33 offset:200 ; 4-byte Folded Reload
	buffer_load_dword v25, off, s[0:3], s33 offset:204 ; 4-byte Folded Reload
	;; [unrolled: 1-line block ×4, first 2 shown]
	v_and_b32_e32 v23, 0xffff0000, v35
	s_waitcnt vmcnt(2)
	v_lshlrev_b32_e32 v24, 16, v25
	v_add_f32_e32 v24, v24, v23
	v_and_b32_e32 v23, 0x7f800000, v24
	v_cmp_ne_u32_e32 vcc, s97, v23
                                        ; implicit-def: $vgpr23
	s_and_saveexec_b64 s[92:93], vcc
	s_xor_b64 s[92:93], exec, s[92:93]
; %bb.3309:                             ;   in Loop: Header=BB12_3075 Depth=3
	v_bfe_u32 v23, v24, 16, 1
	v_add3_u32 v23, v24, v23, s46
                                        ; implicit-def: $vgpr24
; %bb.3310:                             ;   in Loop: Header=BB12_3075 Depth=3
	s_andn2_saveexec_b64 s[92:93], s[92:93]
	s_cbranch_execz .LBB12_3312
; %bb.3311:                             ;   in Loop: Header=BB12_3075 Depth=3
	buffer_load_dword v25, off, s[0:3], s33 offset:128 ; 4-byte Folded Reload
	buffer_load_dword v26, off, s[0:3], s33 offset:132 ; 4-byte Folded Reload
	v_or_b32_e32 v23, 0x10000, v24
	s_waitcnt vmcnt(1)
	v_cmp_eq_u32_sdwa vcc, v24, v25 src0_sel:WORD_0 src1_sel:DWORD
	v_cndmask_b32_e32 v23, v23, v24, vcc
.LBB12_3312:                            ;   in Loop: Header=BB12_3075 Depth=3
	s_or_b64 exec, exec, s[92:93]
	buffer_load_dword v24, off, s[0:3], s33 offset:200 ; 4-byte Folded Reload
	buffer_load_dword v25, off, s[0:3], s33 offset:204 ; 4-byte Folded Reload
	;; [unrolled: 1-line block ×4, first 2 shown]
                                        ; implicit-def: $vgpr26
	s_waitcnt vmcnt(2)
	v_and_b32_e32 v24, 0xffff0000, v25
	v_and_b32_e32 v25, 0xffff0000, v32
	v_add_f32_e32 v24, v24, v25
	v_and_b32_e32 v25, 0x7f800000, v24
	v_cmp_ne_u32_e32 vcc, s97, v25
	s_and_saveexec_b64 s[92:93], vcc
	s_xor_b64 s[92:93], exec, s[92:93]
	s_cbranch_execz .LBB12_3314
; %bb.3313:                             ;   in Loop: Header=BB12_3075 Depth=3
	v_bfe_u32 v25, v24, 16, 1
	s_waitcnt vmcnt(1)
	v_add3_u32 v26, v24, v25, s46
                                        ; implicit-def: $vgpr24
.LBB12_3314:                            ;   in Loop: Header=BB12_3075 Depth=3
	s_andn2_saveexec_b64 s[92:93], s[92:93]
	s_cbranch_execz .LBB12_3316
; %bb.3315:                             ;   in Loop: Header=BB12_3075 Depth=3
	buffer_load_dword v26, off, s[0:3], s33 offset:128 ; 4-byte Folded Reload
	buffer_load_dword v27, off, s[0:3], s33 offset:132 ; 4-byte Folded Reload
	v_or_b32_e32 v25, 0x10000, v24
	s_waitcnt vmcnt(1)
	v_cmp_eq_u32_sdwa vcc, v24, v26 src0_sel:WORD_0 src1_sel:DWORD
	v_cndmask_b32_e32 v26, v25, v24, vcc
.LBB12_3316:                            ;   in Loop: Header=BB12_3075 Depth=3
	s_or_b64 exec, exec, s[92:93]
	v_and_b32_e32 v24, 0xffff0000, v33
	buffer_load_dword v32, off, s[0:3], s33 offset:200 ; 4-byte Folded Reload
	buffer_load_dword v33, off, s[0:3], s33 offset:204 ; 4-byte Folded Reload
	;; [unrolled: 1-line block ×4, first 2 shown]
                                        ; implicit-def: $vgpr27
	s_waitcnt vmcnt(1)
	v_lshlrev_b32_e32 v25, 16, v34
	v_add_f32_e32 v24, v25, v24
	v_and_b32_e32 v25, 0x7f800000, v24
	v_cmp_ne_u32_e32 vcc, s97, v25
	s_and_saveexec_b64 s[92:93], vcc
	s_xor_b64 s[92:93], exec, s[92:93]
; %bb.3317:                             ;   in Loop: Header=BB12_3075 Depth=3
	v_bfe_u32 v25, v24, 16, 1
	v_add3_u32 v27, v24, v25, s46
                                        ; implicit-def: $vgpr24
; %bb.3318:                             ;   in Loop: Header=BB12_3075 Depth=3
	s_andn2_saveexec_b64 s[92:93], s[92:93]
	s_cbranch_execz .LBB12_3320
; %bb.3319:                             ;   in Loop: Header=BB12_3075 Depth=3
	buffer_load_dword v32, off, s[0:3], s33 offset:128 ; 4-byte Folded Reload
	buffer_load_dword v33, off, s[0:3], s33 offset:132 ; 4-byte Folded Reload
	v_or_b32_e32 v25, 0x10000, v24
	s_waitcnt vmcnt(1)
	v_cmp_eq_u32_sdwa vcc, v24, v32 src0_sel:WORD_0 src1_sel:DWORD
	v_cndmask_b32_e32 v27, v25, v24, vcc
.LBB12_3320:                            ;   in Loop: Header=BB12_3075 Depth=3
	s_or_b64 exec, exec, s[92:93]
	buffer_load_dword v32, off, s[0:3], s33 offset:200 ; 4-byte Folded Reload
	buffer_load_dword v33, off, s[0:3], s33 offset:204 ; 4-byte Folded Reload
	buffer_load_dword v34, off, s[0:3], s33 offset:208 ; 4-byte Folded Reload
	buffer_load_dword v35, off, s[0:3], s33 offset:212 ; 4-byte Folded Reload
	buffer_load_dword v25, off, s[0:3], s33 offset:340 ; 4-byte Folded Reload
	s_waitcnt vmcnt(2)
	v_and_b32_e32 v24, 0xffff0000, v34
	s_waitcnt vmcnt(0)
	v_and_b32_e32 v25, 0xffff0000, v25
	v_add_f32_e32 v25, v24, v25
	v_and_b32_e32 v24, 0x7f800000, v25
	v_cmp_ne_u32_e32 vcc, s97, v24
                                        ; implicit-def: $vgpr24
	s_and_saveexec_b64 s[92:93], vcc
	s_xor_b64 s[92:93], exec, s[92:93]
; %bb.3321:                             ;   in Loop: Header=BB12_3075 Depth=3
	v_bfe_u32 v24, v25, 16, 1
	v_add3_u32 v24, v25, v24, s46
                                        ; implicit-def: $vgpr25
; %bb.3322:                             ;   in Loop: Header=BB12_3075 Depth=3
	s_andn2_saveexec_b64 s[92:93], s[92:93]
	s_cbranch_execz .LBB12_3324
; %bb.3323:                             ;   in Loop: Header=BB12_3075 Depth=3
	buffer_load_dword v32, off, s[0:3], s33 offset:128 ; 4-byte Folded Reload
	buffer_load_dword v33, off, s[0:3], s33 offset:132 ; 4-byte Folded Reload
	v_or_b32_e32 v24, 0x10000, v25
	s_waitcnt vmcnt(1)
	v_cmp_eq_u32_sdwa vcc, v25, v32 src0_sel:WORD_0 src1_sel:DWORD
	v_cndmask_b32_e32 v24, v24, v25, vcc
.LBB12_3324:                            ;   in Loop: Header=BB12_3075 Depth=3
	s_or_b64 exec, exec, s[92:93]
	buffer_load_dword v25, off, s[0:3], s33 offset:344 ; 4-byte Folded Reload
	buffer_load_dword v32, off, s[0:3], s33 offset:200 ; 4-byte Folded Reload
	;; [unrolled: 1-line block ×5, first 2 shown]
	s_waitcnt vmcnt(4)
	v_and_b32_e32 v25, 0xffff0000, v25
	s_waitcnt vmcnt(0)
	v_lshlrev_b32_e32 v32, 16, v35
	v_add_f32_e32 v32, v32, v25
	v_and_b32_e32 v25, 0x7f800000, v32
	v_cmp_ne_u32_e32 vcc, s97, v25
                                        ; implicit-def: $vgpr25
	s_and_saveexec_b64 s[92:93], vcc
	s_xor_b64 s[92:93], exec, s[92:93]
; %bb.3325:                             ;   in Loop: Header=BB12_3075 Depth=3
	v_bfe_u32 v25, v32, 16, 1
	v_add3_u32 v25, v32, v25, s46
                                        ; implicit-def: $vgpr32
; %bb.3326:                             ;   in Loop: Header=BB12_3075 Depth=3
	s_andn2_saveexec_b64 s[92:93], s[92:93]
	s_cbranch_execz .LBB12_3328
; %bb.3327:                             ;   in Loop: Header=BB12_3075 Depth=3
	buffer_load_dword v33, off, s[0:3], s33 offset:128 ; 4-byte Folded Reload
	buffer_load_dword v34, off, s[0:3], s33 offset:132 ; 4-byte Folded Reload
	v_or_b32_e32 v25, 0x10000, v32
	s_waitcnt vmcnt(1)
	v_cmp_eq_u32_sdwa vcc, v32, v33 src0_sel:WORD_0 src1_sel:DWORD
	v_cndmask_b32_e32 v25, v25, v32, vcc
.LBB12_3328:                            ;   in Loop: Header=BB12_3075 Depth=3
	s_or_b64 exec, exec, s[92:93]
	buffer_load_dword v32, off, s[0:3], s33 offset:200 ; 4-byte Folded Reload
	buffer_load_dword v33, off, s[0:3], s33 offset:204 ; 4-byte Folded Reload
	;; [unrolled: 1-line block ×5, first 2 shown]
	s_waitcnt vmcnt(1)
	v_and_b32_e32 v32, 0xffff0000, v35
	s_waitcnt vmcnt(0)
	v_and_b32_e32 v33, 0xffff0000, v33
	v_add_f32_e32 v33, v32, v33
	v_and_b32_e32 v32, 0x7f800000, v33
	v_cmp_ne_u32_e32 vcc, s97, v32
                                        ; implicit-def: $vgpr32
	s_and_saveexec_b64 s[92:93], vcc
	s_xor_b64 s[92:93], exec, s[92:93]
; %bb.3329:                             ;   in Loop: Header=BB12_3075 Depth=3
	v_bfe_u32 v32, v33, 16, 1
	v_add3_u32 v32, v33, v32, s46
                                        ; implicit-def: $vgpr33
; %bb.3330:                             ;   in Loop: Header=BB12_3075 Depth=3
	s_andn2_saveexec_b64 s[92:93], s[92:93]
	s_cbranch_execz .LBB12_3332
; %bb.3331:                             ;   in Loop: Header=BB12_3075 Depth=3
	buffer_load_dword v34, off, s[0:3], s33 offset:128 ; 4-byte Folded Reload
	buffer_load_dword v35, off, s[0:3], s33 offset:132 ; 4-byte Folded Reload
	v_or_b32_e32 v32, 0x10000, v33
	s_waitcnt vmcnt(1)
	v_cmp_eq_u32_sdwa vcc, v33, v34 src0_sel:WORD_0 src1_sel:DWORD
	v_cndmask_b32_e32 v32, v32, v33, vcc
.LBB12_3332:                            ;   in Loop: Header=BB12_3075 Depth=3
	s_or_b64 exec, exec, s[92:93]
	v_lshrrev_b32_e32 v33, 16, v45
	v_and_or_b32 v49, v49, s47, v33
	v_lshrrev_b32_e32 v33, 16, v44
	v_and_or_b32 v48, v48, s47, v33
	v_lshrrev_b32_e32 v33, 16, v46
	v_lshrrev_b32_e32 v20, 16, v20
	v_and_or_b32 v50, v51, s47, v33
	v_and_or_b32 v51, v21, s47, v20
	buffer_load_dword v20, off, s[0:3], s33 offset:476 ; 4-byte Folded Reload
	buffer_load_dword v21, off, s[0:3], s33 offset:444 ; 4-byte Folded Reload
	s_waitcnt vmcnt(1)
	v_lshrrev_b32_e32 v20, 16, v20
	v_and_or_b32 v45, v31, s47, v20
	buffer_load_dword v20, off, s[0:3], s33 offset:472 ; 4-byte Folded Reload
	s_waitcnt vmcnt(0)
	v_lshrrev_b32_e32 v20, 16, v20
	v_and_or_b32 v44, v21, s47, v20
	v_lshrrev_b32_e32 v20, 16, v30
	v_and_or_b32 v46, v29, s47, v20
	v_lshrrev_b32_e32 v20, 16, v28
	v_and_or_b32 v47, v47, s47, v20
	buffer_load_dword v20, off, s[0:3], s33 offset:448 ; 4-byte Folded Reload
	buffer_load_dword v21, off, s[0:3], s33 offset:452 ; 4-byte Folded Reload
	s_waitcnt vmcnt(1)
	v_lshrrev_b32_e32 v20, 16, v20
	s_waitcnt vmcnt(0)
	v_and_or_b32 v29, v21, s47, v20
	buffer_load_dword v20, off, s[0:3], s33 offset:184 ; 4-byte Folded Reload
	buffer_load_dword v21, off, s[0:3], s33 offset:352 ; 4-byte Folded Reload
	s_waitcnt vmcnt(1)
	v_lshrrev_b32_e32 v20, 16, v20
	s_waitcnt vmcnt(0)
	v_and_or_b32 v28, v21, s47, v20
	;; [unrolled: 6-line block ×4, first 2 shown]
	v_lshrrev_b32_e32 v20, 16, v23
	v_and_or_b32 v23, v26, s47, v20
	v_lshrrev_b32_e32 v20, 16, v60
	v_and_or_b32 v22, v22, s47, v20
	;; [unrolled: 2-line block ×4, first 2 shown]
	global_store_dwordx4 v[16:17], v[28:31], off glc slc
	global_store_dwordx4 v[16:17], v[44:47], off offset:1024 glc slc
	global_store_dwordx4 v[16:17], v[48:51], off offset:2048 glc slc
	global_store_dwordx4 v[16:17], v[22:25], off offset:3072 glc slc
	global_store_dwordx4 v[14:15], v[28:31], off glc slc
	global_store_dwordx4 v[14:15], v[44:47], off offset:1024 glc slc
	global_store_dwordx4 v[14:15], v[48:51], off offset:2048 glc slc
	buffer_store_dword v22, off, s[0:3], s33 offset:184 ; 4-byte Folded Spill
	s_nop 0
	buffer_store_dword v23, off, s[0:3], s33 offset:188 ; 4-byte Folded Spill
	buffer_store_dword v24, off, s[0:3], s33 offset:192 ; 4-byte Folded Spill
	;; [unrolled: 1-line block ×3, first 2 shown]
	buffer_load_dword v20, off, s[0:3], s33 offset:264 ; 4-byte Folded Reload
	buffer_load_dword v21, off, s[0:3], s33 offset:268 ; 4-byte Folded Reload
	s_waitcnt vmcnt(1)
	v_add_co_u32_e32 v16, vcc, v16, v20
	s_waitcnt vmcnt(0)
	v_addc_co_u32_e32 v17, vcc, v17, v21, vcc
	global_store_dwordx4 v[14:15], v[22:25], off offset:3072 glc slc
	v_add_co_u32_e32 v14, vcc, v14, v20
	v_addc_co_u32_e32 v15, vcc, v15, v21, vcc
.LBB12_3333:                            ;   in Loop: Header=BB12_3075 Depth=3
	s_or_b64 exec, exec, s[94:95]
	buffer_load_dword v20, off, s[0:3], s33 offset:264 ; 4-byte Folded Reload
	buffer_load_dword v21, off, s[0:3], s33 offset:268 ; 4-byte Folded Reload
	s_waitcnt vmcnt(1)
	v_add_co_u32_e32 v18, vcc, v18, v20
	s_waitcnt vmcnt(0)
	v_addc_co_u32_e32 v19, vcc, v19, v21, vcc
	v_add_co_u32_e32 v0, vcc, v0, v20
	v_addc_co_u32_e32 v1, vcc, v1, v21, vcc
	buffer_load_dword v20, off, s[0:3], s33 offset:152 ; 4-byte Folded Reload
	buffer_load_dword v21, off, s[0:3], s33 offset:300 ; 4-byte Folded Reload
	s_waitcnt vmcnt(0)
	v_sub_u32_e32 v21, v21, v20
	v_cmp_lt_i32_e64 s[92:93], 0, v21
	buffer_store_dword v21, off, s[0:3], s33 offset:300 ; 4-byte Folded Spill
	s_and_saveexec_b64 s[94:95], s[92:93]
	s_cbranch_execz .LBB12_3335
; %bb.3334:                             ;   in Loop: Header=BB12_3075 Depth=3
	global_load_dwordx4 v[28:31], v[18:19], off glc slc
	global_load_dwordx4 v[44:47], v[18:19], off offset:1024 glc slc
	global_load_dwordx4 v[48:51], v[18:19], off offset:2048 glc slc
	;; [unrolled: 1-line block ×3, first 2 shown]
	v_add_co_u32_e32 v18, vcc, s81, v18
	v_addc_co_u32_e32 v19, vcc, 0, v19, vcc
	s_waitcnt vmcnt(0)
	buffer_store_dword v20, off, s[0:3], s33 offset:184 ; 4-byte Folded Spill
	s_nop 0
	buffer_store_dword v21, off, s[0:3], s33 offset:188 ; 4-byte Folded Spill
	buffer_store_dword v22, off, s[0:3], s33 offset:192 ; 4-byte Folded Spill
	buffer_store_dword v23, off, s[0:3], s33 offset:196 ; 4-byte Folded Spill
	global_load_dwordx4 v[20:23], v[0:1], off glc slc
	s_waitcnt vmcnt(0)
	buffer_store_dword v20, off, s[0:3], s33 offset:284 ; 4-byte Folded Spill
	s_nop 0
	buffer_store_dword v21, off, s[0:3], s33 offset:288 ; 4-byte Folded Spill
	buffer_store_dword v22, off, s[0:3], s33 offset:292 ; 4-byte Folded Spill
	buffer_store_dword v23, off, s[0:3], s33 offset:296 ; 4-byte Folded Spill
	global_load_dwordx4 v[20:23], v[0:1], off offset:1024 glc slc
	s_waitcnt vmcnt(0)
	buffer_store_dword v20, off, s[0:3], s33 offset:240 ; 4-byte Folded Spill
	s_nop 0
	buffer_store_dword v21, off, s[0:3], s33 offset:244 ; 4-byte Folded Spill
	buffer_store_dword v22, off, s[0:3], s33 offset:248 ; 4-byte Folded Spill
	buffer_store_dword v23, off, s[0:3], s33 offset:252 ; 4-byte Folded Spill
	global_load_dwordx4 v[20:23], v[0:1], off offset:2048 glc slc
	;; [unrolled: 7-line block ×3, first 2 shown]
	v_add_co_u32_e32 v0, vcc, 0x1000, v0
	v_addc_co_u32_e32 v1, vcc, 0, v1, vcc
	s_waitcnt vmcnt(0)
	buffer_store_dword v20, off, s[0:3], s33 offset:200 ; 4-byte Folded Spill
	s_nop 0
	buffer_store_dword v21, off, s[0:3], s33 offset:204 ; 4-byte Folded Spill
	buffer_store_dword v22, off, s[0:3], s33 offset:208 ; 4-byte Folded Spill
	;; [unrolled: 1-line block ×3, first 2 shown]
.LBB12_3335:                            ;   in Loop: Header=BB12_3075 Depth=3
	s_or_b64 exec, exec, s[94:95]
	v_lshlrev_b32_e32 v20, 16, v10
	v_mul_f32_e32 v20, v61, v20
	v_and_b32_e32 v21, 0x7f800000, v20
	v_cmp_ne_u32_e32 vcc, s97, v21
                                        ; implicit-def: $vgpr21
	s_and_saveexec_b64 s[94:95], vcc
	s_xor_b64 s[94:95], exec, s[94:95]
; %bb.3336:                             ;   in Loop: Header=BB12_3075 Depth=3
	v_bfe_u32 v21, v20, 16, 1
	v_add3_u32 v21, v20, v21, s46
                                        ; implicit-def: $vgpr20
; %bb.3337:                             ;   in Loop: Header=BB12_3075 Depth=3
	s_andn2_saveexec_b64 s[94:95], s[94:95]
	s_cbranch_execz .LBB12_3339
; %bb.3338:                             ;   in Loop: Header=BB12_3075 Depth=3
	buffer_load_dword v22, off, s[0:3], s33 offset:128 ; 4-byte Folded Reload
	buffer_load_dword v23, off, s[0:3], s33 offset:132 ; 4-byte Folded Reload
	v_or_b32_e32 v21, 0x10000, v20
	s_waitcnt vmcnt(1)
	v_cmp_eq_u32_sdwa vcc, v20, v22 src0_sel:WORD_0 src1_sel:DWORD
	v_cndmask_b32_e32 v21, v21, v20, vcc
.LBB12_3339:                            ;   in Loop: Header=BB12_3075 Depth=3
	s_or_b64 exec, exec, s[94:95]
	v_and_b32_e32 v10, 0xffff0000, v10
	v_mul_f32_e32 v10, v61, v10
	v_and_b32_e32 v20, 0x7f800000, v10
	v_cmp_ne_u32_e32 vcc, s97, v20
                                        ; implicit-def: $vgpr60
	s_and_saveexec_b64 s[94:95], vcc
	s_xor_b64 s[94:95], exec, s[94:95]
; %bb.3340:                             ;   in Loop: Header=BB12_3075 Depth=3
	v_bfe_u32 v20, v10, 16, 1
	v_add3_u32 v60, v10, v20, s46
                                        ; implicit-def: $vgpr10
; %bb.3341:                             ;   in Loop: Header=BB12_3075 Depth=3
	s_andn2_saveexec_b64 s[94:95], s[94:95]
	s_cbranch_execz .LBB12_3343
; %bb.3342:                             ;   in Loop: Header=BB12_3075 Depth=3
	buffer_load_dword v22, off, s[0:3], s33 offset:128 ; 4-byte Folded Reload
	buffer_load_dword v23, off, s[0:3], s33 offset:132 ; 4-byte Folded Reload
	v_or_b32_e32 v20, 0x10000, v10
	s_waitcnt vmcnt(1)
	v_cmp_eq_u32_sdwa vcc, v10, v22 src0_sel:WORD_0 src1_sel:DWORD
	v_cndmask_b32_e32 v60, v20, v10, vcc
.LBB12_3343:                            ;   in Loop: Header=BB12_3075 Depth=3
	s_or_b64 exec, exec, s[94:95]
	v_lshlrev_b32_e32 v10, 16, v11
	v_mul_f32_e32 v10, v61, v10
	v_and_b32_e32 v20, 0x7f800000, v10
	v_cmp_ne_u32_e32 vcc, s97, v20
                                        ; implicit-def: $vgpr20
	s_and_saveexec_b64 s[94:95], vcc
	s_xor_b64 s[94:95], exec, s[94:95]
; %bb.3344:                             ;   in Loop: Header=BB12_3075 Depth=3
	v_bfe_u32 v20, v10, 16, 1
	v_add3_u32 v20, v10, v20, s46
                                        ; implicit-def: $vgpr10
; %bb.3345:                             ;   in Loop: Header=BB12_3075 Depth=3
	s_andn2_saveexec_b64 s[94:95], s[94:95]
	s_cbranch_execz .LBB12_3347
; %bb.3346:                             ;   in Loop: Header=BB12_3075 Depth=3
	buffer_load_dword v22, off, s[0:3], s33 offset:128 ; 4-byte Folded Reload
	buffer_load_dword v23, off, s[0:3], s33 offset:132 ; 4-byte Folded Reload
	v_or_b32_e32 v20, 0x10000, v10
	s_waitcnt vmcnt(1)
	v_cmp_eq_u32_sdwa vcc, v10, v22 src0_sel:WORD_0 src1_sel:DWORD
	v_cndmask_b32_e32 v20, v20, v10, vcc
.LBB12_3347:                            ;   in Loop: Header=BB12_3075 Depth=3
	s_or_b64 exec, exec, s[94:95]
	v_and_b32_e32 v10, 0xffff0000, v11
	v_mul_f32_e32 v11, v61, v10
	v_and_b32_e32 v10, 0x7f800000, v11
	v_cmp_ne_u32_e32 vcc, s97, v10
                                        ; implicit-def: $vgpr10
	s_and_saveexec_b64 s[94:95], vcc
	s_xor_b64 s[94:95], exec, s[94:95]
; %bb.3348:                             ;   in Loop: Header=BB12_3075 Depth=3
	v_bfe_u32 v10, v11, 16, 1
	v_add3_u32 v10, v11, v10, s46
                                        ; implicit-def: $vgpr11
; %bb.3349:                             ;   in Loop: Header=BB12_3075 Depth=3
	s_andn2_saveexec_b64 s[94:95], s[94:95]
	s_cbranch_execz .LBB12_3351
; %bb.3350:                             ;   in Loop: Header=BB12_3075 Depth=3
	buffer_load_dword v22, off, s[0:3], s33 offset:128 ; 4-byte Folded Reload
	buffer_load_dword v23, off, s[0:3], s33 offset:132 ; 4-byte Folded Reload
	v_or_b32_e32 v10, 0x10000, v11
	s_waitcnt vmcnt(1)
	v_cmp_eq_u32_sdwa vcc, v11, v22 src0_sel:WORD_0 src1_sel:DWORD
	v_cndmask_b32_e32 v10, v10, v11, vcc
.LBB12_3351:                            ;   in Loop: Header=BB12_3075 Depth=3
	s_or_b64 exec, exec, s[94:95]
	v_lshlrev_b32_e32 v11, 16, v12
	v_mul_f32_e32 v22, v61, v11
	v_and_b32_e32 v11, 0x7f800000, v22
	v_cmp_ne_u32_e32 vcc, s97, v11
                                        ; implicit-def: $vgpr11
	s_and_saveexec_b64 s[94:95], vcc
	s_xor_b64 s[94:95], exec, s[94:95]
; %bb.3352:                             ;   in Loop: Header=BB12_3075 Depth=3
	v_bfe_u32 v11, v22, 16, 1
	v_add3_u32 v11, v22, v11, s46
                                        ; implicit-def: $vgpr22
; %bb.3353:                             ;   in Loop: Header=BB12_3075 Depth=3
	s_andn2_saveexec_b64 s[94:95], s[94:95]
	s_cbranch_execz .LBB12_3355
; %bb.3354:                             ;   in Loop: Header=BB12_3075 Depth=3
	buffer_load_dword v23, off, s[0:3], s33 offset:128 ; 4-byte Folded Reload
	buffer_load_dword v24, off, s[0:3], s33 offset:132 ; 4-byte Folded Reload
	v_or_b32_e32 v11, 0x10000, v22
	s_waitcnt vmcnt(1)
	v_cmp_eq_u32_sdwa vcc, v22, v23 src0_sel:WORD_0 src1_sel:DWORD
	v_cndmask_b32_e32 v11, v11, v22, vcc
.LBB12_3355:                            ;   in Loop: Header=BB12_3075 Depth=3
	s_or_b64 exec, exec, s[94:95]
	v_and_b32_e32 v12, 0xffff0000, v12
	v_mul_f32_e32 v12, v61, v12
	v_and_b32_e32 v22, 0x7f800000, v12
	v_cmp_ne_u32_e32 vcc, s97, v22
                                        ; implicit-def: $vgpr22
	s_and_saveexec_b64 s[94:95], vcc
	s_xor_b64 s[94:95], exec, s[94:95]
; %bb.3356:                             ;   in Loop: Header=BB12_3075 Depth=3
	v_bfe_u32 v22, v12, 16, 1
	v_add3_u32 v22, v12, v22, s46
                                        ; implicit-def: $vgpr12
; %bb.3357:                             ;   in Loop: Header=BB12_3075 Depth=3
	s_andn2_saveexec_b64 s[94:95], s[94:95]
	s_cbranch_execz .LBB12_3359
; %bb.3358:                             ;   in Loop: Header=BB12_3075 Depth=3
	buffer_load_dword v23, off, s[0:3], s33 offset:128 ; 4-byte Folded Reload
	buffer_load_dword v24, off, s[0:3], s33 offset:132 ; 4-byte Folded Reload
	v_or_b32_e32 v22, 0x10000, v12
	s_waitcnt vmcnt(1)
	v_cmp_eq_u32_sdwa vcc, v12, v23 src0_sel:WORD_0 src1_sel:DWORD
	v_cndmask_b32_e32 v22, v22, v12, vcc
.LBB12_3359:                            ;   in Loop: Header=BB12_3075 Depth=3
	s_or_b64 exec, exec, s[94:95]
	v_lshlrev_b32_e32 v12, 16, v13
	v_mul_f32_e32 v12, v61, v12
	s_waitcnt vmcnt(0)
	v_and_b32_e32 v23, 0x7f800000, v12
	v_cmp_ne_u32_e32 vcc, s97, v23
                                        ; implicit-def: $vgpr23
	s_and_saveexec_b64 s[94:95], vcc
	s_xor_b64 s[94:95], exec, s[94:95]
; %bb.3360:                             ;   in Loop: Header=BB12_3075 Depth=3
	v_bfe_u32 v23, v12, 16, 1
	v_add3_u32 v23, v12, v23, s46
                                        ; implicit-def: $vgpr12
; %bb.3361:                             ;   in Loop: Header=BB12_3075 Depth=3
	s_andn2_saveexec_b64 s[94:95], s[94:95]
	s_cbranch_execz .LBB12_3363
; %bb.3362:                             ;   in Loop: Header=BB12_3075 Depth=3
	buffer_load_dword v24, off, s[0:3], s33 offset:128 ; 4-byte Folded Reload
	buffer_load_dword v25, off, s[0:3], s33 offset:132 ; 4-byte Folded Reload
	v_or_b32_e32 v23, 0x10000, v12
	s_waitcnt vmcnt(1)
	v_cmp_eq_u32_sdwa vcc, v12, v24 src0_sel:WORD_0 src1_sel:DWORD
	v_cndmask_b32_e32 v23, v23, v12, vcc
.LBB12_3363:                            ;   in Loop: Header=BB12_3075 Depth=3
	s_or_b64 exec, exec, s[94:95]
	v_and_b32_e32 v12, 0xffff0000, v13
	v_mul_f32_e32 v13, v61, v12
	v_and_b32_e32 v12, 0x7f800000, v13
	v_cmp_ne_u32_e32 vcc, s97, v12
                                        ; implicit-def: $vgpr12
	s_and_saveexec_b64 s[94:95], vcc
	s_xor_b64 s[94:95], exec, s[94:95]
; %bb.3364:                             ;   in Loop: Header=BB12_3075 Depth=3
	v_bfe_u32 v12, v13, 16, 1
	v_add3_u32 v12, v13, v12, s46
                                        ; implicit-def: $vgpr13
; %bb.3365:                             ;   in Loop: Header=BB12_3075 Depth=3
	s_andn2_saveexec_b64 s[94:95], s[94:95]
	s_cbranch_execz .LBB12_3367
; %bb.3366:                             ;   in Loop: Header=BB12_3075 Depth=3
	buffer_load_dword v24, off, s[0:3], s33 offset:128 ; 4-byte Folded Reload
	buffer_load_dword v25, off, s[0:3], s33 offset:132 ; 4-byte Folded Reload
	v_or_b32_e32 v12, 0x10000, v13
	s_waitcnt vmcnt(1)
	v_cmp_eq_u32_sdwa vcc, v13, v24 src0_sel:WORD_0 src1_sel:DWORD
	v_cndmask_b32_e32 v12, v12, v13, vcc
.LBB12_3367:                            ;   in Loop: Header=BB12_3075 Depth=3
	s_or_b64 exec, exec, s[94:95]
	v_lshlrev_b32_e32 v13, 16, v6
	v_mul_f32_e32 v24, v61, v13
	v_and_b32_e32 v13, 0x7f800000, v24
	v_cmp_ne_u32_e32 vcc, s97, v13
                                        ; implicit-def: $vgpr13
	s_and_saveexec_b64 s[94:95], vcc
	s_xor_b64 s[94:95], exec, s[94:95]
; %bb.3368:                             ;   in Loop: Header=BB12_3075 Depth=3
	v_bfe_u32 v13, v24, 16, 1
	v_add3_u32 v13, v24, v13, s46
                                        ; implicit-def: $vgpr24
; %bb.3369:                             ;   in Loop: Header=BB12_3075 Depth=3
	s_andn2_saveexec_b64 s[94:95], s[94:95]
	s_cbranch_execz .LBB12_3371
; %bb.3370:                             ;   in Loop: Header=BB12_3075 Depth=3
	buffer_load_dword v25, off, s[0:3], s33 offset:128 ; 4-byte Folded Reload
	buffer_load_dword v26, off, s[0:3], s33 offset:132 ; 4-byte Folded Reload
	v_or_b32_e32 v13, 0x10000, v24
	s_waitcnt vmcnt(1)
	v_cmp_eq_u32_sdwa vcc, v24, v25 src0_sel:WORD_0 src1_sel:DWORD
	v_cndmask_b32_e32 v13, v13, v24, vcc
.LBB12_3371:                            ;   in Loop: Header=BB12_3075 Depth=3
	s_or_b64 exec, exec, s[94:95]
	v_and_b32_e32 v6, 0xffff0000, v6
	v_mul_f32_e32 v24, v61, v6
	v_and_b32_e32 v6, 0x7f800000, v24
	v_cmp_ne_u32_e32 vcc, s97, v6
                                        ; implicit-def: $vgpr6
	s_and_saveexec_b64 s[94:95], vcc
	s_xor_b64 s[94:95], exec, s[94:95]
; %bb.3372:                             ;   in Loop: Header=BB12_3075 Depth=3
	v_bfe_u32 v6, v24, 16, 1
	v_add3_u32 v6, v24, v6, s46
                                        ; implicit-def: $vgpr24
; %bb.3373:                             ;   in Loop: Header=BB12_3075 Depth=3
	s_andn2_saveexec_b64 s[94:95], s[94:95]
	s_cbranch_execz .LBB12_3375
; %bb.3374:                             ;   in Loop: Header=BB12_3075 Depth=3
	buffer_load_dword v25, off, s[0:3], s33 offset:128 ; 4-byte Folded Reload
	buffer_load_dword v26, off, s[0:3], s33 offset:132 ; 4-byte Folded Reload
	v_or_b32_e32 v6, 0x10000, v24
	s_waitcnt vmcnt(1)
	v_cmp_eq_u32_sdwa vcc, v24, v25 src0_sel:WORD_0 src1_sel:DWORD
	v_cndmask_b32_e32 v6, v6, v24, vcc
.LBB12_3375:                            ;   in Loop: Header=BB12_3075 Depth=3
	s_or_b64 exec, exec, s[94:95]
	v_lshlrev_b32_e32 v24, 16, v7
	v_mul_f32_e32 v24, v61, v24
	s_waitcnt vmcnt(0)
	v_and_b32_e32 v25, 0x7f800000, v24
	v_cmp_ne_u32_e32 vcc, s97, v25
                                        ; implicit-def: $vgpr25
                                        ; kill: killed $vgpr25
	s_and_saveexec_b64 s[94:95], vcc
	s_xor_b64 s[94:95], exec, s[94:95]
	s_cbranch_execz .LBB12_3377
; %bb.3376:                             ;   in Loop: Header=BB12_3075 Depth=3
	v_bfe_u32 v25, v24, 16, 1
	v_add3_u32 v24, v24, v25, s46
	buffer_store_dword v24, off, s[0:3], s33 offset:380 ; 4-byte Folded Spill
                                        ; implicit-def: $vgpr24
.LBB12_3377:                            ;   in Loop: Header=BB12_3075 Depth=3
	s_andn2_saveexec_b64 s[94:95], s[94:95]
	s_cbranch_execz .LBB12_3379
; %bb.3378:                             ;   in Loop: Header=BB12_3075 Depth=3
	buffer_load_dword v26, off, s[0:3], s33 offset:128 ; 4-byte Folded Reload
	buffer_load_dword v27, off, s[0:3], s33 offset:132 ; 4-byte Folded Reload
	v_or_b32_e32 v25, 0x10000, v24
	s_waitcnt vmcnt(1)
	v_cmp_eq_u32_sdwa vcc, v24, v26 src0_sel:WORD_0 src1_sel:DWORD
	v_cndmask_b32_e32 v24, v25, v24, vcc
	buffer_store_dword v24, off, s[0:3], s33 offset:380 ; 4-byte Folded Spill
.LBB12_3379:                            ;   in Loop: Header=BB12_3075 Depth=3
	s_or_b64 exec, exec, s[94:95]
	v_and_b32_e32 v7, 0xffff0000, v7
	v_mul_f32_e32 v7, v61, v7
	v_and_b32_e32 v24, 0x7f800000, v7
	v_cmp_ne_u32_e32 vcc, s97, v24
                                        ; implicit-def: $vgpr24
                                        ; kill: killed $vgpr24
	s_and_saveexec_b64 s[94:95], vcc
	s_xor_b64 s[94:95], exec, s[94:95]
	s_cbranch_execz .LBB12_3381
; %bb.3380:                             ;   in Loop: Header=BB12_3075 Depth=3
	v_bfe_u32 v24, v7, 16, 1
	v_add3_u32 v7, v7, v24, s46
	buffer_store_dword v7, off, s[0:3], s33 offset:376 ; 4-byte Folded Spill
                                        ; implicit-def: $vgpr7
.LBB12_3381:                            ;   in Loop: Header=BB12_3075 Depth=3
	s_andn2_saveexec_b64 s[94:95], s[94:95]
	s_cbranch_execz .LBB12_3383
; %bb.3382:                             ;   in Loop: Header=BB12_3075 Depth=3
	buffer_load_dword v25, off, s[0:3], s33 offset:128 ; 4-byte Folded Reload
	buffer_load_dword v26, off, s[0:3], s33 offset:132 ; 4-byte Folded Reload
	v_or_b32_e32 v24, 0x10000, v7
	s_waitcnt vmcnt(1)
	v_cmp_eq_u32_sdwa vcc, v7, v25 src0_sel:WORD_0 src1_sel:DWORD
	v_cndmask_b32_e32 v7, v24, v7, vcc
	buffer_store_dword v7, off, s[0:3], s33 offset:376 ; 4-byte Folded Spill
.LBB12_3383:                            ;   in Loop: Header=BB12_3075 Depth=3
	s_or_b64 exec, exec, s[94:95]
	v_lshlrev_b32_e32 v7, 16, v8
	v_mul_f32_e32 v24, v61, v7
	v_and_b32_e32 v7, 0x7f800000, v24
	v_cmp_ne_u32_e32 vcc, s97, v7
                                        ; implicit-def: $vgpr7
	s_and_saveexec_b64 s[94:95], vcc
	s_xor_b64 s[94:95], exec, s[94:95]
; %bb.3384:                             ;   in Loop: Header=BB12_3075 Depth=3
	v_bfe_u32 v7, v24, 16, 1
	v_add3_u32 v7, v24, v7, s46
                                        ; implicit-def: $vgpr24
; %bb.3385:                             ;   in Loop: Header=BB12_3075 Depth=3
	s_andn2_saveexec_b64 s[94:95], s[94:95]
	s_cbranch_execz .LBB12_3387
; %bb.3386:                             ;   in Loop: Header=BB12_3075 Depth=3
	buffer_load_dword v25, off, s[0:3], s33 offset:128 ; 4-byte Folded Reload
	buffer_load_dword v26, off, s[0:3], s33 offset:132 ; 4-byte Folded Reload
	v_or_b32_e32 v7, 0x10000, v24
	s_waitcnt vmcnt(1)
	v_cmp_eq_u32_sdwa vcc, v24, v25 src0_sel:WORD_0 src1_sel:DWORD
	v_cndmask_b32_e32 v7, v7, v24, vcc
.LBB12_3387:                            ;   in Loop: Header=BB12_3075 Depth=3
	s_or_b64 exec, exec, s[94:95]
	v_and_b32_e32 v8, 0xffff0000, v8
	v_mul_f32_e32 v24, v61, v8
	v_and_b32_e32 v8, 0x7f800000, v24
	v_cmp_ne_u32_e32 vcc, s97, v8
                                        ; implicit-def: $vgpr8
	s_and_saveexec_b64 s[94:95], vcc
	s_xor_b64 s[94:95], exec, s[94:95]
; %bb.3388:                             ;   in Loop: Header=BB12_3075 Depth=3
	v_bfe_u32 v8, v24, 16, 1
	v_add3_u32 v8, v24, v8, s46
                                        ; implicit-def: $vgpr24
; %bb.3389:                             ;   in Loop: Header=BB12_3075 Depth=3
	s_andn2_saveexec_b64 s[94:95], s[94:95]
	s_cbranch_execz .LBB12_3391
; %bb.3390:                             ;   in Loop: Header=BB12_3075 Depth=3
	buffer_load_dword v25, off, s[0:3], s33 offset:128 ; 4-byte Folded Reload
	buffer_load_dword v26, off, s[0:3], s33 offset:132 ; 4-byte Folded Reload
	v_or_b32_e32 v8, 0x10000, v24
	s_waitcnt vmcnt(1)
	v_cmp_eq_u32_sdwa vcc, v24, v25 src0_sel:WORD_0 src1_sel:DWORD
	v_cndmask_b32_e32 v8, v8, v24, vcc
.LBB12_3391:                            ;   in Loop: Header=BB12_3075 Depth=3
	s_or_b64 exec, exec, s[94:95]
	v_lshlrev_b32_e32 v24, 16, v9
	v_mul_f32_e32 v24, v61, v24
	v_and_b32_e32 v25, 0x7f800000, v24
	v_cmp_ne_u32_e32 vcc, s97, v25
                                        ; implicit-def: $vgpr25
                                        ; kill: killed $vgpr25
	s_and_saveexec_b64 s[94:95], vcc
	s_xor_b64 s[94:95], exec, s[94:95]
	s_cbranch_execz .LBB12_3393
; %bb.3392:                             ;   in Loop: Header=BB12_3075 Depth=3
	v_bfe_u32 v25, v24, 16, 1
	v_add3_u32 v24, v24, v25, s46
	buffer_store_dword v24, off, s[0:3], s33 offset:372 ; 4-byte Folded Spill
                                        ; implicit-def: $vgpr24
.LBB12_3393:                            ;   in Loop: Header=BB12_3075 Depth=3
	s_andn2_saveexec_b64 s[94:95], s[94:95]
	s_cbranch_execz .LBB12_3395
; %bb.3394:                             ;   in Loop: Header=BB12_3075 Depth=3
	buffer_load_dword v26, off, s[0:3], s33 offset:128 ; 4-byte Folded Reload
	buffer_load_dword v27, off, s[0:3], s33 offset:132 ; 4-byte Folded Reload
	v_or_b32_e32 v25, 0x10000, v24
	s_waitcnt vmcnt(1)
	v_cmp_eq_u32_sdwa vcc, v24, v26 src0_sel:WORD_0 src1_sel:DWORD
	v_cndmask_b32_e32 v24, v25, v24, vcc
	buffer_store_dword v24, off, s[0:3], s33 offset:372 ; 4-byte Folded Spill
.LBB12_3395:                            ;   in Loop: Header=BB12_3075 Depth=3
	s_or_b64 exec, exec, s[94:95]
	v_and_b32_e32 v9, 0xffff0000, v9
	v_mul_f32_e32 v24, v61, v9
	v_and_b32_e32 v9, 0x7f800000, v24
	v_cmp_ne_u32_e32 vcc, s97, v9
                                        ; implicit-def: $vgpr9
	s_and_saveexec_b64 s[94:95], vcc
	s_xor_b64 s[94:95], exec, s[94:95]
; %bb.3396:                             ;   in Loop: Header=BB12_3075 Depth=3
	v_bfe_u32 v9, v24, 16, 1
	v_add3_u32 v9, v24, v9, s46
                                        ; implicit-def: $vgpr24
; %bb.3397:                             ;   in Loop: Header=BB12_3075 Depth=3
	s_andn2_saveexec_b64 s[94:95], s[94:95]
	s_cbranch_execz .LBB12_3399
; %bb.3398:                             ;   in Loop: Header=BB12_3075 Depth=3
	buffer_load_dword v25, off, s[0:3], s33 offset:128 ; 4-byte Folded Reload
	buffer_load_dword v26, off, s[0:3], s33 offset:132 ; 4-byte Folded Reload
	v_or_b32_e32 v9, 0x10000, v24
	s_waitcnt vmcnt(1)
	v_cmp_eq_u32_sdwa vcc, v24, v25 src0_sel:WORD_0 src1_sel:DWORD
	v_cndmask_b32_e32 v9, v9, v24, vcc
.LBB12_3399:                            ;   in Loop: Header=BB12_3075 Depth=3
	s_or_b64 exec, exec, s[94:95]
	v_lshlrev_b32_e32 v24, 16, v2
	v_mul_f32_e32 v24, v61, v24
	v_and_b32_e32 v25, 0x7f800000, v24
	v_cmp_ne_u32_e32 vcc, s97, v25
                                        ; implicit-def: $vgpr25
                                        ; kill: killed $vgpr25
	s_and_saveexec_b64 s[94:95], vcc
	s_xor_b64 s[94:95], exec, s[94:95]
	s_cbranch_execz .LBB12_3401
; %bb.3400:                             ;   in Loop: Header=BB12_3075 Depth=3
	v_bfe_u32 v25, v24, 16, 1
	v_add3_u32 v24, v24, v25, s46
	buffer_store_dword v24, off, s[0:3], s33 offset:368 ; 4-byte Folded Spill
                                        ; implicit-def: $vgpr24
.LBB12_3401:                            ;   in Loop: Header=BB12_3075 Depth=3
	s_andn2_saveexec_b64 s[94:95], s[94:95]
	s_cbranch_execz .LBB12_3403
; %bb.3402:                             ;   in Loop: Header=BB12_3075 Depth=3
	buffer_load_dword v26, off, s[0:3], s33 offset:128 ; 4-byte Folded Reload
	buffer_load_dword v27, off, s[0:3], s33 offset:132 ; 4-byte Folded Reload
	v_or_b32_e32 v25, 0x10000, v24
	s_waitcnt vmcnt(1)
	v_cmp_eq_u32_sdwa vcc, v24, v26 src0_sel:WORD_0 src1_sel:DWORD
	v_cndmask_b32_e32 v24, v25, v24, vcc
	buffer_store_dword v24, off, s[0:3], s33 offset:368 ; 4-byte Folded Spill
.LBB12_3403:                            ;   in Loop: Header=BB12_3075 Depth=3
	s_or_b64 exec, exec, s[94:95]
	v_and_b32_e32 v2, 0xffff0000, v2
	v_mul_f32_e32 v2, v61, v2
	v_and_b32_e32 v24, 0x7f800000, v2
	v_cmp_ne_u32_e32 vcc, s97, v24
                                        ; implicit-def: $vgpr35
	s_and_saveexec_b64 s[94:95], vcc
	s_xor_b64 s[94:95], exec, s[94:95]
; %bb.3404:                             ;   in Loop: Header=BB12_3075 Depth=3
	v_bfe_u32 v24, v2, 16, 1
	v_add3_u32 v35, v2, v24, s46
                                        ; implicit-def: $vgpr2
; %bb.3405:                             ;   in Loop: Header=BB12_3075 Depth=3
	s_andn2_saveexec_b64 s[94:95], s[94:95]
	s_cbranch_execz .LBB12_3407
; %bb.3406:                             ;   in Loop: Header=BB12_3075 Depth=3
	buffer_load_dword v25, off, s[0:3], s33 offset:128 ; 4-byte Folded Reload
	buffer_load_dword v26, off, s[0:3], s33 offset:132 ; 4-byte Folded Reload
	v_or_b32_e32 v24, 0x10000, v2
	s_waitcnt vmcnt(1)
	v_cmp_eq_u32_sdwa vcc, v2, v25 src0_sel:WORD_0 src1_sel:DWORD
	v_cndmask_b32_e32 v35, v24, v2, vcc
.LBB12_3407:                            ;   in Loop: Header=BB12_3075 Depth=3
	s_or_b64 exec, exec, s[94:95]
	v_lshlrev_b32_e32 v2, 16, v3
	v_mul_f32_e32 v24, v61, v2
	v_and_b32_e32 v2, 0x7f800000, v24
	v_cmp_ne_u32_e32 vcc, s97, v2
                                        ; implicit-def: $vgpr2
	s_and_saveexec_b64 s[94:95], vcc
	s_xor_b64 s[94:95], exec, s[94:95]
; %bb.3408:                             ;   in Loop: Header=BB12_3075 Depth=3
	v_bfe_u32 v2, v24, 16, 1
	v_add3_u32 v2, v24, v2, s46
                                        ; implicit-def: $vgpr24
; %bb.3409:                             ;   in Loop: Header=BB12_3075 Depth=3
	s_andn2_saveexec_b64 s[94:95], s[94:95]
	s_cbranch_execz .LBB12_3411
; %bb.3410:                             ;   in Loop: Header=BB12_3075 Depth=3
	buffer_load_dword v25, off, s[0:3], s33 offset:128 ; 4-byte Folded Reload
	buffer_load_dword v26, off, s[0:3], s33 offset:132 ; 4-byte Folded Reload
	v_or_b32_e32 v2, 0x10000, v24
	s_waitcnt vmcnt(1)
	v_cmp_eq_u32_sdwa vcc, v24, v25 src0_sel:WORD_0 src1_sel:DWORD
	v_cndmask_b32_e32 v2, v2, v24, vcc
.LBB12_3411:                            ;   in Loop: Header=BB12_3075 Depth=3
	s_or_b64 exec, exec, s[94:95]
	v_and_b32_e32 v3, 0xffff0000, v3
	v_mul_f32_e32 v24, v61, v3
	v_and_b32_e32 v3, 0x7f800000, v24
	v_cmp_ne_u32_e32 vcc, s97, v3
                                        ; implicit-def: $vgpr3
	s_and_saveexec_b64 s[94:95], vcc
	s_xor_b64 s[94:95], exec, s[94:95]
; %bb.3412:                             ;   in Loop: Header=BB12_3075 Depth=3
	v_bfe_u32 v3, v24, 16, 1
	v_add3_u32 v3, v24, v3, s46
                                        ; implicit-def: $vgpr24
; %bb.3413:                             ;   in Loop: Header=BB12_3075 Depth=3
	s_andn2_saveexec_b64 s[94:95], s[94:95]
	s_cbranch_execz .LBB12_3415
; %bb.3414:                             ;   in Loop: Header=BB12_3075 Depth=3
	buffer_load_dword v25, off, s[0:3], s33 offset:128 ; 4-byte Folded Reload
	buffer_load_dword v26, off, s[0:3], s33 offset:132 ; 4-byte Folded Reload
	v_or_b32_e32 v3, 0x10000, v24
	s_waitcnt vmcnt(1)
	v_cmp_eq_u32_sdwa vcc, v24, v25 src0_sel:WORD_0 src1_sel:DWORD
	v_cndmask_b32_e32 v3, v3, v24, vcc
.LBB12_3415:                            ;   in Loop: Header=BB12_3075 Depth=3
	s_or_b64 exec, exec, s[94:95]
	v_lshlrev_b32_e32 v24, 16, v4
	v_mul_f32_e32 v24, v61, v24
	v_and_b32_e32 v25, 0x7f800000, v24
	v_cmp_ne_u32_e32 vcc, s97, v25
                                        ; implicit-def: $vgpr34
	s_and_saveexec_b64 s[94:95], vcc
	s_xor_b64 s[94:95], exec, s[94:95]
; %bb.3416:                             ;   in Loop: Header=BB12_3075 Depth=3
	v_bfe_u32 v25, v24, 16, 1
	v_add3_u32 v34, v24, v25, s46
                                        ; implicit-def: $vgpr24
; %bb.3417:                             ;   in Loop: Header=BB12_3075 Depth=3
	s_andn2_saveexec_b64 s[94:95], s[94:95]
	s_cbranch_execz .LBB12_3419
; %bb.3418:                             ;   in Loop: Header=BB12_3075 Depth=3
	buffer_load_dword v26, off, s[0:3], s33 offset:128 ; 4-byte Folded Reload
	buffer_load_dword v27, off, s[0:3], s33 offset:132 ; 4-byte Folded Reload
	v_or_b32_e32 v25, 0x10000, v24
	s_waitcnt vmcnt(1)
	v_cmp_eq_u32_sdwa vcc, v24, v26 src0_sel:WORD_0 src1_sel:DWORD
	v_cndmask_b32_e32 v34, v25, v24, vcc
.LBB12_3419:                            ;   in Loop: Header=BB12_3075 Depth=3
	s_or_b64 exec, exec, s[94:95]
	v_and_b32_e32 v4, 0xffff0000, v4
	v_mul_f32_e32 v24, v61, v4
	v_and_b32_e32 v4, 0x7f800000, v24
	v_cmp_ne_u32_e32 vcc, s97, v4
                                        ; implicit-def: $vgpr4
	s_and_saveexec_b64 s[94:95], vcc
	s_xor_b64 s[94:95], exec, s[94:95]
; %bb.3420:                             ;   in Loop: Header=BB12_3075 Depth=3
	v_bfe_u32 v4, v24, 16, 1
	v_add3_u32 v4, v24, v4, s46
                                        ; implicit-def: $vgpr24
; %bb.3421:                             ;   in Loop: Header=BB12_3075 Depth=3
	s_andn2_saveexec_b64 s[94:95], s[94:95]
	s_cbranch_execz .LBB12_3423
; %bb.3422:                             ;   in Loop: Header=BB12_3075 Depth=3
	buffer_load_dword v25, off, s[0:3], s33 offset:128 ; 4-byte Folded Reload
	buffer_load_dword v26, off, s[0:3], s33 offset:132 ; 4-byte Folded Reload
	v_or_b32_e32 v4, 0x10000, v24
	s_waitcnt vmcnt(1)
	v_cmp_eq_u32_sdwa vcc, v24, v25 src0_sel:WORD_0 src1_sel:DWORD
	v_cndmask_b32_e32 v4, v4, v24, vcc
.LBB12_3423:                            ;   in Loop: Header=BB12_3075 Depth=3
	s_or_b64 exec, exec, s[94:95]
	v_lshlrev_b32_e32 v24, 16, v5
	v_mul_f32_e32 v24, v61, v24
	v_and_b32_e32 v25, 0x7f800000, v24
	v_cmp_ne_u32_e32 vcc, s97, v25
                                        ; implicit-def: $vgpr33
	s_and_saveexec_b64 s[94:95], vcc
	s_xor_b64 s[94:95], exec, s[94:95]
; %bb.3424:                             ;   in Loop: Header=BB12_3075 Depth=3
	v_bfe_u32 v25, v24, 16, 1
	v_add3_u32 v33, v24, v25, s46
                                        ; implicit-def: $vgpr24
; %bb.3425:                             ;   in Loop: Header=BB12_3075 Depth=3
	s_andn2_saveexec_b64 s[94:95], s[94:95]
	s_cbranch_execz .LBB12_3427
; %bb.3426:                             ;   in Loop: Header=BB12_3075 Depth=3
	buffer_load_dword v26, off, s[0:3], s33 offset:128 ; 4-byte Folded Reload
	buffer_load_dword v27, off, s[0:3], s33 offset:132 ; 4-byte Folded Reload
	v_or_b32_e32 v25, 0x10000, v24
	s_waitcnt vmcnt(1)
	v_cmp_eq_u32_sdwa vcc, v24, v26 src0_sel:WORD_0 src1_sel:DWORD
	v_cndmask_b32_e32 v33, v25, v24, vcc
.LBB12_3427:                            ;   in Loop: Header=BB12_3075 Depth=3
	s_or_b64 exec, exec, s[94:95]
	v_and_b32_e32 v5, 0xffff0000, v5
	v_mul_f32_e32 v24, v61, v5
	v_and_b32_e32 v5, 0x7f800000, v24
	v_cmp_ne_u32_e32 vcc, s97, v5
                                        ; implicit-def: $vgpr5
	s_and_saveexec_b64 s[94:95], vcc
	s_xor_b64 s[94:95], exec, s[94:95]
; %bb.3428:                             ;   in Loop: Header=BB12_3075 Depth=3
	v_bfe_u32 v5, v24, 16, 1
	v_add3_u32 v5, v24, v5, s46
                                        ; implicit-def: $vgpr24
; %bb.3429:                             ;   in Loop: Header=BB12_3075 Depth=3
	s_andn2_saveexec_b64 s[94:95], s[94:95]
	s_cbranch_execz .LBB12_3431
; %bb.3430:                             ;   in Loop: Header=BB12_3075 Depth=3
	buffer_load_dword v25, off, s[0:3], s33 offset:128 ; 4-byte Folded Reload
	buffer_load_dword v26, off, s[0:3], s33 offset:132 ; 4-byte Folded Reload
	v_or_b32_e32 v5, 0x10000, v24
	s_waitcnt vmcnt(1)
	v_cmp_eq_u32_sdwa vcc, v24, v25 src0_sel:WORD_0 src1_sel:DWORD
	v_cndmask_b32_e32 v5, v5, v24, vcc
.LBB12_3431:                            ;   in Loop: Header=BB12_3075 Depth=3
	s_or_b64 exec, exec, s[94:95]
	v_lshlrev_b32_e32 v24, 16, v56
	v_mul_f32_e32 v24, v61, v24
	v_and_b32_e32 v25, 0x7f800000, v24
	v_cmp_ne_u32_e32 vcc, s97, v25
                                        ; implicit-def: $vgpr32
	s_and_saveexec_b64 s[94:95], vcc
	s_xor_b64 s[94:95], exec, s[94:95]
; %bb.3432:                             ;   in Loop: Header=BB12_3075 Depth=3
	v_bfe_u32 v25, v24, 16, 1
	v_add3_u32 v32, v24, v25, s46
                                        ; implicit-def: $vgpr24
; %bb.3433:                             ;   in Loop: Header=BB12_3075 Depth=3
	s_andn2_saveexec_b64 s[94:95], s[94:95]
	s_cbranch_execz .LBB12_3435
; %bb.3434:                             ;   in Loop: Header=BB12_3075 Depth=3
	buffer_load_dword v26, off, s[0:3], s33 offset:128 ; 4-byte Folded Reload
	buffer_load_dword v27, off, s[0:3], s33 offset:132 ; 4-byte Folded Reload
	v_or_b32_e32 v25, 0x10000, v24
	s_waitcnt vmcnt(1)
	v_cmp_eq_u32_sdwa vcc, v24, v26 src0_sel:WORD_0 src1_sel:DWORD
	v_cndmask_b32_e32 v32, v25, v24, vcc
.LBB12_3435:                            ;   in Loop: Header=BB12_3075 Depth=3
	s_or_b64 exec, exec, s[94:95]
	v_and_b32_e32 v24, 0xffff0000, v56
	v_mul_f32_e32 v24, v61, v24
	v_and_b32_e32 v25, 0x7f800000, v24
	v_cmp_ne_u32_e32 vcc, s97, v25
                                        ; implicit-def: $vgpr25
                                        ; kill: killed $vgpr25
	s_and_saveexec_b64 s[94:95], vcc
	s_xor_b64 s[94:95], exec, s[94:95]
	s_cbranch_execz .LBB12_3437
; %bb.3436:                             ;   in Loop: Header=BB12_3075 Depth=3
	v_bfe_u32 v25, v24, 16, 1
	v_add3_u32 v24, v24, v25, s46
	buffer_store_dword v24, off, s[0:3], s33 offset:364 ; 4-byte Folded Spill
                                        ; implicit-def: $vgpr24
.LBB12_3437:                            ;   in Loop: Header=BB12_3075 Depth=3
	s_andn2_saveexec_b64 s[94:95], s[94:95]
	s_cbranch_execz .LBB12_3439
; %bb.3438:                             ;   in Loop: Header=BB12_3075 Depth=3
	buffer_load_dword v26, off, s[0:3], s33 offset:128 ; 4-byte Folded Reload
	buffer_load_dword v27, off, s[0:3], s33 offset:132 ; 4-byte Folded Reload
	v_or_b32_e32 v25, 0x10000, v24
	s_waitcnt vmcnt(1)
	v_cmp_eq_u32_sdwa vcc, v24, v26 src0_sel:WORD_0 src1_sel:DWORD
	v_cndmask_b32_e32 v24, v25, v24, vcc
	buffer_store_dword v24, off, s[0:3], s33 offset:364 ; 4-byte Folded Spill
.LBB12_3439:                            ;   in Loop: Header=BB12_3075 Depth=3
	s_or_b64 exec, exec, s[94:95]
	v_lshlrev_b32_e32 v24, 16, v57
	v_mul_f32_e32 v24, v61, v24
	v_and_b32_e32 v25, 0x7f800000, v24
	v_cmp_ne_u32_e32 vcc, s97, v25
                                        ; implicit-def: $vgpr56
	s_and_saveexec_b64 s[94:95], vcc
	s_xor_b64 s[94:95], exec, s[94:95]
; %bb.3440:                             ;   in Loop: Header=BB12_3075 Depth=3
	v_bfe_u32 v25, v24, 16, 1
	v_add3_u32 v56, v24, v25, s46
                                        ; implicit-def: $vgpr24
; %bb.3441:                             ;   in Loop: Header=BB12_3075 Depth=3
	s_andn2_saveexec_b64 s[94:95], s[94:95]
	s_cbranch_execz .LBB12_3443
; %bb.3442:                             ;   in Loop: Header=BB12_3075 Depth=3
	buffer_load_dword v26, off, s[0:3], s33 offset:128 ; 4-byte Folded Reload
	buffer_load_dword v27, off, s[0:3], s33 offset:132 ; 4-byte Folded Reload
	v_or_b32_e32 v25, 0x10000, v24
	s_waitcnt vmcnt(1)
	v_cmp_eq_u32_sdwa vcc, v24, v26 src0_sel:WORD_0 src1_sel:DWORD
	v_cndmask_b32_e32 v56, v25, v24, vcc
.LBB12_3443:                            ;   in Loop: Header=BB12_3075 Depth=3
	s_or_b64 exec, exec, s[94:95]
	v_and_b32_e32 v24, 0xffff0000, v57
	v_mul_f32_e32 v24, v61, v24
	v_and_b32_e32 v25, 0x7f800000, v24
	v_cmp_ne_u32_e32 vcc, s97, v25
                                        ; implicit-def: $vgpr25
                                        ; kill: killed $vgpr25
	s_and_saveexec_b64 s[94:95], vcc
	s_xor_b64 s[94:95], exec, s[94:95]
	s_cbranch_execz .LBB12_3445
; %bb.3444:                             ;   in Loop: Header=BB12_3075 Depth=3
	v_bfe_u32 v25, v24, 16, 1
	v_add3_u32 v24, v24, v25, s46
	buffer_store_dword v24, off, s[0:3], s33 offset:356 ; 4-byte Folded Spill
                                        ; implicit-def: $vgpr24
.LBB12_3445:                            ;   in Loop: Header=BB12_3075 Depth=3
	s_andn2_saveexec_b64 s[94:95], s[94:95]
	s_cbranch_execz .LBB12_3447
; %bb.3446:                             ;   in Loop: Header=BB12_3075 Depth=3
	buffer_load_dword v26, off, s[0:3], s33 offset:128 ; 4-byte Folded Reload
	buffer_load_dword v27, off, s[0:3], s33 offset:132 ; 4-byte Folded Reload
	v_or_b32_e32 v25, 0x10000, v24
	s_waitcnt vmcnt(1)
	v_cmp_eq_u32_sdwa vcc, v24, v26 src0_sel:WORD_0 src1_sel:DWORD
	v_cndmask_b32_e32 v24, v25, v24, vcc
	buffer_store_dword v24, off, s[0:3], s33 offset:356 ; 4-byte Folded Spill
.LBB12_3447:                            ;   in Loop: Header=BB12_3075 Depth=3
	s_or_b64 exec, exec, s[94:95]
	v_lshlrev_b32_e32 v24, 16, v58
	v_mul_f32_e32 v24, v61, v24
	v_and_b32_e32 v25, 0x7f800000, v24
	v_cmp_ne_u32_e32 vcc, s97, v25
                                        ; implicit-def: $vgpr25
                                        ; kill: killed $vgpr25
	s_and_saveexec_b64 s[94:95], vcc
	s_xor_b64 s[94:95], exec, s[94:95]
	s_cbranch_execz .LBB12_3449
; %bb.3448:                             ;   in Loop: Header=BB12_3075 Depth=3
	v_bfe_u32 v25, v24, 16, 1
	v_add3_u32 v24, v24, v25, s46
	buffer_store_dword v24, off, s[0:3], s33 offset:360 ; 4-byte Folded Spill
                                        ; implicit-def: $vgpr24
.LBB12_3449:                            ;   in Loop: Header=BB12_3075 Depth=3
	s_andn2_saveexec_b64 s[94:95], s[94:95]
	s_cbranch_execz .LBB12_3451
; %bb.3450:                             ;   in Loop: Header=BB12_3075 Depth=3
	buffer_load_dword v26, off, s[0:3], s33 offset:128 ; 4-byte Folded Reload
	buffer_load_dword v27, off, s[0:3], s33 offset:132 ; 4-byte Folded Reload
	v_or_b32_e32 v25, 0x10000, v24
	s_waitcnt vmcnt(1)
	v_cmp_eq_u32_sdwa vcc, v24, v26 src0_sel:WORD_0 src1_sel:DWORD
	v_cndmask_b32_e32 v24, v25, v24, vcc
	buffer_store_dword v24, off, s[0:3], s33 offset:360 ; 4-byte Folded Spill
.LBB12_3451:                            ;   in Loop: Header=BB12_3075 Depth=3
	s_or_b64 exec, exec, s[94:95]
	v_and_b32_e32 v24, 0xffff0000, v58
	v_mul_f32_e32 v24, v61, v24
	v_and_b32_e32 v25, 0x7f800000, v24
	v_cmp_ne_u32_e32 vcc, s97, v25
                                        ; implicit-def: $vgpr25
                                        ; kill: killed $vgpr25
	s_and_saveexec_b64 s[94:95], vcc
	s_xor_b64 s[94:95], exec, s[94:95]
	s_cbranch_execz .LBB12_3453
; %bb.3452:                             ;   in Loop: Header=BB12_3075 Depth=3
	v_bfe_u32 v25, v24, 16, 1
	v_add3_u32 v24, v24, v25, s46
	buffer_store_dword v24, off, s[0:3], s33 offset:344 ; 4-byte Folded Spill
                                        ; implicit-def: $vgpr24
.LBB12_3453:                            ;   in Loop: Header=BB12_3075 Depth=3
	s_andn2_saveexec_b64 s[94:95], s[94:95]
	s_cbranch_execz .LBB12_3455
; %bb.3454:                             ;   in Loop: Header=BB12_3075 Depth=3
	buffer_load_dword v26, off, s[0:3], s33 offset:128 ; 4-byte Folded Reload
	buffer_load_dword v27, off, s[0:3], s33 offset:132 ; 4-byte Folded Reload
	v_or_b32_e32 v25, 0x10000, v24
	s_waitcnt vmcnt(1)
	v_cmp_eq_u32_sdwa vcc, v24, v26 src0_sel:WORD_0 src1_sel:DWORD
	v_cndmask_b32_e32 v24, v25, v24, vcc
	buffer_store_dword v24, off, s[0:3], s33 offset:344 ; 4-byte Folded Spill
.LBB12_3455:                            ;   in Loop: Header=BB12_3075 Depth=3
	s_or_b64 exec, exec, s[94:95]
	v_lshlrev_b32_e32 v24, 16, v59
	v_mul_f32_e32 v24, v61, v24
	v_and_b32_e32 v25, 0x7f800000, v24
	v_cmp_ne_u32_e32 vcc, s97, v25
                                        ; implicit-def: $vgpr25
                                        ; kill: killed $vgpr25
	s_and_saveexec_b64 s[94:95], vcc
	s_xor_b64 s[94:95], exec, s[94:95]
	s_cbranch_execz .LBB12_3457
; %bb.3456:                             ;   in Loop: Header=BB12_3075 Depth=3
	v_bfe_u32 v25, v24, 16, 1
	v_add3_u32 v24, v24, v25, s46
	buffer_store_dword v24, off, s[0:3], s33 offset:352 ; 4-byte Folded Spill
                                        ; implicit-def: $vgpr24
.LBB12_3457:                            ;   in Loop: Header=BB12_3075 Depth=3
	s_andn2_saveexec_b64 s[94:95], s[94:95]
	s_cbranch_execz .LBB12_3459
; %bb.3458:                             ;   in Loop: Header=BB12_3075 Depth=3
	buffer_load_dword v26, off, s[0:3], s33 offset:128 ; 4-byte Folded Reload
	buffer_load_dword v27, off, s[0:3], s33 offset:132 ; 4-byte Folded Reload
	v_or_b32_e32 v25, 0x10000, v24
	s_waitcnt vmcnt(1)
	v_cmp_eq_u32_sdwa vcc, v24, v26 src0_sel:WORD_0 src1_sel:DWORD
	v_cndmask_b32_e32 v24, v25, v24, vcc
	buffer_store_dword v24, off, s[0:3], s33 offset:352 ; 4-byte Folded Spill
.LBB12_3459:                            ;   in Loop: Header=BB12_3075 Depth=3
	s_or_b64 exec, exec, s[94:95]
	v_and_b32_e32 v24, 0xffff0000, v59
	v_mul_f32_e32 v24, v61, v24
	v_and_b32_e32 v25, 0x7f800000, v24
	v_cmp_ne_u32_e32 vcc, s97, v25
                                        ; implicit-def: $vgpr25
                                        ; kill: killed $vgpr25
	s_and_saveexec_b64 s[94:95], vcc
	s_xor_b64 s[94:95], exec, s[94:95]
	s_cbranch_execz .LBB12_3461
; %bb.3460:                             ;   in Loop: Header=BB12_3075 Depth=3
	v_bfe_u32 v25, v24, 16, 1
	v_add3_u32 v24, v24, v25, s46
	buffer_store_dword v24, off, s[0:3], s33 offset:340 ; 4-byte Folded Spill
                                        ; implicit-def: $vgpr24
.LBB12_3461:                            ;   in Loop: Header=BB12_3075 Depth=3
	s_andn2_saveexec_b64 s[94:95], s[94:95]
	s_cbranch_execz .LBB12_3463
; %bb.3462:                             ;   in Loop: Header=BB12_3075 Depth=3
	buffer_load_dword v26, off, s[0:3], s33 offset:128 ; 4-byte Folded Reload
	buffer_load_dword v27, off, s[0:3], s33 offset:132 ; 4-byte Folded Reload
	v_or_b32_e32 v25, 0x10000, v24
	s_waitcnt vmcnt(1)
	v_cmp_eq_u32_sdwa vcc, v24, v26 src0_sel:WORD_0 src1_sel:DWORD
	v_cndmask_b32_e32 v24, v25, v24, vcc
	buffer_store_dword v24, off, s[0:3], s33 offset:340 ; 4-byte Folded Spill
.LBB12_3463:                            ;   in Loop: Header=BB12_3075 Depth=3
	s_or_b64 exec, exec, s[94:95]
	v_and_b32_e32 v21, 0xffff0000, v21
	v_lshlrev_b32_e32 v24, 16, v40
	v_add_f32_e32 v21, v24, v21
	v_and_b32_e32 v24, 0x7f800000, v21
	v_cmp_ne_u32_e32 vcc, s97, v24
                                        ; implicit-def: $vgpr24
                                        ; kill: killed $vgpr24
	s_and_saveexec_b64 s[94:95], vcc
	s_xor_b64 s[94:95], exec, s[94:95]
	s_cbranch_execz .LBB12_3465
; %bb.3464:                             ;   in Loop: Header=BB12_3075 Depth=3
	v_bfe_u32 v24, v21, 16, 1
	v_add3_u32 v21, v21, v24, s46
	buffer_store_dword v21, off, s[0:3], s33 offset:332 ; 4-byte Folded Spill
                                        ; implicit-def: $vgpr21
.LBB12_3465:                            ;   in Loop: Header=BB12_3075 Depth=3
	s_andn2_saveexec_b64 s[94:95], s[94:95]
	s_cbranch_execz .LBB12_3467
; %bb.3466:                             ;   in Loop: Header=BB12_3075 Depth=3
	buffer_load_dword v25, off, s[0:3], s33 offset:128 ; 4-byte Folded Reload
	buffer_load_dword v26, off, s[0:3], s33 offset:132 ; 4-byte Folded Reload
	v_or_b32_e32 v24, 0x10000, v21
	s_waitcnt vmcnt(1)
	v_cmp_eq_u32_sdwa vcc, v21, v25 src0_sel:WORD_0 src1_sel:DWORD
	v_cndmask_b32_e32 v21, v24, v21, vcc
	buffer_store_dword v21, off, s[0:3], s33 offset:332 ; 4-byte Folded Spill
.LBB12_3467:                            ;   in Loop: Header=BB12_3075 Depth=3
	s_or_b64 exec, exec, s[94:95]
	v_and_b32_e32 v21, 0xffff0000, v40
	v_and_b32_e32 v24, 0xffff0000, v60
	v_add_f32_e32 v21, v21, v24
	v_and_b32_e32 v24, 0x7f800000, v21
	v_cmp_ne_u32_e32 vcc, s97, v24
                                        ; implicit-def: $vgpr40
	s_and_saveexec_b64 s[94:95], vcc
	s_xor_b64 s[94:95], exec, s[94:95]
; %bb.3468:                             ;   in Loop: Header=BB12_3075 Depth=3
	v_bfe_u32 v24, v21, 16, 1
	v_add3_u32 v40, v21, v24, s46
                                        ; implicit-def: $vgpr21
; %bb.3469:                             ;   in Loop: Header=BB12_3075 Depth=3
	s_andn2_saveexec_b64 s[94:95], s[94:95]
	s_cbranch_execz .LBB12_3471
; %bb.3470:                             ;   in Loop: Header=BB12_3075 Depth=3
	buffer_load_dword v25, off, s[0:3], s33 offset:128 ; 4-byte Folded Reload
	buffer_load_dword v26, off, s[0:3], s33 offset:132 ; 4-byte Folded Reload
	v_or_b32_e32 v24, 0x10000, v21
	s_waitcnt vmcnt(1)
	v_cmp_eq_u32_sdwa vcc, v21, v25 src0_sel:WORD_0 src1_sel:DWORD
	v_cndmask_b32_e32 v40, v24, v21, vcc
.LBB12_3471:                            ;   in Loop: Header=BB12_3075 Depth=3
	s_or_b64 exec, exec, s[94:95]
	v_and_b32_e32 v20, 0xffff0000, v20
	v_lshlrev_b32_e32 v21, 16, v41
	v_add_f32_e32 v21, v21, v20
	v_and_b32_e32 v20, 0x7f800000, v21
	v_cmp_ne_u32_e32 vcc, s97, v20
                                        ; implicit-def: $vgpr20
	s_and_saveexec_b64 s[94:95], vcc
	s_xor_b64 s[94:95], exec, s[94:95]
; %bb.3472:                             ;   in Loop: Header=BB12_3075 Depth=3
	v_bfe_u32 v20, v21, 16, 1
	v_add3_u32 v20, v21, v20, s46
                                        ; implicit-def: $vgpr21
; %bb.3473:                             ;   in Loop: Header=BB12_3075 Depth=3
	s_andn2_saveexec_b64 s[94:95], s[94:95]
	s_cbranch_execz .LBB12_3475
; %bb.3474:                             ;   in Loop: Header=BB12_3075 Depth=3
	buffer_load_dword v24, off, s[0:3], s33 offset:128 ; 4-byte Folded Reload
	buffer_load_dword v25, off, s[0:3], s33 offset:132 ; 4-byte Folded Reload
	v_or_b32_e32 v20, 0x10000, v21
	s_waitcnt vmcnt(1)
	v_cmp_eq_u32_sdwa vcc, v21, v24 src0_sel:WORD_0 src1_sel:DWORD
	v_cndmask_b32_e32 v20, v20, v21, vcc
.LBB12_3475:                            ;   in Loop: Header=BB12_3075 Depth=3
	s_or_b64 exec, exec, s[94:95]
	v_and_b32_e32 v21, 0xffff0000, v41
	v_and_b32_e32 v10, 0xffff0000, v10
	v_add_f32_e32 v21, v21, v10
	v_and_b32_e32 v10, 0x7f800000, v21
	v_cmp_ne_u32_e32 vcc, s97, v10
                                        ; implicit-def: $vgpr10
	s_and_saveexec_b64 s[94:95], vcc
	s_xor_b64 s[94:95], exec, s[94:95]
; %bb.3476:                             ;   in Loop: Header=BB12_3075 Depth=3
	v_bfe_u32 v10, v21, 16, 1
	v_add3_u32 v10, v21, v10, s46
                                        ; implicit-def: $vgpr21
; %bb.3477:                             ;   in Loop: Header=BB12_3075 Depth=3
	s_andn2_saveexec_b64 s[94:95], s[94:95]
	s_cbranch_execz .LBB12_3479
; %bb.3478:                             ;   in Loop: Header=BB12_3075 Depth=3
	buffer_load_dword v24, off, s[0:3], s33 offset:128 ; 4-byte Folded Reload
	buffer_load_dword v25, off, s[0:3], s33 offset:132 ; 4-byte Folded Reload
	v_or_b32_e32 v10, 0x10000, v21
	s_waitcnt vmcnt(1)
	v_cmp_eq_u32_sdwa vcc, v21, v24 src0_sel:WORD_0 src1_sel:DWORD
	v_cndmask_b32_e32 v10, v10, v21, vcc
.LBB12_3479:                            ;   in Loop: Header=BB12_3075 Depth=3
	s_or_b64 exec, exec, s[94:95]
	v_and_b32_e32 v11, 0xffff0000, v11
	v_lshlrev_b32_e32 v21, 16, v42
	v_add_f32_e32 v21, v21, v11
	v_and_b32_e32 v11, 0x7f800000, v21
	v_cmp_ne_u32_e32 vcc, s97, v11
                                        ; implicit-def: $vgpr11
	s_and_saveexec_b64 s[94:95], vcc
	s_xor_b64 s[94:95], exec, s[94:95]
; %bb.3480:                             ;   in Loop: Header=BB12_3075 Depth=3
	v_bfe_u32 v11, v21, 16, 1
	v_add3_u32 v11, v21, v11, s46
                                        ; implicit-def: $vgpr21
; %bb.3481:                             ;   in Loop: Header=BB12_3075 Depth=3
	s_andn2_saveexec_b64 s[94:95], s[94:95]
	s_cbranch_execz .LBB12_3483
; %bb.3482:                             ;   in Loop: Header=BB12_3075 Depth=3
	buffer_load_dword v24, off, s[0:3], s33 offset:128 ; 4-byte Folded Reload
	buffer_load_dword v25, off, s[0:3], s33 offset:132 ; 4-byte Folded Reload
	v_or_b32_e32 v11, 0x10000, v21
	s_waitcnt vmcnt(1)
	v_cmp_eq_u32_sdwa vcc, v21, v24 src0_sel:WORD_0 src1_sel:DWORD
	v_cndmask_b32_e32 v11, v11, v21, vcc
.LBB12_3483:                            ;   in Loop: Header=BB12_3075 Depth=3
	s_or_b64 exec, exec, s[94:95]
	v_and_b32_e32 v21, 0xffff0000, v42
	v_and_b32_e32 v22, 0xffff0000, v22
	v_add_f32_e32 v22, v21, v22
	v_and_b32_e32 v21, 0x7f800000, v22
	v_cmp_ne_u32_e32 vcc, s97, v21
                                        ; implicit-def: $vgpr21
	s_and_saveexec_b64 s[94:95], vcc
	s_xor_b64 s[94:95], exec, s[94:95]
; %bb.3484:                             ;   in Loop: Header=BB12_3075 Depth=3
	v_bfe_u32 v21, v22, 16, 1
	v_add3_u32 v21, v22, v21, s46
                                        ; implicit-def: $vgpr22
; %bb.3485:                             ;   in Loop: Header=BB12_3075 Depth=3
	s_andn2_saveexec_b64 s[94:95], s[94:95]
	s_cbranch_execz .LBB12_3487
; %bb.3486:                             ;   in Loop: Header=BB12_3075 Depth=3
	buffer_load_dword v24, off, s[0:3], s33 offset:128 ; 4-byte Folded Reload
	buffer_load_dword v25, off, s[0:3], s33 offset:132 ; 4-byte Folded Reload
	v_or_b32_e32 v21, 0x10000, v22
	s_waitcnt vmcnt(1)
	v_cmp_eq_u32_sdwa vcc, v22, v24 src0_sel:WORD_0 src1_sel:DWORD
	v_cndmask_b32_e32 v21, v21, v22, vcc
.LBB12_3487:                            ;   in Loop: Header=BB12_3075 Depth=3
	s_or_b64 exec, exec, s[94:95]
	v_and_b32_e32 v22, 0xffff0000, v23
	v_lshlrev_b32_e32 v23, 16, v43
	v_add_f32_e32 v23, v23, v22
	v_and_b32_e32 v22, 0x7f800000, v23
	v_cmp_ne_u32_e32 vcc, s97, v22
                                        ; implicit-def: $vgpr22
	s_and_saveexec_b64 s[94:95], vcc
	s_xor_b64 s[94:95], exec, s[94:95]
; %bb.3488:                             ;   in Loop: Header=BB12_3075 Depth=3
	v_bfe_u32 v22, v23, 16, 1
	v_add3_u32 v22, v23, v22, s46
                                        ; implicit-def: $vgpr23
; %bb.3489:                             ;   in Loop: Header=BB12_3075 Depth=3
	s_andn2_saveexec_b64 s[94:95], s[94:95]
	s_cbranch_execz .LBB12_3491
; %bb.3490:                             ;   in Loop: Header=BB12_3075 Depth=3
	buffer_load_dword v24, off, s[0:3], s33 offset:128 ; 4-byte Folded Reload
	buffer_load_dword v25, off, s[0:3], s33 offset:132 ; 4-byte Folded Reload
	v_or_b32_e32 v22, 0x10000, v23
	s_waitcnt vmcnt(1)
	v_cmp_eq_u32_sdwa vcc, v23, v24 src0_sel:WORD_0 src1_sel:DWORD
	v_cndmask_b32_e32 v22, v22, v23, vcc
.LBB12_3491:                            ;   in Loop: Header=BB12_3075 Depth=3
	s_or_b64 exec, exec, s[94:95]
	v_and_b32_e32 v23, 0xffff0000, v43
	v_and_b32_e32 v12, 0xffff0000, v12
	v_add_f32_e32 v23, v23, v12
	v_and_b32_e32 v12, 0x7f800000, v23
	v_cmp_ne_u32_e32 vcc, s97, v12
                                        ; implicit-def: $vgpr12
	s_and_saveexec_b64 s[94:95], vcc
	s_xor_b64 s[94:95], exec, s[94:95]
; %bb.3492:                             ;   in Loop: Header=BB12_3075 Depth=3
	v_bfe_u32 v12, v23, 16, 1
	v_add3_u32 v12, v23, v12, s46
                                        ; implicit-def: $vgpr23
; %bb.3493:                             ;   in Loop: Header=BB12_3075 Depth=3
	s_andn2_saveexec_b64 s[94:95], s[94:95]
	s_cbranch_execz .LBB12_3495
; %bb.3494:                             ;   in Loop: Header=BB12_3075 Depth=3
	buffer_load_dword v24, off, s[0:3], s33 offset:128 ; 4-byte Folded Reload
	buffer_load_dword v25, off, s[0:3], s33 offset:132 ; 4-byte Folded Reload
	v_or_b32_e32 v12, 0x10000, v23
	s_waitcnt vmcnt(1)
	v_cmp_eq_u32_sdwa vcc, v23, v24 src0_sel:WORD_0 src1_sel:DWORD
	v_cndmask_b32_e32 v12, v12, v23, vcc
.LBB12_3495:                            ;   in Loop: Header=BB12_3075 Depth=3
	s_or_b64 exec, exec, s[94:95]
	v_and_b32_e32 v13, 0xffff0000, v13
	v_lshlrev_b32_e32 v23, 16, v52
	v_add_f32_e32 v23, v23, v13
	v_and_b32_e32 v13, 0x7f800000, v23
	v_cmp_ne_u32_e32 vcc, s97, v13
                                        ; implicit-def: $vgpr13
	s_and_saveexec_b64 s[94:95], vcc
	s_xor_b64 s[94:95], exec, s[94:95]
; %bb.3496:                             ;   in Loop: Header=BB12_3075 Depth=3
	v_bfe_u32 v13, v23, 16, 1
	v_add3_u32 v13, v23, v13, s46
                                        ; implicit-def: $vgpr23
; %bb.3497:                             ;   in Loop: Header=BB12_3075 Depth=3
	s_andn2_saveexec_b64 s[94:95], s[94:95]
	s_cbranch_execz .LBB12_3499
; %bb.3498:                             ;   in Loop: Header=BB12_3075 Depth=3
	buffer_load_dword v24, off, s[0:3], s33 offset:128 ; 4-byte Folded Reload
	buffer_load_dword v25, off, s[0:3], s33 offset:132 ; 4-byte Folded Reload
	v_or_b32_e32 v13, 0x10000, v23
	s_waitcnt vmcnt(1)
	v_cmp_eq_u32_sdwa vcc, v23, v24 src0_sel:WORD_0 src1_sel:DWORD
	v_cndmask_b32_e32 v13, v13, v23, vcc
.LBB12_3499:                            ;   in Loop: Header=BB12_3075 Depth=3
	s_or_b64 exec, exec, s[94:95]
	v_and_b32_e32 v23, 0xffff0000, v52
	v_and_b32_e32 v6, 0xffff0000, v6
	v_add_f32_e32 v23, v23, v6
	v_and_b32_e32 v6, 0x7f800000, v23
	v_cmp_ne_u32_e32 vcc, s97, v6
                                        ; implicit-def: $vgpr6
	s_and_saveexec_b64 s[94:95], vcc
	s_xor_b64 s[94:95], exec, s[94:95]
; %bb.3500:                             ;   in Loop: Header=BB12_3075 Depth=3
	v_bfe_u32 v6, v23, 16, 1
	v_add3_u32 v6, v23, v6, s46
                                        ; implicit-def: $vgpr23
; %bb.3501:                             ;   in Loop: Header=BB12_3075 Depth=3
	s_andn2_saveexec_b64 s[94:95], s[94:95]
	s_cbranch_execz .LBB12_3503
; %bb.3502:                             ;   in Loop: Header=BB12_3075 Depth=3
	buffer_load_dword v24, off, s[0:3], s33 offset:128 ; 4-byte Folded Reload
	buffer_load_dword v25, off, s[0:3], s33 offset:132 ; 4-byte Folded Reload
	v_or_b32_e32 v6, 0x10000, v23
	s_waitcnt vmcnt(1)
	v_cmp_eq_u32_sdwa vcc, v23, v24 src0_sel:WORD_0 src1_sel:DWORD
	v_cndmask_b32_e32 v6, v6, v23, vcc
.LBB12_3503:                            ;   in Loop: Header=BB12_3075 Depth=3
	s_or_b64 exec, exec, s[94:95]
	buffer_load_dword v23, off, s[0:3], s33 offset:380 ; 4-byte Folded Reload
	v_lshlrev_b32_e32 v24, 16, v53
	s_waitcnt vmcnt(0)
	v_and_b32_e32 v23, 0xffff0000, v23
	v_add_f32_e32 v24, v24, v23
	v_and_b32_e32 v23, 0x7f800000, v24
	v_cmp_ne_u32_e32 vcc, s97, v23
                                        ; implicit-def: $vgpr23
	s_and_saveexec_b64 s[94:95], vcc
	s_xor_b64 s[94:95], exec, s[94:95]
; %bb.3504:                             ;   in Loop: Header=BB12_3075 Depth=3
	v_bfe_u32 v23, v24, 16, 1
	v_add3_u32 v23, v24, v23, s46
                                        ; implicit-def: $vgpr24
; %bb.3505:                             ;   in Loop: Header=BB12_3075 Depth=3
	s_andn2_saveexec_b64 s[94:95], s[94:95]
	s_cbranch_execz .LBB12_3507
; %bb.3506:                             ;   in Loop: Header=BB12_3075 Depth=3
	buffer_load_dword v25, off, s[0:3], s33 offset:128 ; 4-byte Folded Reload
	buffer_load_dword v26, off, s[0:3], s33 offset:132 ; 4-byte Folded Reload
	v_or_b32_e32 v23, 0x10000, v24
	s_waitcnt vmcnt(1)
	v_cmp_eq_u32_sdwa vcc, v24, v25 src0_sel:WORD_0 src1_sel:DWORD
	v_cndmask_b32_e32 v23, v23, v24, vcc
.LBB12_3507:                            ;   in Loop: Header=BB12_3075 Depth=3
	s_or_b64 exec, exec, s[94:95]
	buffer_load_dword v25, off, s[0:3], s33 offset:376 ; 4-byte Folded Reload
	v_and_b32_e32 v24, 0xffff0000, v53
                                        ; implicit-def: $vgpr52
	s_waitcnt vmcnt(0)
	v_and_b32_e32 v25, 0xffff0000, v25
	v_add_f32_e32 v24, v24, v25
	v_and_b32_e32 v25, 0x7f800000, v24
	v_cmp_ne_u32_e32 vcc, s97, v25
	s_and_saveexec_b64 s[94:95], vcc
	s_xor_b64 s[94:95], exec, s[94:95]
; %bb.3508:                             ;   in Loop: Header=BB12_3075 Depth=3
	v_bfe_u32 v25, v24, 16, 1
	v_add3_u32 v52, v24, v25, s46
                                        ; implicit-def: $vgpr24
; %bb.3509:                             ;   in Loop: Header=BB12_3075 Depth=3
	s_andn2_saveexec_b64 s[94:95], s[94:95]
	s_cbranch_execz .LBB12_3511
; %bb.3510:                             ;   in Loop: Header=BB12_3075 Depth=3
	buffer_load_dword v26, off, s[0:3], s33 offset:128 ; 4-byte Folded Reload
	buffer_load_dword v27, off, s[0:3], s33 offset:132 ; 4-byte Folded Reload
	v_or_b32_e32 v25, 0x10000, v24
	s_waitcnt vmcnt(1)
	v_cmp_eq_u32_sdwa vcc, v24, v26 src0_sel:WORD_0 src1_sel:DWORD
	v_cndmask_b32_e32 v52, v25, v24, vcc
.LBB12_3511:                            ;   in Loop: Header=BB12_3075 Depth=3
	s_or_b64 exec, exec, s[94:95]
	v_and_b32_e32 v7, 0xffff0000, v7
	v_lshlrev_b32_e32 v24, 16, v54
	v_add_f32_e32 v24, v24, v7
	v_and_b32_e32 v7, 0x7f800000, v24
	v_cmp_ne_u32_e32 vcc, s97, v7
                                        ; implicit-def: $vgpr7
	s_and_saveexec_b64 s[94:95], vcc
	s_xor_b64 s[94:95], exec, s[94:95]
; %bb.3512:                             ;   in Loop: Header=BB12_3075 Depth=3
	v_bfe_u32 v7, v24, 16, 1
	v_add3_u32 v7, v24, v7, s46
                                        ; implicit-def: $vgpr24
; %bb.3513:                             ;   in Loop: Header=BB12_3075 Depth=3
	s_andn2_saveexec_b64 s[94:95], s[94:95]
	s_cbranch_execz .LBB12_3515
; %bb.3514:                             ;   in Loop: Header=BB12_3075 Depth=3
	buffer_load_dword v25, off, s[0:3], s33 offset:128 ; 4-byte Folded Reload
	buffer_load_dword v26, off, s[0:3], s33 offset:132 ; 4-byte Folded Reload
	v_or_b32_e32 v7, 0x10000, v24
	s_waitcnt vmcnt(1)
	v_cmp_eq_u32_sdwa vcc, v24, v25 src0_sel:WORD_0 src1_sel:DWORD
	v_cndmask_b32_e32 v7, v7, v24, vcc
.LBB12_3515:                            ;   in Loop: Header=BB12_3075 Depth=3
	s_or_b64 exec, exec, s[94:95]
	v_and_b32_e32 v24, 0xffff0000, v54
	v_and_b32_e32 v8, 0xffff0000, v8
	v_add_f32_e32 v24, v24, v8
	v_and_b32_e32 v8, 0x7f800000, v24
	v_cmp_ne_u32_e32 vcc, s97, v8
                                        ; implicit-def: $vgpr8
	s_and_saveexec_b64 s[94:95], vcc
	s_xor_b64 s[94:95], exec, s[94:95]
; %bb.3516:                             ;   in Loop: Header=BB12_3075 Depth=3
	v_bfe_u32 v8, v24, 16, 1
	v_add3_u32 v8, v24, v8, s46
                                        ; implicit-def: $vgpr24
; %bb.3517:                             ;   in Loop: Header=BB12_3075 Depth=3
	s_andn2_saveexec_b64 s[94:95], s[94:95]
	s_cbranch_execz .LBB12_3519
; %bb.3518:                             ;   in Loop: Header=BB12_3075 Depth=3
	buffer_load_dword v25, off, s[0:3], s33 offset:128 ; 4-byte Folded Reload
	buffer_load_dword v26, off, s[0:3], s33 offset:132 ; 4-byte Folded Reload
	v_or_b32_e32 v8, 0x10000, v24
	s_waitcnt vmcnt(1)
	v_cmp_eq_u32_sdwa vcc, v24, v25 src0_sel:WORD_0 src1_sel:DWORD
	v_cndmask_b32_e32 v8, v8, v24, vcc
.LBB12_3519:                            ;   in Loop: Header=BB12_3075 Depth=3
	s_or_b64 exec, exec, s[94:95]
	buffer_load_dword v24, off, s[0:3], s33 offset:372 ; 4-byte Folded Reload
	v_lshlrev_b32_e32 v25, 16, v55
                                        ; implicit-def: $vgpr53
	s_waitcnt vmcnt(0)
	v_and_b32_e32 v24, 0xffff0000, v24
	v_add_f32_e32 v24, v25, v24
	v_and_b32_e32 v25, 0x7f800000, v24
	v_cmp_ne_u32_e32 vcc, s97, v25
	s_and_saveexec_b64 s[94:95], vcc
	s_xor_b64 s[94:95], exec, s[94:95]
; %bb.3520:                             ;   in Loop: Header=BB12_3075 Depth=3
	v_bfe_u32 v25, v24, 16, 1
	v_add3_u32 v53, v24, v25, s46
                                        ; implicit-def: $vgpr24
; %bb.3521:                             ;   in Loop: Header=BB12_3075 Depth=3
	s_andn2_saveexec_b64 s[94:95], s[94:95]
	s_cbranch_execz .LBB12_3523
; %bb.3522:                             ;   in Loop: Header=BB12_3075 Depth=3
	buffer_load_dword v26, off, s[0:3], s33 offset:128 ; 4-byte Folded Reload
	buffer_load_dword v27, off, s[0:3], s33 offset:132 ; 4-byte Folded Reload
	v_or_b32_e32 v25, 0x10000, v24
	s_waitcnt vmcnt(1)
	v_cmp_eq_u32_sdwa vcc, v24, v26 src0_sel:WORD_0 src1_sel:DWORD
	v_cndmask_b32_e32 v53, v25, v24, vcc
.LBB12_3523:                            ;   in Loop: Header=BB12_3075 Depth=3
	s_or_b64 exec, exec, s[94:95]
	v_and_b32_e32 v24, 0xffff0000, v55
	v_and_b32_e32 v9, 0xffff0000, v9
	v_add_f32_e32 v24, v24, v9
	v_and_b32_e32 v9, 0x7f800000, v24
	v_cmp_ne_u32_e32 vcc, s97, v9
                                        ; implicit-def: $vgpr9
	s_and_saveexec_b64 s[94:95], vcc
	s_xor_b64 s[94:95], exec, s[94:95]
; %bb.3524:                             ;   in Loop: Header=BB12_3075 Depth=3
	v_bfe_u32 v9, v24, 16, 1
	v_add3_u32 v9, v24, v9, s46
                                        ; implicit-def: $vgpr24
; %bb.3525:                             ;   in Loop: Header=BB12_3075 Depth=3
	s_andn2_saveexec_b64 s[94:95], s[94:95]
	s_cbranch_execz .LBB12_3527
; %bb.3526:                             ;   in Loop: Header=BB12_3075 Depth=3
	buffer_load_dword v25, off, s[0:3], s33 offset:128 ; 4-byte Folded Reload
	buffer_load_dword v26, off, s[0:3], s33 offset:132 ; 4-byte Folded Reload
	v_or_b32_e32 v9, 0x10000, v24
	s_waitcnt vmcnt(1)
	v_cmp_eq_u32_sdwa vcc, v24, v25 src0_sel:WORD_0 src1_sel:DWORD
	v_cndmask_b32_e32 v9, v9, v24, vcc
.LBB12_3527:                            ;   in Loop: Header=BB12_3075 Depth=3
	s_or_b64 exec, exec, s[94:95]
	buffer_load_dword v24, off, s[0:3], s33 offset:368 ; 4-byte Folded Reload
	v_lshlrev_b32_e32 v25, 16, v36
                                        ; implicit-def: $vgpr54
	s_waitcnt vmcnt(0)
	v_and_b32_e32 v24, 0xffff0000, v24
	v_add_f32_e32 v24, v25, v24
	v_and_b32_e32 v25, 0x7f800000, v24
	v_cmp_ne_u32_e32 vcc, s97, v25
	s_and_saveexec_b64 s[94:95], vcc
	s_xor_b64 s[94:95], exec, s[94:95]
; %bb.3528:                             ;   in Loop: Header=BB12_3075 Depth=3
	v_bfe_u32 v25, v24, 16, 1
	v_add3_u32 v54, v24, v25, s46
                                        ; implicit-def: $vgpr24
; %bb.3529:                             ;   in Loop: Header=BB12_3075 Depth=3
	s_andn2_saveexec_b64 s[94:95], s[94:95]
	s_cbranch_execz .LBB12_3531
; %bb.3530:                             ;   in Loop: Header=BB12_3075 Depth=3
	buffer_load_dword v26, off, s[0:3], s33 offset:128 ; 4-byte Folded Reload
	buffer_load_dword v27, off, s[0:3], s33 offset:132 ; 4-byte Folded Reload
	v_or_b32_e32 v25, 0x10000, v24
	s_waitcnt vmcnt(1)
	v_cmp_eq_u32_sdwa vcc, v24, v26 src0_sel:WORD_0 src1_sel:DWORD
	v_cndmask_b32_e32 v54, v25, v24, vcc
.LBB12_3531:                            ;   in Loop: Header=BB12_3075 Depth=3
	s_or_b64 exec, exec, s[94:95]
	v_and_b32_e32 v24, 0xffff0000, v36
	v_and_b32_e32 v25, 0xffff0000, v35
	v_add_f32_e32 v24, v24, v25
	v_and_b32_e32 v25, 0x7f800000, v24
	v_cmp_ne_u32_e32 vcc, s97, v25
                                        ; implicit-def: $vgpr36
	s_and_saveexec_b64 s[94:95], vcc
	s_xor_b64 s[94:95], exec, s[94:95]
; %bb.3532:                             ;   in Loop: Header=BB12_3075 Depth=3
	v_bfe_u32 v25, v24, 16, 1
	v_add3_u32 v36, v24, v25, s46
                                        ; implicit-def: $vgpr24
; %bb.3533:                             ;   in Loop: Header=BB12_3075 Depth=3
	s_andn2_saveexec_b64 s[94:95], s[94:95]
	s_cbranch_execz .LBB12_3535
; %bb.3534:                             ;   in Loop: Header=BB12_3075 Depth=3
	buffer_load_dword v26, off, s[0:3], s33 offset:128 ; 4-byte Folded Reload
	buffer_load_dword v27, off, s[0:3], s33 offset:132 ; 4-byte Folded Reload
	v_or_b32_e32 v25, 0x10000, v24
	s_waitcnt vmcnt(1)
	v_cmp_eq_u32_sdwa vcc, v24, v26 src0_sel:WORD_0 src1_sel:DWORD
	v_cndmask_b32_e32 v36, v25, v24, vcc
.LBB12_3535:                            ;   in Loop: Header=BB12_3075 Depth=3
	s_or_b64 exec, exec, s[94:95]
	v_and_b32_e32 v2, 0xffff0000, v2
	v_lshlrev_b32_e32 v24, 16, v37
	v_add_f32_e32 v24, v24, v2
	v_and_b32_e32 v2, 0x7f800000, v24
	v_cmp_ne_u32_e32 vcc, s97, v2
                                        ; implicit-def: $vgpr2
	s_and_saveexec_b64 s[94:95], vcc
	s_xor_b64 s[94:95], exec, s[94:95]
; %bb.3536:                             ;   in Loop: Header=BB12_3075 Depth=3
	v_bfe_u32 v2, v24, 16, 1
	v_add3_u32 v2, v24, v2, s46
                                        ; implicit-def: $vgpr24
; %bb.3537:                             ;   in Loop: Header=BB12_3075 Depth=3
	s_andn2_saveexec_b64 s[94:95], s[94:95]
	s_cbranch_execz .LBB12_3539
; %bb.3538:                             ;   in Loop: Header=BB12_3075 Depth=3
	buffer_load_dword v25, off, s[0:3], s33 offset:128 ; 4-byte Folded Reload
	buffer_load_dword v26, off, s[0:3], s33 offset:132 ; 4-byte Folded Reload
	v_or_b32_e32 v2, 0x10000, v24
	s_waitcnt vmcnt(1)
	v_cmp_eq_u32_sdwa vcc, v24, v25 src0_sel:WORD_0 src1_sel:DWORD
	v_cndmask_b32_e32 v2, v2, v24, vcc
.LBB12_3539:                            ;   in Loop: Header=BB12_3075 Depth=3
	s_or_b64 exec, exec, s[94:95]
	v_and_b32_e32 v24, 0xffff0000, v37
	v_and_b32_e32 v3, 0xffff0000, v3
	v_add_f32_e32 v24, v24, v3
	v_and_b32_e32 v3, 0x7f800000, v24
	v_cmp_ne_u32_e32 vcc, s97, v3
                                        ; implicit-def: $vgpr3
	s_and_saveexec_b64 s[94:95], vcc
	s_xor_b64 s[94:95], exec, s[94:95]
; %bb.3540:                             ;   in Loop: Header=BB12_3075 Depth=3
	v_bfe_u32 v3, v24, 16, 1
	v_add3_u32 v3, v24, v3, s46
                                        ; implicit-def: $vgpr24
; %bb.3541:                             ;   in Loop: Header=BB12_3075 Depth=3
	s_andn2_saveexec_b64 s[94:95], s[94:95]
	s_cbranch_execz .LBB12_3543
; %bb.3542:                             ;   in Loop: Header=BB12_3075 Depth=3
	buffer_load_dword v25, off, s[0:3], s33 offset:128 ; 4-byte Folded Reload
	buffer_load_dword v26, off, s[0:3], s33 offset:132 ; 4-byte Folded Reload
	v_or_b32_e32 v3, 0x10000, v24
	s_waitcnt vmcnt(1)
	v_cmp_eq_u32_sdwa vcc, v24, v25 src0_sel:WORD_0 src1_sel:DWORD
	v_cndmask_b32_e32 v3, v3, v24, vcc
.LBB12_3543:                            ;   in Loop: Header=BB12_3075 Depth=3
	s_or_b64 exec, exec, s[94:95]
	v_and_b32_e32 v24, 0xffff0000, v34
	v_lshlrev_b32_e32 v25, 16, v38
	v_add_f32_e32 v24, v25, v24
	v_and_b32_e32 v25, 0x7f800000, v24
	v_cmp_ne_u32_e32 vcc, s97, v25
                                        ; implicit-def: $vgpr37
	s_and_saveexec_b64 s[94:95], vcc
	s_xor_b64 s[94:95], exec, s[94:95]
; %bb.3544:                             ;   in Loop: Header=BB12_3075 Depth=3
	v_bfe_u32 v25, v24, 16, 1
	v_add3_u32 v37, v24, v25, s46
                                        ; implicit-def: $vgpr24
; %bb.3545:                             ;   in Loop: Header=BB12_3075 Depth=3
	s_andn2_saveexec_b64 s[94:95], s[94:95]
	s_cbranch_execz .LBB12_3547
; %bb.3546:                             ;   in Loop: Header=BB12_3075 Depth=3
	buffer_load_dword v26, off, s[0:3], s33 offset:128 ; 4-byte Folded Reload
	buffer_load_dword v27, off, s[0:3], s33 offset:132 ; 4-byte Folded Reload
	v_or_b32_e32 v25, 0x10000, v24
	s_waitcnt vmcnt(1)
	v_cmp_eq_u32_sdwa vcc, v24, v26 src0_sel:WORD_0 src1_sel:DWORD
	v_cndmask_b32_e32 v37, v25, v24, vcc
.LBB12_3547:                            ;   in Loop: Header=BB12_3075 Depth=3
	s_or_b64 exec, exec, s[94:95]
	v_and_b32_e32 v24, 0xffff0000, v38
	v_and_b32_e32 v4, 0xffff0000, v4
	v_add_f32_e32 v24, v24, v4
	v_and_b32_e32 v4, 0x7f800000, v24
	v_cmp_ne_u32_e32 vcc, s97, v4
                                        ; implicit-def: $vgpr4
	s_and_saveexec_b64 s[94:95], vcc
	s_xor_b64 s[94:95], exec, s[94:95]
; %bb.3548:                             ;   in Loop: Header=BB12_3075 Depth=3
	v_bfe_u32 v4, v24, 16, 1
	v_add3_u32 v4, v24, v4, s46
                                        ; implicit-def: $vgpr24
; %bb.3549:                             ;   in Loop: Header=BB12_3075 Depth=3
	s_andn2_saveexec_b64 s[94:95], s[94:95]
	s_cbranch_execz .LBB12_3551
; %bb.3550:                             ;   in Loop: Header=BB12_3075 Depth=3
	buffer_load_dword v25, off, s[0:3], s33 offset:128 ; 4-byte Folded Reload
	buffer_load_dword v26, off, s[0:3], s33 offset:132 ; 4-byte Folded Reload
	v_or_b32_e32 v4, 0x10000, v24
	s_waitcnt vmcnt(1)
	v_cmp_eq_u32_sdwa vcc, v24, v25 src0_sel:WORD_0 src1_sel:DWORD
	v_cndmask_b32_e32 v4, v4, v24, vcc
.LBB12_3551:                            ;   in Loop: Header=BB12_3075 Depth=3
	s_or_b64 exec, exec, s[94:95]
	v_and_b32_e32 v24, 0xffff0000, v33
	v_lshlrev_b32_e32 v25, 16, v39
	v_add_f32_e32 v24, v25, v24
	v_and_b32_e32 v25, 0x7f800000, v24
	v_cmp_ne_u32_e32 vcc, s97, v25
                                        ; implicit-def: $vgpr38
	s_and_saveexec_b64 s[94:95], vcc
	s_xor_b64 s[94:95], exec, s[94:95]
; %bb.3552:                             ;   in Loop: Header=BB12_3075 Depth=3
	v_bfe_u32 v25, v24, 16, 1
	v_add3_u32 v38, v24, v25, s46
                                        ; implicit-def: $vgpr24
; %bb.3553:                             ;   in Loop: Header=BB12_3075 Depth=3
	s_andn2_saveexec_b64 s[94:95], s[94:95]
	s_cbranch_execz .LBB12_3555
; %bb.3554:                             ;   in Loop: Header=BB12_3075 Depth=3
	buffer_load_dword v26, off, s[0:3], s33 offset:128 ; 4-byte Folded Reload
	buffer_load_dword v27, off, s[0:3], s33 offset:132 ; 4-byte Folded Reload
	v_or_b32_e32 v25, 0x10000, v24
	s_waitcnt vmcnt(1)
	v_cmp_eq_u32_sdwa vcc, v24, v26 src0_sel:WORD_0 src1_sel:DWORD
	v_cndmask_b32_e32 v38, v25, v24, vcc
.LBB12_3555:                            ;   in Loop: Header=BB12_3075 Depth=3
	s_or_b64 exec, exec, s[94:95]
	v_and_b32_e32 v24, 0xffff0000, v39
	v_and_b32_e32 v5, 0xffff0000, v5
	v_add_f32_e32 v24, v24, v5
	v_and_b32_e32 v5, 0x7f800000, v24
	v_cmp_ne_u32_e32 vcc, s97, v5
                                        ; implicit-def: $vgpr5
	s_and_saveexec_b64 s[94:95], vcc
	s_xor_b64 s[94:95], exec, s[94:95]
; %bb.3556:                             ;   in Loop: Header=BB12_3075 Depth=3
	v_bfe_u32 v5, v24, 16, 1
	v_add3_u32 v5, v24, v5, s46
                                        ; implicit-def: $vgpr24
; %bb.3557:                             ;   in Loop: Header=BB12_3075 Depth=3
	s_andn2_saveexec_b64 s[94:95], s[94:95]
	s_cbranch_execz .LBB12_3559
; %bb.3558:                             ;   in Loop: Header=BB12_3075 Depth=3
	buffer_load_dword v25, off, s[0:3], s33 offset:128 ; 4-byte Folded Reload
	buffer_load_dword v26, off, s[0:3], s33 offset:132 ; 4-byte Folded Reload
	v_or_b32_e32 v5, 0x10000, v24
	s_waitcnt vmcnt(1)
	v_cmp_eq_u32_sdwa vcc, v24, v25 src0_sel:WORD_0 src1_sel:DWORD
	v_cndmask_b32_e32 v5, v5, v24, vcc
.LBB12_3559:                            ;   in Loop: Header=BB12_3075 Depth=3
	s_or_b64 exec, exec, s[94:95]
	v_and_b32_e32 v24, 0xffff0000, v32
	buffer_load_dword v32, off, s[0:3], s33 offset:168 ; 4-byte Folded Reload
	buffer_load_dword v33, off, s[0:3], s33 offset:172 ; 4-byte Folded Reload
	;; [unrolled: 1-line block ×4, first 2 shown]
                                        ; implicit-def: $vgpr39
	s_waitcnt vmcnt(3)
	v_lshlrev_b32_e32 v25, 16, v32
	v_add_f32_e32 v24, v25, v24
	v_and_b32_e32 v25, 0x7f800000, v24
	v_cmp_ne_u32_e32 vcc, s97, v25
	s_and_saveexec_b64 s[94:95], vcc
	s_xor_b64 s[94:95], exec, s[94:95]
; %bb.3560:                             ;   in Loop: Header=BB12_3075 Depth=3
	v_bfe_u32 v25, v24, 16, 1
	v_add3_u32 v39, v24, v25, s46
                                        ; implicit-def: $vgpr24
; %bb.3561:                             ;   in Loop: Header=BB12_3075 Depth=3
	s_andn2_saveexec_b64 s[94:95], s[94:95]
	s_cbranch_execz .LBB12_3563
; %bb.3562:                             ;   in Loop: Header=BB12_3075 Depth=3
	buffer_load_dword v26, off, s[0:3], s33 offset:128 ; 4-byte Folded Reload
	buffer_load_dword v27, off, s[0:3], s33 offset:132 ; 4-byte Folded Reload
	v_or_b32_e32 v25, 0x10000, v24
	s_waitcnt vmcnt(1)
	v_cmp_eq_u32_sdwa vcc, v24, v26 src0_sel:WORD_0 src1_sel:DWORD
	v_cndmask_b32_e32 v39, v25, v24, vcc
.LBB12_3563:                            ;   in Loop: Header=BB12_3075 Depth=3
	s_or_b64 exec, exec, s[94:95]
	buffer_load_dword v24, off, s[0:3], s33 offset:168 ; 4-byte Folded Reload
	buffer_load_dword v25, off, s[0:3], s33 offset:172 ; 4-byte Folded Reload
	;; [unrolled: 1-line block ×5, first 2 shown]
                                        ; implicit-def: $vgpr32
	s_waitcnt vmcnt(4)
	v_and_b32_e32 v24, 0xffff0000, v24
	s_waitcnt vmcnt(0)
	v_and_b32_e32 v25, 0xffff0000, v25
	v_add_f32_e32 v24, v24, v25
	v_and_b32_e32 v25, 0x7f800000, v24
	v_cmp_ne_u32_e32 vcc, s97, v25
	s_and_saveexec_b64 s[94:95], vcc
	s_xor_b64 s[94:95], exec, s[94:95]
; %bb.3564:                             ;   in Loop: Header=BB12_3075 Depth=3
	v_bfe_u32 v25, v24, 16, 1
	v_add3_u32 v32, v24, v25, s46
                                        ; implicit-def: $vgpr24
; %bb.3565:                             ;   in Loop: Header=BB12_3075 Depth=3
	s_andn2_saveexec_b64 s[94:95], s[94:95]
	s_cbranch_execz .LBB12_3567
; %bb.3566:                             ;   in Loop: Header=BB12_3075 Depth=3
	buffer_load_dword v26, off, s[0:3], s33 offset:128 ; 4-byte Folded Reload
	buffer_load_dword v27, off, s[0:3], s33 offset:132 ; 4-byte Folded Reload
	v_or_b32_e32 v25, 0x10000, v24
	s_waitcnt vmcnt(1)
	v_cmp_eq_u32_sdwa vcc, v24, v26 src0_sel:WORD_0 src1_sel:DWORD
	v_cndmask_b32_e32 v32, v25, v24, vcc
.LBB12_3567:                            ;   in Loop: Header=BB12_3075 Depth=3
	s_or_b64 exec, exec, s[94:95]
	v_and_b32_e32 v24, 0xffff0000, v56
	buffer_load_dword v55, off, s[0:3], s33 offset:168 ; 4-byte Folded Reload
	buffer_load_dword v56, off, s[0:3], s33 offset:172 ; 4-byte Folded Reload
	;; [unrolled: 1-line block ×4, first 2 shown]
                                        ; implicit-def: $vgpr55
	s_waitcnt vmcnt(2)
	v_lshlrev_b32_e32 v25, 16, v56
	v_add_f32_e32 v24, v25, v24
	v_and_b32_e32 v25, 0x7f800000, v24
	v_cmp_ne_u32_e32 vcc, s97, v25
	s_and_saveexec_b64 s[94:95], vcc
	s_xor_b64 s[94:95], exec, s[94:95]
; %bb.3568:                             ;   in Loop: Header=BB12_3075 Depth=3
	v_bfe_u32 v25, v24, 16, 1
	v_add3_u32 v55, v24, v25, s46
                                        ; implicit-def: $vgpr24
; %bb.3569:                             ;   in Loop: Header=BB12_3075 Depth=3
	s_andn2_saveexec_b64 s[94:95], s[94:95]
	s_cbranch_execz .LBB12_3571
; %bb.3570:                             ;   in Loop: Header=BB12_3075 Depth=3
	buffer_load_dword v26, off, s[0:3], s33 offset:128 ; 4-byte Folded Reload
	buffer_load_dword v27, off, s[0:3], s33 offset:132 ; 4-byte Folded Reload
	v_or_b32_e32 v25, 0x10000, v24
	s_waitcnt vmcnt(1)
	v_cmp_eq_u32_sdwa vcc, v24, v26 src0_sel:WORD_0 src1_sel:DWORD
	v_cndmask_b32_e32 v55, v25, v24, vcc
.LBB12_3571:                            ;   in Loop: Header=BB12_3075 Depth=3
	s_or_b64 exec, exec, s[94:95]
	buffer_load_dword v24, off, s[0:3], s33 offset:168 ; 4-byte Folded Reload
	buffer_load_dword v25, off, s[0:3], s33 offset:172 ; 4-byte Folded Reload
	;; [unrolled: 1-line block ×4, first 2 shown]
                                        ; implicit-def: $vgpr33
	s_waitcnt vmcnt(2)
	v_and_b32_e32 v24, 0xffff0000, v25
	buffer_load_dword v25, off, s[0:3], s33 offset:356 ; 4-byte Folded Reload
	s_waitcnt vmcnt(0)
	v_and_b32_e32 v25, 0xffff0000, v25
	v_add_f32_e32 v24, v24, v25
	v_and_b32_e32 v25, 0x7f800000, v24
	v_cmp_ne_u32_e32 vcc, s97, v25
	s_and_saveexec_b64 s[94:95], vcc
	s_xor_b64 s[94:95], exec, s[94:95]
; %bb.3572:                             ;   in Loop: Header=BB12_3075 Depth=3
	v_bfe_u32 v25, v24, 16, 1
	v_add3_u32 v33, v24, v25, s46
                                        ; implicit-def: $vgpr24
; %bb.3573:                             ;   in Loop: Header=BB12_3075 Depth=3
	s_andn2_saveexec_b64 s[94:95], s[94:95]
	s_cbranch_execz .LBB12_3575
; %bb.3574:                             ;   in Loop: Header=BB12_3075 Depth=3
	buffer_load_dword v26, off, s[0:3], s33 offset:128 ; 4-byte Folded Reload
	buffer_load_dword v27, off, s[0:3], s33 offset:132 ; 4-byte Folded Reload
	v_or_b32_e32 v25, 0x10000, v24
	s_waitcnt vmcnt(1)
	v_cmp_eq_u32_sdwa vcc, v24, v26 src0_sel:WORD_0 src1_sel:DWORD
	v_cndmask_b32_e32 v33, v25, v24, vcc
.LBB12_3575:                            ;   in Loop: Header=BB12_3075 Depth=3
	s_or_b64 exec, exec, s[94:95]
	buffer_load_dword v24, off, s[0:3], s33 offset:360 ; 4-byte Folded Reload
	buffer_load_dword v56, off, s[0:3], s33 offset:168 ; 4-byte Folded Reload
	;; [unrolled: 1-line block ×5, first 2 shown]
                                        ; implicit-def: $vgpr41
	s_waitcnt vmcnt(1)
	v_lshlrev_b32_e32 v25, 16, v58
	v_and_b32_e32 v24, 0xffff0000, v24
	v_add_f32_e32 v24, v25, v24
	v_and_b32_e32 v25, 0x7f800000, v24
	v_cmp_ne_u32_e32 vcc, s97, v25
	s_and_saveexec_b64 s[94:95], vcc
	s_xor_b64 s[94:95], exec, s[94:95]
; %bb.3576:                             ;   in Loop: Header=BB12_3075 Depth=3
	v_bfe_u32 v25, v24, 16, 1
	v_add3_u32 v41, v24, v25, s46
                                        ; implicit-def: $vgpr24
; %bb.3577:                             ;   in Loop: Header=BB12_3075 Depth=3
	s_andn2_saveexec_b64 s[94:95], s[94:95]
	s_cbranch_execz .LBB12_3579
; %bb.3578:                             ;   in Loop: Header=BB12_3075 Depth=3
	buffer_load_dword v26, off, s[0:3], s33 offset:128 ; 4-byte Folded Reload
	buffer_load_dword v27, off, s[0:3], s33 offset:132 ; 4-byte Folded Reload
	v_or_b32_e32 v25, 0x10000, v24
	s_waitcnt vmcnt(1)
	v_cmp_eq_u32_sdwa vcc, v24, v26 src0_sel:WORD_0 src1_sel:DWORD
	v_cndmask_b32_e32 v41, v25, v24, vcc
.LBB12_3579:                            ;   in Loop: Header=BB12_3075 Depth=3
	s_or_b64 exec, exec, s[94:95]
	buffer_load_dword v24, off, s[0:3], s33 offset:168 ; 4-byte Folded Reload
	buffer_load_dword v25, off, s[0:3], s33 offset:172 ; 4-byte Folded Reload
	;; [unrolled: 1-line block ×5, first 2 shown]
	s_waitcnt vmcnt(2)
	v_and_b32_e32 v24, 0xffff0000, v26
	s_waitcnt vmcnt(0)
	v_and_b32_e32 v25, 0xffff0000, v25
	v_add_f32_e32 v25, v24, v25
	v_and_b32_e32 v24, 0x7f800000, v25
	v_cmp_ne_u32_e32 vcc, s97, v24
                                        ; implicit-def: $vgpr24
	s_and_saveexec_b64 s[94:95], vcc
	s_xor_b64 s[94:95], exec, s[94:95]
; %bb.3580:                             ;   in Loop: Header=BB12_3075 Depth=3
	v_bfe_u32 v24, v25, 16, 1
	v_add3_u32 v24, v25, v24, s46
                                        ; implicit-def: $vgpr25
; %bb.3581:                             ;   in Loop: Header=BB12_3075 Depth=3
	s_andn2_saveexec_b64 s[94:95], s[94:95]
	s_cbranch_execz .LBB12_3583
; %bb.3582:                             ;   in Loop: Header=BB12_3075 Depth=3
	buffer_load_dword v26, off, s[0:3], s33 offset:128 ; 4-byte Folded Reload
	buffer_load_dword v27, off, s[0:3], s33 offset:132 ; 4-byte Folded Reload
	v_or_b32_e32 v24, 0x10000, v25
	s_waitcnt vmcnt(1)
	v_cmp_eq_u32_sdwa vcc, v25, v26 src0_sel:WORD_0 src1_sel:DWORD
	v_cndmask_b32_e32 v24, v24, v25, vcc
.LBB12_3583:                            ;   in Loop: Header=BB12_3075 Depth=3
	s_or_b64 exec, exec, s[94:95]
	buffer_load_dword v25, off, s[0:3], s33 offset:352 ; 4-byte Folded Reload
	buffer_load_dword v56, off, s[0:3], s33 offset:168 ; 4-byte Folded Reload
	buffer_load_dword v57, off, s[0:3], s33 offset:172 ; 4-byte Folded Reload
	buffer_load_dword v58, off, s[0:3], s33 offset:176 ; 4-byte Folded Reload
	buffer_load_dword v59, off, s[0:3], s33 offset:180 ; 4-byte Folded Reload
	s_waitcnt vmcnt(4)
	v_and_b32_e32 v25, 0xffff0000, v25
	s_waitcnt vmcnt(0)
	v_lshlrev_b32_e32 v26, 16, v59
	v_add_f32_e32 v26, v26, v25
	v_and_b32_e32 v25, 0x7f800000, v26
	v_cmp_ne_u32_e32 vcc, s97, v25
                                        ; implicit-def: $vgpr25
	s_and_saveexec_b64 s[94:95], vcc
	s_xor_b64 s[94:95], exec, s[94:95]
; %bb.3584:                             ;   in Loop: Header=BB12_3075 Depth=3
	v_bfe_u32 v25, v26, 16, 1
	v_add3_u32 v25, v26, v25, s46
                                        ; implicit-def: $vgpr26
; %bb.3585:                             ;   in Loop: Header=BB12_3075 Depth=3
	s_andn2_saveexec_b64 s[94:95], s[94:95]
	s_cbranch_execz .LBB12_3587
; %bb.3586:                             ;   in Loop: Header=BB12_3075 Depth=3
	buffer_load_dword v34, off, s[0:3], s33 offset:128 ; 4-byte Folded Reload
	buffer_load_dword v35, off, s[0:3], s33 offset:132 ; 4-byte Folded Reload
	v_or_b32_e32 v25, 0x10000, v26
	s_waitcnt vmcnt(1)
	v_cmp_eq_u32_sdwa vcc, v26, v34 src0_sel:WORD_0 src1_sel:DWORD
	v_cndmask_b32_e32 v25, v25, v26, vcc
.LBB12_3587:                            ;   in Loop: Header=BB12_3075 Depth=3
	s_or_b64 exec, exec, s[94:95]
	buffer_load_dword v56, off, s[0:3], s33 offset:168 ; 4-byte Folded Reload
	buffer_load_dword v57, off, s[0:3], s33 offset:172 ; 4-byte Folded Reload
	;; [unrolled: 1-line block ×5, first 2 shown]
	s_waitcnt vmcnt(1)
	v_and_b32_e32 v26, 0xffff0000, v59
	s_waitcnt vmcnt(0)
	v_and_b32_e32 v27, 0xffff0000, v27
	v_add_f32_e32 v27, v26, v27
	v_and_b32_e32 v26, 0x7f800000, v27
	v_cmp_ne_u32_e32 vcc, s97, v26
                                        ; implicit-def: $vgpr26
	s_and_saveexec_b64 s[94:95], vcc
	s_xor_b64 s[94:95], exec, s[94:95]
; %bb.3588:                             ;   in Loop: Header=BB12_3075 Depth=3
	v_bfe_u32 v26, v27, 16, 1
	v_add3_u32 v26, v27, v26, s46
                                        ; implicit-def: $vgpr27
; %bb.3589:                             ;   in Loop: Header=BB12_3075 Depth=3
	s_andn2_saveexec_b64 s[94:95], s[94:95]
	s_cbranch_execz .LBB12_3591
; %bb.3590:                             ;   in Loop: Header=BB12_3075 Depth=3
	buffer_load_dword v34, off, s[0:3], s33 offset:128 ; 4-byte Folded Reload
	buffer_load_dword v35, off, s[0:3], s33 offset:132 ; 4-byte Folded Reload
	v_or_b32_e32 v26, 0x10000, v27
	s_waitcnt vmcnt(1)
	v_cmp_eq_u32_sdwa vcc, v27, v34 src0_sel:WORD_0 src1_sel:DWORD
	v_cndmask_b32_e32 v26, v26, v27, vcc
.LBB12_3591:                            ;   in Loop: Header=BB12_3075 Depth=3
	s_or_b64 exec, exec, s[94:95]
	v_lshrrev_b32_e32 v2, 16, v2
	v_lshrrev_b32_e32 v13, 16, v13
	v_and_or_b32 v3, v3, s47, v2
	v_lshrrev_b32_e32 v2, 16, v54
	v_and_or_b32 v34, v6, s47, v13
	;; [unrolled: 2-line block ×3, first 2 shown]
	v_and_or_b32 v36, v8, s47, v6
	v_lshrrev_b32_e32 v6, 16, v53
	v_lshrrev_b32_e32 v27, 16, v37
	v_and_or_b32 v37, v9, s47, v6
	v_lshrrev_b32_e32 v6, 16, v20
	v_and_or_b32 v7, v10, s47, v6
	buffer_load_dword v6, off, s[0:3], s33 offset:332 ; 4-byte Folded Reload
	v_lshrrev_b32_e32 v8, 16, v11
	v_lshrrev_b32_e32 v9, 16, v22
	;; [unrolled: 1-line block ×3, first 2 shown]
	v_and_or_b32 v4, v4, s47, v27
	v_lshrrev_b32_e32 v27, 16, v38
	v_lshrrev_b32_e32 v23, 16, v23
	v_and_or_b32 v8, v21, s47, v8
	v_and_or_b32 v9, v12, s47, v9
	v_and_or_b32 v11, v33, s47, v10
	v_lshrrev_b32_e32 v10, 16, v39
	v_lshrrev_b32_e32 v12, 16, v41
	;; [unrolled: 1-line block ×3, first 2 shown]
	v_and_or_b32 v5, v5, s47, v27
	s_waitcnt vmcnt(1)
	v_and_or_b32 v35, v52, s47, v23
	v_and_or_b32 v10, v32, s47, v10
	v_and_or_b32 v12, v24, s47, v12
	v_and_or_b32 v13, v26, s47, v13
	s_waitcnt vmcnt(0)
	v_lshrrev_b32_e32 v6, 16, v6
	v_and_or_b32 v6, v40, s47, v6
	global_store_dwordx4 v[16:17], v[6:9], off glc slc
	global_store_dwordx4 v[16:17], v[34:37], off offset:1024 glc slc
	global_store_dwordx4 v[16:17], v[2:5], off offset:2048 glc slc
	global_store_dwordx4 v[16:17], v[10:13], off offset:3072 glc slc
	v_add_co_u32_e32 v16, vcc, 0x1000, v16
	v_addc_co_u32_e32 v17, vcc, 0, v17, vcc
	global_store_dwordx4 v[14:15], v[6:9], off glc slc
	global_store_dwordx4 v[14:15], v[34:37], off offset:1024 glc slc
	global_store_dwordx4 v[14:15], v[2:5], off offset:2048 glc slc
	;; [unrolled: 1-line block ×3, first 2 shown]
	v_add_co_u32_e32 v14, vcc, 0x1000, v14
	v_addc_co_u32_e32 v15, vcc, 0, v15, vcc
	s_and_saveexec_b64 s[94:95], s[92:93]
	s_cbranch_execz .LBB12_3074
; %bb.3592:                             ;   in Loop: Header=BB12_3075 Depth=3
	buffer_load_dword v2, off, s[0:3], s33 offset:404 ; 4-byte Folded Reload
	buffer_load_dword v3, off, s[0:3], s33 offset:408 ; 4-byte Folded Reload
	s_waitcnt vmcnt(1)
	v_add_co_u32_e32 v16, vcc, v16, v2
	s_waitcnt vmcnt(0)
	v_addc_co_u32_e32 v17, vcc, v17, v3, vcc
	v_add_co_u32_e32 v14, vcc, v14, v2
	v_addc_co_u32_e32 v15, vcc, v15, v3, vcc
	v_add_co_u32_e32 v18, vcc, v18, v2
	v_addc_co_u32_e32 v19, vcc, v19, v3, vcc
	v_add_co_u32_e32 v0, vcc, v0, v2
	v_addc_co_u32_e32 v1, vcc, v1, v3, vcc
	buffer_load_dword v2, off, s[0:3], s33 offset:152 ; 4-byte Folded Reload
	buffer_load_dword v3, off, s[0:3], s33 offset:300 ; 4-byte Folded Reload
	s_waitcnt vmcnt(0)
	v_sub_u32_e32 v3, v3, v2
	buffer_store_dword v3, off, s[0:3], s33 offset:300 ; 4-byte Folded Spill
	s_branch .LBB12_3074
.LBB12_3593:                            ;   in Loop: Header=BB12_2997 Depth=2
	s_mov_b64 s[28:29], 0
	s_and_saveexec_b64 s[40:41], s[10:11]
	s_cbranch_execnz .LBB12_5947
	s_branch .LBB12_5965
.LBB12_3594:                            ;   in Loop: Header=BB12_2997 Depth=2
	s_mov_b64 s[90:91], 0
	s_andn2_b64 vcc, exec, s[40:41]
	v_mov_b32_e32 v5, 0
	s_cbranch_vccz .LBB12_3072
.LBB12_3595:                            ;   in Loop: Header=BB12_2997 Depth=2
	buffer_load_dword v8, off, s[0:3], s33 offset:612 ; 4-byte Folded Reload
	buffer_load_dword v2, off, s[0:3], s33 offset:596 ; 4-byte Folded Reload
	;; [unrolled: 1-line block ×3, first 2 shown]
	s_and_saveexec_b64 s[42:43], s[90:91]
	s_cbranch_execnz .LBB12_4072
	s_branch .LBB12_4512
.LBB12_3596:                            ;   in Loop: Header=BB12_2997 Depth=2
	s_or_b64 exec, exec, s[40:41]
	buffer_load_dword v52, off, s[0:3], s33 offset:480 ; 4-byte Folded Reload
	buffer_load_dword v53, off, s[0:3], s33 offset:484 ; 4-byte Folded Reload
	;; [unrolled: 1-line block ×3, first 2 shown]
	s_and_b64 s[40:41], s[42:43], exec
.LBB12_3597:                            ;   in Loop: Header=BB12_2997 Depth=2
	s_or_b64 exec, exec, s[28:29]
	s_and_saveexec_b64 s[28:29], s[40:41]
	s_cbranch_execz .LBB12_3855
; %bb.3598:                             ;   in Loop: Header=BB12_2997 Depth=2
	s_trap 2
	ds_read_b32 v0, v0
	s_waitcnt lgkmcnt(0)
	v_lshlrev_b32_e32 v1, 16, v0
	v_lshlrev_b32_e32 v0, 16, v28
	v_mul_f32_e32 v2, v0, v1
	v_and_b32_e32 v0, 0x7f800000, v2
	v_cmp_ne_u32_e32 vcc, s97, v0
                                        ; implicit-def: $vgpr0
	s_and_saveexec_b64 s[40:41], vcc
	s_xor_b64 s[40:41], exec, s[40:41]
; %bb.3599:                             ;   in Loop: Header=BB12_2997 Depth=2
	v_bfe_u32 v0, v2, 16, 1
	v_add3_u32 v0, v2, v0, s46
                                        ; implicit-def: $vgpr2
; %bb.3600:                             ;   in Loop: Header=BB12_2997 Depth=2
	s_andn2_saveexec_b64 s[40:41], s[40:41]
	s_cbranch_execz .LBB12_3602
; %bb.3601:                             ;   in Loop: Header=BB12_2997 Depth=2
	buffer_load_dword v3, off, s[0:3], s33 offset:128 ; 4-byte Folded Reload
	buffer_load_dword v4, off, s[0:3], s33 offset:132 ; 4-byte Folded Reload
	v_or_b32_e32 v0, 0x10000, v2
	s_waitcnt vmcnt(1)
	v_cmp_eq_u32_sdwa vcc, v2, v3 src0_sel:WORD_0 src1_sel:DWORD
	v_cndmask_b32_e32 v0, v0, v2, vcc
.LBB12_3602:                            ;   in Loop: Header=BB12_2997 Depth=2
	s_or_b64 exec, exec, s[40:41]
	v_and_b32_e32 v2, 0xffff0000, v28
	v_mul_f32_e32 v2, v2, v1
	v_and_b32_e32 v3, 0x7f800000, v2
	v_cmp_ne_u32_e32 vcc, s97, v3
                                        ; implicit-def: $vgpr38
	s_and_saveexec_b64 s[40:41], vcc
	s_xor_b64 s[40:41], exec, s[40:41]
; %bb.3603:                             ;   in Loop: Header=BB12_2997 Depth=2
	v_bfe_u32 v3, v2, 16, 1
	v_add3_u32 v38, v2, v3, s46
                                        ; implicit-def: $vgpr2
; %bb.3604:                             ;   in Loop: Header=BB12_2997 Depth=2
	s_andn2_saveexec_b64 s[40:41], s[40:41]
	s_cbranch_execz .LBB12_3606
; %bb.3605:                             ;   in Loop: Header=BB12_2997 Depth=2
	buffer_load_dword v4, off, s[0:3], s33 offset:128 ; 4-byte Folded Reload
	buffer_load_dword v5, off, s[0:3], s33 offset:132 ; 4-byte Folded Reload
	v_or_b32_e32 v3, 0x10000, v2
	s_waitcnt vmcnt(1)
	v_cmp_eq_u32_sdwa vcc, v2, v4 src0_sel:WORD_0 src1_sel:DWORD
	v_cndmask_b32_e32 v38, v3, v2, vcc
.LBB12_3606:                            ;   in Loop: Header=BB12_2997 Depth=2
	s_or_b64 exec, exec, s[40:41]
	v_lshlrev_b32_e32 v2, 16, v29
	v_mul_f32_e32 v2, v2, v1
	v_and_b32_e32 v3, 0x7f800000, v2
	v_cmp_ne_u32_e32 vcc, s97, v3
                                        ; implicit-def: $vgpr39
	s_and_saveexec_b64 s[40:41], vcc
	s_xor_b64 s[40:41], exec, s[40:41]
; %bb.3607:                             ;   in Loop: Header=BB12_2997 Depth=2
	v_bfe_u32 v3, v2, 16, 1
	v_add3_u32 v39, v2, v3, s46
                                        ; implicit-def: $vgpr2
; %bb.3608:                             ;   in Loop: Header=BB12_2997 Depth=2
	s_andn2_saveexec_b64 s[40:41], s[40:41]
	s_cbranch_execz .LBB12_3610
; %bb.3609:                             ;   in Loop: Header=BB12_2997 Depth=2
	buffer_load_dword v4, off, s[0:3], s33 offset:128 ; 4-byte Folded Reload
	buffer_load_dword v5, off, s[0:3], s33 offset:132 ; 4-byte Folded Reload
	v_or_b32_e32 v3, 0x10000, v2
	s_waitcnt vmcnt(1)
	v_cmp_eq_u32_sdwa vcc, v2, v4 src0_sel:WORD_0 src1_sel:DWORD
	v_cndmask_b32_e32 v39, v3, v2, vcc
.LBB12_3610:                            ;   in Loop: Header=BB12_2997 Depth=2
	s_or_b64 exec, exec, s[40:41]
	v_and_b32_e32 v2, 0xffff0000, v29
	v_mul_f32_e32 v2, v2, v1
	v_and_b32_e32 v3, 0x7f800000, v2
	v_cmp_ne_u32_e32 vcc, s97, v3
                                        ; implicit-def: $vgpr36
	s_and_saveexec_b64 s[40:41], vcc
	s_xor_b64 s[40:41], exec, s[40:41]
; %bb.3611:                             ;   in Loop: Header=BB12_2997 Depth=2
	v_bfe_u32 v3, v2, 16, 1
	v_add3_u32 v36, v2, v3, s46
                                        ; implicit-def: $vgpr2
; %bb.3612:                             ;   in Loop: Header=BB12_2997 Depth=2
	s_andn2_saveexec_b64 s[40:41], s[40:41]
	s_cbranch_execz .LBB12_3614
; %bb.3613:                             ;   in Loop: Header=BB12_2997 Depth=2
	buffer_load_dword v4, off, s[0:3], s33 offset:128 ; 4-byte Folded Reload
	buffer_load_dword v5, off, s[0:3], s33 offset:132 ; 4-byte Folded Reload
	v_or_b32_e32 v3, 0x10000, v2
	s_waitcnt vmcnt(1)
	v_cmp_eq_u32_sdwa vcc, v2, v4 src0_sel:WORD_0 src1_sel:DWORD
	v_cndmask_b32_e32 v36, v3, v2, vcc
.LBB12_3614:                            ;   in Loop: Header=BB12_2997 Depth=2
	s_or_b64 exec, exec, s[40:41]
	v_lshlrev_b32_e32 v2, 16, v30
	v_mul_f32_e32 v2, v2, v1
	v_and_b32_e32 v3, 0x7f800000, v2
	v_cmp_ne_u32_e32 vcc, s97, v3
                                        ; implicit-def: $vgpr37
	s_and_saveexec_b64 s[40:41], vcc
	s_xor_b64 s[40:41], exec, s[40:41]
; %bb.3615:                             ;   in Loop: Header=BB12_2997 Depth=2
	v_bfe_u32 v3, v2, 16, 1
	v_add3_u32 v37, v2, v3, s46
                                        ; implicit-def: $vgpr2
; %bb.3616:                             ;   in Loop: Header=BB12_2997 Depth=2
	s_andn2_saveexec_b64 s[40:41], s[40:41]
	s_cbranch_execz .LBB12_3618
; %bb.3617:                             ;   in Loop: Header=BB12_2997 Depth=2
	buffer_load_dword v4, off, s[0:3], s33 offset:128 ; 4-byte Folded Reload
	buffer_load_dword v5, off, s[0:3], s33 offset:132 ; 4-byte Folded Reload
	v_or_b32_e32 v3, 0x10000, v2
	s_waitcnt vmcnt(1)
	v_cmp_eq_u32_sdwa vcc, v2, v4 src0_sel:WORD_0 src1_sel:DWORD
	v_cndmask_b32_e32 v37, v3, v2, vcc
.LBB12_3618:                            ;   in Loop: Header=BB12_2997 Depth=2
	s_or_b64 exec, exec, s[40:41]
	v_and_b32_e32 v2, 0xffff0000, v30
	v_mul_f32_e32 v2, v2, v1
	v_and_b32_e32 v3, 0x7f800000, v2
	v_cmp_ne_u32_e32 vcc, s97, v3
                                        ; implicit-def: $vgpr34
	s_and_saveexec_b64 s[40:41], vcc
	s_xor_b64 s[40:41], exec, s[40:41]
; %bb.3619:                             ;   in Loop: Header=BB12_2997 Depth=2
	v_bfe_u32 v3, v2, 16, 1
	v_add3_u32 v34, v2, v3, s46
                                        ; implicit-def: $vgpr2
; %bb.3620:                             ;   in Loop: Header=BB12_2997 Depth=2
	s_andn2_saveexec_b64 s[40:41], s[40:41]
	s_cbranch_execz .LBB12_3622
; %bb.3621:                             ;   in Loop: Header=BB12_2997 Depth=2
	buffer_load_dword v4, off, s[0:3], s33 offset:128 ; 4-byte Folded Reload
	buffer_load_dword v5, off, s[0:3], s33 offset:132 ; 4-byte Folded Reload
	v_or_b32_e32 v3, 0x10000, v2
	s_waitcnt vmcnt(1)
	v_cmp_eq_u32_sdwa vcc, v2, v4 src0_sel:WORD_0 src1_sel:DWORD
	v_cndmask_b32_e32 v34, v3, v2, vcc
.LBB12_3622:                            ;   in Loop: Header=BB12_2997 Depth=2
	s_or_b64 exec, exec, s[40:41]
	v_lshlrev_b32_e32 v2, 16, v31
	v_mul_f32_e32 v2, v2, v1
	v_and_b32_e32 v3, 0x7f800000, v2
	v_cmp_ne_u32_e32 vcc, s97, v3
                                        ; implicit-def: $vgpr35
	s_and_saveexec_b64 s[40:41], vcc
	s_xor_b64 s[40:41], exec, s[40:41]
; %bb.3623:                             ;   in Loop: Header=BB12_2997 Depth=2
	v_bfe_u32 v3, v2, 16, 1
	v_add3_u32 v35, v2, v3, s46
                                        ; implicit-def: $vgpr2
; %bb.3624:                             ;   in Loop: Header=BB12_2997 Depth=2
	s_andn2_saveexec_b64 s[40:41], s[40:41]
	s_cbranch_execz .LBB12_3626
; %bb.3625:                             ;   in Loop: Header=BB12_2997 Depth=2
	buffer_load_dword v4, off, s[0:3], s33 offset:128 ; 4-byte Folded Reload
	buffer_load_dword v5, off, s[0:3], s33 offset:132 ; 4-byte Folded Reload
	v_or_b32_e32 v3, 0x10000, v2
	s_waitcnt vmcnt(1)
	v_cmp_eq_u32_sdwa vcc, v2, v4 src0_sel:WORD_0 src1_sel:DWORD
	v_cndmask_b32_e32 v35, v3, v2, vcc
.LBB12_3626:                            ;   in Loop: Header=BB12_2997 Depth=2
	s_or_b64 exec, exec, s[40:41]
	v_and_b32_e32 v2, 0xffff0000, v31
	v_mul_f32_e32 v2, v2, v1
	v_and_b32_e32 v3, 0x7f800000, v2
	v_cmp_ne_u32_e32 vcc, s97, v3
                                        ; implicit-def: $vgpr32
	s_and_saveexec_b64 s[40:41], vcc
	s_xor_b64 s[40:41], exec, s[40:41]
; %bb.3627:                             ;   in Loop: Header=BB12_2997 Depth=2
	v_bfe_u32 v3, v2, 16, 1
	v_add3_u32 v32, v2, v3, s46
                                        ; implicit-def: $vgpr2
; %bb.3628:                             ;   in Loop: Header=BB12_2997 Depth=2
	s_andn2_saveexec_b64 s[40:41], s[40:41]
	s_cbranch_execz .LBB12_3630
; %bb.3629:                             ;   in Loop: Header=BB12_2997 Depth=2
	buffer_load_dword v4, off, s[0:3], s33 offset:128 ; 4-byte Folded Reload
	buffer_load_dword v5, off, s[0:3], s33 offset:132 ; 4-byte Folded Reload
	v_or_b32_e32 v3, 0x10000, v2
	s_waitcnt vmcnt(1)
	v_cmp_eq_u32_sdwa vcc, v2, v4 src0_sel:WORD_0 src1_sel:DWORD
	v_cndmask_b32_e32 v32, v3, v2, vcc
.LBB12_3630:                            ;   in Loop: Header=BB12_2997 Depth=2
	s_or_b64 exec, exec, s[40:41]
	v_lshlrev_b32_e32 v2, 16, v44
	v_mul_f32_e32 v2, v2, v1
	v_and_b32_e32 v3, 0x7f800000, v2
	v_cmp_ne_u32_e32 vcc, s97, v3
                                        ; implicit-def: $vgpr33
	s_and_saveexec_b64 s[40:41], vcc
	s_xor_b64 s[40:41], exec, s[40:41]
; %bb.3631:                             ;   in Loop: Header=BB12_2997 Depth=2
	v_bfe_u32 v3, v2, 16, 1
	v_add3_u32 v33, v2, v3, s46
                                        ; implicit-def: $vgpr2
; %bb.3632:                             ;   in Loop: Header=BB12_2997 Depth=2
	s_andn2_saveexec_b64 s[40:41], s[40:41]
	s_cbranch_execz .LBB12_3634
; %bb.3633:                             ;   in Loop: Header=BB12_2997 Depth=2
	buffer_load_dword v4, off, s[0:3], s33 offset:128 ; 4-byte Folded Reload
	buffer_load_dword v5, off, s[0:3], s33 offset:132 ; 4-byte Folded Reload
	v_or_b32_e32 v3, 0x10000, v2
	s_waitcnt vmcnt(1)
	v_cmp_eq_u32_sdwa vcc, v2, v4 src0_sel:WORD_0 src1_sel:DWORD
	v_cndmask_b32_e32 v33, v3, v2, vcc
.LBB12_3634:                            ;   in Loop: Header=BB12_2997 Depth=2
	s_or_b64 exec, exec, s[40:41]
	v_and_b32_e32 v2, 0xffff0000, v44
	v_mul_f32_e32 v2, v2, v1
	v_and_b32_e32 v3, 0x7f800000, v2
	v_cmp_ne_u32_e32 vcc, s97, v3
                                        ; implicit-def: $vgpr30
	s_and_saveexec_b64 s[40:41], vcc
	s_xor_b64 s[40:41], exec, s[40:41]
; %bb.3635:                             ;   in Loop: Header=BB12_2997 Depth=2
	v_bfe_u32 v3, v2, 16, 1
	v_add3_u32 v30, v2, v3, s46
                                        ; implicit-def: $vgpr2
; %bb.3636:                             ;   in Loop: Header=BB12_2997 Depth=2
	s_andn2_saveexec_b64 s[40:41], s[40:41]
	s_cbranch_execz .LBB12_3638
; %bb.3637:                             ;   in Loop: Header=BB12_2997 Depth=2
	buffer_load_dword v4, off, s[0:3], s33 offset:128 ; 4-byte Folded Reload
	buffer_load_dword v5, off, s[0:3], s33 offset:132 ; 4-byte Folded Reload
	v_or_b32_e32 v3, 0x10000, v2
	s_waitcnt vmcnt(1)
	v_cmp_eq_u32_sdwa vcc, v2, v4 src0_sel:WORD_0 src1_sel:DWORD
	v_cndmask_b32_e32 v30, v3, v2, vcc
.LBB12_3638:                            ;   in Loop: Header=BB12_2997 Depth=2
	s_or_b64 exec, exec, s[40:41]
	v_lshlrev_b32_e32 v2, 16, v45
	v_mul_f32_e32 v2, v2, v1
	v_and_b32_e32 v3, 0x7f800000, v2
	v_cmp_ne_u32_e32 vcc, s97, v3
                                        ; implicit-def: $vgpr31
	s_and_saveexec_b64 s[40:41], vcc
	s_xor_b64 s[40:41], exec, s[40:41]
; %bb.3639:                             ;   in Loop: Header=BB12_2997 Depth=2
	v_bfe_u32 v3, v2, 16, 1
	v_add3_u32 v31, v2, v3, s46
                                        ; implicit-def: $vgpr2
; %bb.3640:                             ;   in Loop: Header=BB12_2997 Depth=2
	s_andn2_saveexec_b64 s[40:41], s[40:41]
	s_cbranch_execz .LBB12_3642
; %bb.3641:                             ;   in Loop: Header=BB12_2997 Depth=2
	buffer_load_dword v4, off, s[0:3], s33 offset:128 ; 4-byte Folded Reload
	buffer_load_dword v5, off, s[0:3], s33 offset:132 ; 4-byte Folded Reload
	v_or_b32_e32 v3, 0x10000, v2
	s_waitcnt vmcnt(1)
	v_cmp_eq_u32_sdwa vcc, v2, v4 src0_sel:WORD_0 src1_sel:DWORD
	v_cndmask_b32_e32 v31, v3, v2, vcc
.LBB12_3642:                            ;   in Loop: Header=BB12_2997 Depth=2
	s_or_b64 exec, exec, s[40:41]
	v_and_b32_e32 v2, 0xffff0000, v45
	v_mul_f32_e32 v2, v2, v1
	v_and_b32_e32 v3, 0x7f800000, v2
	v_cmp_ne_u32_e32 vcc, s97, v3
                                        ; implicit-def: $vgpr28
	s_and_saveexec_b64 s[40:41], vcc
	s_xor_b64 s[40:41], exec, s[40:41]
; %bb.3643:                             ;   in Loop: Header=BB12_2997 Depth=2
	v_bfe_u32 v3, v2, 16, 1
	v_add3_u32 v28, v2, v3, s46
                                        ; implicit-def: $vgpr2
; %bb.3644:                             ;   in Loop: Header=BB12_2997 Depth=2
	s_andn2_saveexec_b64 s[40:41], s[40:41]
	s_cbranch_execz .LBB12_3646
; %bb.3645:                             ;   in Loop: Header=BB12_2997 Depth=2
	buffer_load_dword v4, off, s[0:3], s33 offset:128 ; 4-byte Folded Reload
	buffer_load_dword v5, off, s[0:3], s33 offset:132 ; 4-byte Folded Reload
	v_or_b32_e32 v3, 0x10000, v2
	s_waitcnt vmcnt(1)
	v_cmp_eq_u32_sdwa vcc, v2, v4 src0_sel:WORD_0 src1_sel:DWORD
	v_cndmask_b32_e32 v28, v3, v2, vcc
.LBB12_3646:                            ;   in Loop: Header=BB12_2997 Depth=2
	s_or_b64 exec, exec, s[40:41]
	v_lshlrev_b32_e32 v2, 16, v46
	v_mul_f32_e32 v2, v2, v1
	v_and_b32_e32 v3, 0x7f800000, v2
	v_cmp_ne_u32_e32 vcc, s97, v3
                                        ; implicit-def: $vgpr29
	s_and_saveexec_b64 s[40:41], vcc
	s_xor_b64 s[40:41], exec, s[40:41]
; %bb.3647:                             ;   in Loop: Header=BB12_2997 Depth=2
	v_bfe_u32 v3, v2, 16, 1
	v_add3_u32 v29, v2, v3, s46
                                        ; implicit-def: $vgpr2
; %bb.3648:                             ;   in Loop: Header=BB12_2997 Depth=2
	s_andn2_saveexec_b64 s[40:41], s[40:41]
	s_cbranch_execz .LBB12_3650
; %bb.3649:                             ;   in Loop: Header=BB12_2997 Depth=2
	buffer_load_dword v4, off, s[0:3], s33 offset:128 ; 4-byte Folded Reload
	buffer_load_dword v5, off, s[0:3], s33 offset:132 ; 4-byte Folded Reload
	v_or_b32_e32 v3, 0x10000, v2
	s_waitcnt vmcnt(1)
	v_cmp_eq_u32_sdwa vcc, v2, v4 src0_sel:WORD_0 src1_sel:DWORD
	v_cndmask_b32_e32 v29, v3, v2, vcc
.LBB12_3650:                            ;   in Loop: Header=BB12_2997 Depth=2
	s_or_b64 exec, exec, s[40:41]
	v_and_b32_e32 v2, 0xffff0000, v46
	v_mul_f32_e32 v2, v2, v1
	v_and_b32_e32 v3, 0x7f800000, v2
	v_cmp_ne_u32_e32 vcc, s97, v3
                                        ; implicit-def: $vgpr22
	s_and_saveexec_b64 s[40:41], vcc
	s_xor_b64 s[40:41], exec, s[40:41]
; %bb.3651:                             ;   in Loop: Header=BB12_2997 Depth=2
	v_bfe_u32 v3, v2, 16, 1
	v_add3_u32 v22, v2, v3, s46
                                        ; implicit-def: $vgpr2
; %bb.3652:                             ;   in Loop: Header=BB12_2997 Depth=2
	s_andn2_saveexec_b64 s[40:41], s[40:41]
	s_cbranch_execz .LBB12_3654
; %bb.3653:                             ;   in Loop: Header=BB12_2997 Depth=2
	buffer_load_dword v4, off, s[0:3], s33 offset:128 ; 4-byte Folded Reload
	buffer_load_dword v5, off, s[0:3], s33 offset:132 ; 4-byte Folded Reload
	v_or_b32_e32 v3, 0x10000, v2
	s_waitcnt vmcnt(1)
	v_cmp_eq_u32_sdwa vcc, v2, v4 src0_sel:WORD_0 src1_sel:DWORD
	v_cndmask_b32_e32 v22, v3, v2, vcc
.LBB12_3654:                            ;   in Loop: Header=BB12_2997 Depth=2
	s_or_b64 exec, exec, s[40:41]
	v_lshlrev_b32_e32 v2, 16, v47
	v_mul_f32_e32 v2, v2, v1
	v_and_b32_e32 v3, 0x7f800000, v2
	v_cmp_ne_u32_e32 vcc, s97, v3
                                        ; implicit-def: $vgpr23
	s_and_saveexec_b64 s[40:41], vcc
	s_xor_b64 s[40:41], exec, s[40:41]
; %bb.3655:                             ;   in Loop: Header=BB12_2997 Depth=2
	v_bfe_u32 v3, v2, 16, 1
	v_add3_u32 v23, v2, v3, s46
                                        ; implicit-def: $vgpr2
; %bb.3656:                             ;   in Loop: Header=BB12_2997 Depth=2
	s_andn2_saveexec_b64 s[40:41], s[40:41]
	s_cbranch_execz .LBB12_3658
; %bb.3657:                             ;   in Loop: Header=BB12_2997 Depth=2
	buffer_load_dword v4, off, s[0:3], s33 offset:128 ; 4-byte Folded Reload
	buffer_load_dword v5, off, s[0:3], s33 offset:132 ; 4-byte Folded Reload
	v_or_b32_e32 v3, 0x10000, v2
	s_waitcnt vmcnt(1)
	v_cmp_eq_u32_sdwa vcc, v2, v4 src0_sel:WORD_0 src1_sel:DWORD
	v_cndmask_b32_e32 v23, v3, v2, vcc
.LBB12_3658:                            ;   in Loop: Header=BB12_2997 Depth=2
	s_or_b64 exec, exec, s[40:41]
	v_and_b32_e32 v2, 0xffff0000, v47
	v_mul_f32_e32 v2, v2, v1
	v_and_b32_e32 v3, 0x7f800000, v2
	v_cmp_ne_u32_e32 vcc, s97, v3
                                        ; implicit-def: $vgpr20
	s_and_saveexec_b64 s[40:41], vcc
	s_xor_b64 s[40:41], exec, s[40:41]
; %bb.3659:                             ;   in Loop: Header=BB12_2997 Depth=2
	v_bfe_u32 v3, v2, 16, 1
	v_add3_u32 v20, v2, v3, s46
                                        ; implicit-def: $vgpr2
; %bb.3660:                             ;   in Loop: Header=BB12_2997 Depth=2
	s_andn2_saveexec_b64 s[40:41], s[40:41]
	s_cbranch_execz .LBB12_3662
; %bb.3661:                             ;   in Loop: Header=BB12_2997 Depth=2
	buffer_load_dword v4, off, s[0:3], s33 offset:128 ; 4-byte Folded Reload
	buffer_load_dword v5, off, s[0:3], s33 offset:132 ; 4-byte Folded Reload
	v_or_b32_e32 v3, 0x10000, v2
	s_waitcnt vmcnt(1)
	v_cmp_eq_u32_sdwa vcc, v2, v4 src0_sel:WORD_0 src1_sel:DWORD
	v_cndmask_b32_e32 v20, v3, v2, vcc
.LBB12_3662:                            ;   in Loop: Header=BB12_2997 Depth=2
	s_or_b64 exec, exec, s[40:41]
	v_lshlrev_b32_e32 v2, 16, v48
	v_mul_f32_e32 v2, v2, v1
	v_and_b32_e32 v3, 0x7f800000, v2
	v_cmp_ne_u32_e32 vcc, s97, v3
                                        ; implicit-def: $vgpr21
	s_and_saveexec_b64 s[40:41], vcc
	s_xor_b64 s[40:41], exec, s[40:41]
; %bb.3663:                             ;   in Loop: Header=BB12_2997 Depth=2
	v_bfe_u32 v3, v2, 16, 1
	v_add3_u32 v21, v2, v3, s46
                                        ; implicit-def: $vgpr2
; %bb.3664:                             ;   in Loop: Header=BB12_2997 Depth=2
	s_andn2_saveexec_b64 s[40:41], s[40:41]
	s_cbranch_execz .LBB12_3666
; %bb.3665:                             ;   in Loop: Header=BB12_2997 Depth=2
	buffer_load_dword v4, off, s[0:3], s33 offset:128 ; 4-byte Folded Reload
	buffer_load_dword v5, off, s[0:3], s33 offset:132 ; 4-byte Folded Reload
	v_or_b32_e32 v3, 0x10000, v2
	s_waitcnt vmcnt(1)
	v_cmp_eq_u32_sdwa vcc, v2, v4 src0_sel:WORD_0 src1_sel:DWORD
	v_cndmask_b32_e32 v21, v3, v2, vcc
.LBB12_3666:                            ;   in Loop: Header=BB12_2997 Depth=2
	s_or_b64 exec, exec, s[40:41]
	v_and_b32_e32 v2, 0xffff0000, v48
	v_mul_f32_e32 v2, v2, v1
	v_and_b32_e32 v3, 0x7f800000, v2
	v_cmp_ne_u32_e32 vcc, s97, v3
                                        ; implicit-def: $vgpr18
	s_and_saveexec_b64 s[40:41], vcc
	s_xor_b64 s[40:41], exec, s[40:41]
; %bb.3667:                             ;   in Loop: Header=BB12_2997 Depth=2
	v_bfe_u32 v3, v2, 16, 1
	v_add3_u32 v18, v2, v3, s46
                                        ; implicit-def: $vgpr2
; %bb.3668:                             ;   in Loop: Header=BB12_2997 Depth=2
	s_andn2_saveexec_b64 s[40:41], s[40:41]
	s_cbranch_execz .LBB12_3670
; %bb.3669:                             ;   in Loop: Header=BB12_2997 Depth=2
	buffer_load_dword v4, off, s[0:3], s33 offset:128 ; 4-byte Folded Reload
	buffer_load_dword v5, off, s[0:3], s33 offset:132 ; 4-byte Folded Reload
	v_or_b32_e32 v3, 0x10000, v2
	s_waitcnt vmcnt(1)
	v_cmp_eq_u32_sdwa vcc, v2, v4 src0_sel:WORD_0 src1_sel:DWORD
	v_cndmask_b32_e32 v18, v3, v2, vcc
.LBB12_3670:                            ;   in Loop: Header=BB12_2997 Depth=2
	s_or_b64 exec, exec, s[40:41]
	v_lshlrev_b32_e32 v2, 16, v49
	v_mul_f32_e32 v2, v2, v1
	v_and_b32_e32 v3, 0x7f800000, v2
	v_cmp_ne_u32_e32 vcc, s97, v3
                                        ; implicit-def: $vgpr19
	s_and_saveexec_b64 s[40:41], vcc
	s_xor_b64 s[40:41], exec, s[40:41]
; %bb.3671:                             ;   in Loop: Header=BB12_2997 Depth=2
	v_bfe_u32 v3, v2, 16, 1
	v_add3_u32 v19, v2, v3, s46
                                        ; implicit-def: $vgpr2
; %bb.3672:                             ;   in Loop: Header=BB12_2997 Depth=2
	s_andn2_saveexec_b64 s[40:41], s[40:41]
	s_cbranch_execz .LBB12_3674
; %bb.3673:                             ;   in Loop: Header=BB12_2997 Depth=2
	buffer_load_dword v4, off, s[0:3], s33 offset:128 ; 4-byte Folded Reload
	buffer_load_dword v5, off, s[0:3], s33 offset:132 ; 4-byte Folded Reload
	v_or_b32_e32 v3, 0x10000, v2
	s_waitcnt vmcnt(1)
	v_cmp_eq_u32_sdwa vcc, v2, v4 src0_sel:WORD_0 src1_sel:DWORD
	v_cndmask_b32_e32 v19, v3, v2, vcc
.LBB12_3674:                            ;   in Loop: Header=BB12_2997 Depth=2
	s_or_b64 exec, exec, s[40:41]
	v_and_b32_e32 v2, 0xffff0000, v49
	v_mul_f32_e32 v2, v2, v1
	v_and_b32_e32 v3, 0x7f800000, v2
	v_cmp_ne_u32_e32 vcc, s97, v3
                                        ; implicit-def: $vgpr12
	s_and_saveexec_b64 s[40:41], vcc
	s_xor_b64 s[40:41], exec, s[40:41]
; %bb.3675:                             ;   in Loop: Header=BB12_2997 Depth=2
	v_bfe_u32 v3, v2, 16, 1
	v_add3_u32 v12, v2, v3, s46
                                        ; implicit-def: $vgpr2
; %bb.3676:                             ;   in Loop: Header=BB12_2997 Depth=2
	s_andn2_saveexec_b64 s[40:41], s[40:41]
	s_cbranch_execz .LBB12_3678
; %bb.3677:                             ;   in Loop: Header=BB12_2997 Depth=2
	buffer_load_dword v4, off, s[0:3], s33 offset:128 ; 4-byte Folded Reload
	buffer_load_dword v5, off, s[0:3], s33 offset:132 ; 4-byte Folded Reload
	v_or_b32_e32 v3, 0x10000, v2
	s_waitcnt vmcnt(1)
	v_cmp_eq_u32_sdwa vcc, v2, v4 src0_sel:WORD_0 src1_sel:DWORD
	v_cndmask_b32_e32 v12, v3, v2, vcc
.LBB12_3678:                            ;   in Loop: Header=BB12_2997 Depth=2
	s_or_b64 exec, exec, s[40:41]
	v_lshlrev_b32_e32 v2, 16, v50
	v_mul_f32_e32 v2, v2, v1
	v_and_b32_e32 v3, 0x7f800000, v2
	v_cmp_ne_u32_e32 vcc, s97, v3
                                        ; implicit-def: $vgpr13
	s_and_saveexec_b64 s[40:41], vcc
	s_xor_b64 s[40:41], exec, s[40:41]
; %bb.3679:                             ;   in Loop: Header=BB12_2997 Depth=2
	v_bfe_u32 v3, v2, 16, 1
	v_add3_u32 v13, v2, v3, s46
                                        ; implicit-def: $vgpr2
; %bb.3680:                             ;   in Loop: Header=BB12_2997 Depth=2
	s_andn2_saveexec_b64 s[40:41], s[40:41]
	s_cbranch_execz .LBB12_3682
; %bb.3681:                             ;   in Loop: Header=BB12_2997 Depth=2
	buffer_load_dword v4, off, s[0:3], s33 offset:128 ; 4-byte Folded Reload
	buffer_load_dword v5, off, s[0:3], s33 offset:132 ; 4-byte Folded Reload
	v_or_b32_e32 v3, 0x10000, v2
	s_waitcnt vmcnt(1)
	v_cmp_eq_u32_sdwa vcc, v2, v4 src0_sel:WORD_0 src1_sel:DWORD
	v_cndmask_b32_e32 v13, v3, v2, vcc
.LBB12_3682:                            ;   in Loop: Header=BB12_2997 Depth=2
	s_or_b64 exec, exec, s[40:41]
	v_and_b32_e32 v2, 0xffff0000, v50
	v_mul_f32_e32 v2, v2, v1
	v_and_b32_e32 v3, 0x7f800000, v2
	v_cmp_ne_u32_e32 vcc, s97, v3
                                        ; implicit-def: $vgpr10
	s_and_saveexec_b64 s[40:41], vcc
	s_xor_b64 s[40:41], exec, s[40:41]
; %bb.3683:                             ;   in Loop: Header=BB12_2997 Depth=2
	v_bfe_u32 v3, v2, 16, 1
	v_add3_u32 v10, v2, v3, s46
                                        ; implicit-def: $vgpr2
; %bb.3684:                             ;   in Loop: Header=BB12_2997 Depth=2
	s_andn2_saveexec_b64 s[40:41], s[40:41]
	s_cbranch_execz .LBB12_3686
; %bb.3685:                             ;   in Loop: Header=BB12_2997 Depth=2
	buffer_load_dword v4, off, s[0:3], s33 offset:128 ; 4-byte Folded Reload
	buffer_load_dword v5, off, s[0:3], s33 offset:132 ; 4-byte Folded Reload
	v_or_b32_e32 v3, 0x10000, v2
	s_waitcnt vmcnt(1)
	v_cmp_eq_u32_sdwa vcc, v2, v4 src0_sel:WORD_0 src1_sel:DWORD
	v_cndmask_b32_e32 v10, v3, v2, vcc
.LBB12_3686:                            ;   in Loop: Header=BB12_2997 Depth=2
	s_or_b64 exec, exec, s[40:41]
	v_lshlrev_b32_e32 v2, 16, v51
	v_mul_f32_e32 v2, v2, v1
	v_and_b32_e32 v3, 0x7f800000, v2
	v_cmp_ne_u32_e32 vcc, s97, v3
                                        ; implicit-def: $vgpr11
	s_and_saveexec_b64 s[40:41], vcc
	s_xor_b64 s[40:41], exec, s[40:41]
; %bb.3687:                             ;   in Loop: Header=BB12_2997 Depth=2
	v_bfe_u32 v3, v2, 16, 1
	v_add3_u32 v11, v2, v3, s46
                                        ; implicit-def: $vgpr2
; %bb.3688:                             ;   in Loop: Header=BB12_2997 Depth=2
	s_andn2_saveexec_b64 s[40:41], s[40:41]
	s_cbranch_execz .LBB12_3690
; %bb.3689:                             ;   in Loop: Header=BB12_2997 Depth=2
	buffer_load_dword v4, off, s[0:3], s33 offset:128 ; 4-byte Folded Reload
	buffer_load_dword v5, off, s[0:3], s33 offset:132 ; 4-byte Folded Reload
	v_or_b32_e32 v3, 0x10000, v2
	s_waitcnt vmcnt(1)
	v_cmp_eq_u32_sdwa vcc, v2, v4 src0_sel:WORD_0 src1_sel:DWORD
	v_cndmask_b32_e32 v11, v3, v2, vcc
.LBB12_3690:                            ;   in Loop: Header=BB12_2997 Depth=2
	s_or_b64 exec, exec, s[40:41]
	v_and_b32_e32 v2, 0xffff0000, v51
	v_mul_f32_e32 v2, v2, v1
	v_and_b32_e32 v3, 0x7f800000, v2
	v_cmp_ne_u32_e32 vcc, s97, v3
                                        ; implicit-def: $vgpr8
	s_and_saveexec_b64 s[40:41], vcc
	s_xor_b64 s[40:41], exec, s[40:41]
; %bb.3691:                             ;   in Loop: Header=BB12_2997 Depth=2
	v_bfe_u32 v3, v2, 16, 1
	v_add3_u32 v8, v2, v3, s46
                                        ; implicit-def: $vgpr2
; %bb.3692:                             ;   in Loop: Header=BB12_2997 Depth=2
	s_andn2_saveexec_b64 s[40:41], s[40:41]
	s_cbranch_execz .LBB12_3694
; %bb.3693:                             ;   in Loop: Header=BB12_2997 Depth=2
	buffer_load_dword v4, off, s[0:3], s33 offset:128 ; 4-byte Folded Reload
	buffer_load_dword v5, off, s[0:3], s33 offset:132 ; 4-byte Folded Reload
	v_or_b32_e32 v3, 0x10000, v2
	s_waitcnt vmcnt(1)
	v_cmp_eq_u32_sdwa vcc, v2, v4 src0_sel:WORD_0 src1_sel:DWORD
	v_cndmask_b32_e32 v8, v3, v2, vcc
.LBB12_3694:                            ;   in Loop: Header=BB12_2997 Depth=2
	s_or_b64 exec, exec, s[40:41]
	buffer_load_dword v2, off, s[0:3], s33 offset:184 ; 4-byte Folded Reload
	buffer_load_dword v3, off, s[0:3], s33 offset:188 ; 4-byte Folded Reload
	buffer_load_dword v4, off, s[0:3], s33 offset:192 ; 4-byte Folded Reload
	buffer_load_dword v5, off, s[0:3], s33 offset:196 ; 4-byte Folded Reload
                                        ; implicit-def: $vgpr9
	s_waitcnt vmcnt(3)
	v_lshlrev_b32_e32 v2, 16, v2
	v_mul_f32_e32 v2, v2, v1
	s_waitcnt vmcnt(2)
	v_and_b32_e32 v3, 0x7f800000, v2
	v_cmp_ne_u32_e32 vcc, s97, v3
	s_and_saveexec_b64 s[40:41], vcc
	s_xor_b64 s[40:41], exec, s[40:41]
; %bb.3695:                             ;   in Loop: Header=BB12_2997 Depth=2
	v_bfe_u32 v3, v2, 16, 1
	v_add3_u32 v9, v2, v3, s46
                                        ; implicit-def: $vgpr2
; %bb.3696:                             ;   in Loop: Header=BB12_2997 Depth=2
	s_andn2_saveexec_b64 s[40:41], s[40:41]
	s_cbranch_execz .LBB12_3698
; %bb.3697:                             ;   in Loop: Header=BB12_2997 Depth=2
	buffer_load_dword v4, off, s[0:3], s33 offset:128 ; 4-byte Folded Reload
	buffer_load_dword v5, off, s[0:3], s33 offset:132 ; 4-byte Folded Reload
	v_or_b32_e32 v3, 0x10000, v2
	s_waitcnt vmcnt(1)
	v_cmp_eq_u32_sdwa vcc, v2, v4 src0_sel:WORD_0 src1_sel:DWORD
	v_cndmask_b32_e32 v9, v3, v2, vcc
.LBB12_3698:                            ;   in Loop: Header=BB12_2997 Depth=2
	s_or_b64 exec, exec, s[40:41]
	buffer_load_dword v2, off, s[0:3], s33 offset:184 ; 4-byte Folded Reload
	buffer_load_dword v3, off, s[0:3], s33 offset:188 ; 4-byte Folded Reload
	;; [unrolled: 1-line block ×4, first 2 shown]
                                        ; implicit-def: $vgpr6
	s_waitcnt vmcnt(3)
	v_and_b32_e32 v2, 0xffff0000, v2
	v_mul_f32_e32 v2, v2, v1
	s_waitcnt vmcnt(2)
	v_and_b32_e32 v3, 0x7f800000, v2
	v_cmp_ne_u32_e32 vcc, s97, v3
	s_and_saveexec_b64 s[40:41], vcc
	s_xor_b64 s[40:41], exec, s[40:41]
; %bb.3699:                             ;   in Loop: Header=BB12_2997 Depth=2
	v_bfe_u32 v3, v2, 16, 1
	v_add3_u32 v6, v2, v3, s46
                                        ; implicit-def: $vgpr2
; %bb.3700:                             ;   in Loop: Header=BB12_2997 Depth=2
	s_andn2_saveexec_b64 s[40:41], s[40:41]
	s_cbranch_execz .LBB12_3702
; %bb.3701:                             ;   in Loop: Header=BB12_2997 Depth=2
	buffer_load_dword v4, off, s[0:3], s33 offset:128 ; 4-byte Folded Reload
	buffer_load_dword v5, off, s[0:3], s33 offset:132 ; 4-byte Folded Reload
	v_or_b32_e32 v3, 0x10000, v2
	s_waitcnt vmcnt(1)
	v_cmp_eq_u32_sdwa vcc, v2, v4 src0_sel:WORD_0 src1_sel:DWORD
	v_cndmask_b32_e32 v6, v3, v2, vcc
.LBB12_3702:                            ;   in Loop: Header=BB12_2997 Depth=2
	s_or_b64 exec, exec, s[40:41]
	buffer_load_dword v2, off, s[0:3], s33 offset:184 ; 4-byte Folded Reload
	buffer_load_dword v3, off, s[0:3], s33 offset:188 ; 4-byte Folded Reload
	;; [unrolled: 1-line block ×4, first 2 shown]
                                        ; implicit-def: $vgpr7
	s_waitcnt vmcnt(2)
	v_lshlrev_b32_e32 v2, 16, v3
	v_mul_f32_e32 v2, v2, v1
	v_and_b32_e32 v3, 0x7f800000, v2
	v_cmp_ne_u32_e32 vcc, s97, v3
	s_and_saveexec_b64 s[40:41], vcc
	s_xor_b64 s[40:41], exec, s[40:41]
; %bb.3703:                             ;   in Loop: Header=BB12_2997 Depth=2
	v_bfe_u32 v3, v2, 16, 1
	v_add3_u32 v7, v2, v3, s46
                                        ; implicit-def: $vgpr2
; %bb.3704:                             ;   in Loop: Header=BB12_2997 Depth=2
	s_andn2_saveexec_b64 s[40:41], s[40:41]
	s_cbranch_execz .LBB12_3706
; %bb.3705:                             ;   in Loop: Header=BB12_2997 Depth=2
	buffer_load_dword v4, off, s[0:3], s33 offset:128 ; 4-byte Folded Reload
	buffer_load_dword v5, off, s[0:3], s33 offset:132 ; 4-byte Folded Reload
	v_or_b32_e32 v3, 0x10000, v2
	s_waitcnt vmcnt(1)
	v_cmp_eq_u32_sdwa vcc, v2, v4 src0_sel:WORD_0 src1_sel:DWORD
	v_cndmask_b32_e32 v7, v3, v2, vcc
.LBB12_3706:                            ;   in Loop: Header=BB12_2997 Depth=2
	s_or_b64 exec, exec, s[40:41]
	buffer_load_dword v2, off, s[0:3], s33 offset:184 ; 4-byte Folded Reload
	buffer_load_dword v3, off, s[0:3], s33 offset:188 ; 4-byte Folded Reload
	;; [unrolled: 1-line block ×4, first 2 shown]
                                        ; implicit-def: $vgpr4
	s_waitcnt vmcnt(2)
	v_and_b32_e32 v2, 0xffff0000, v3
	v_mul_f32_e32 v2, v2, v1
	v_and_b32_e32 v3, 0x7f800000, v2
	v_cmp_ne_u32_e32 vcc, s97, v3
	s_and_saveexec_b64 s[40:41], vcc
	s_xor_b64 s[40:41], exec, s[40:41]
	s_cbranch_execz .LBB12_3708
; %bb.3707:                             ;   in Loop: Header=BB12_2997 Depth=2
	v_bfe_u32 v3, v2, 16, 1
	s_waitcnt vmcnt(1)
	v_add3_u32 v4, v2, v3, s46
                                        ; implicit-def: $vgpr2
.LBB12_3708:                            ;   in Loop: Header=BB12_2997 Depth=2
	s_andn2_saveexec_b64 s[40:41], s[40:41]
	s_cbranch_execz .LBB12_3710
; %bb.3709:                             ;   in Loop: Header=BB12_2997 Depth=2
	buffer_load_dword v4, off, s[0:3], s33 offset:128 ; 4-byte Folded Reload
	buffer_load_dword v5, off, s[0:3], s33 offset:132 ; 4-byte Folded Reload
	v_or_b32_e32 v3, 0x10000, v2
	s_waitcnt vmcnt(1)
	v_cmp_eq_u32_sdwa vcc, v2, v4 src0_sel:WORD_0 src1_sel:DWORD
	v_cndmask_b32_e32 v4, v3, v2, vcc
.LBB12_3710:                            ;   in Loop: Header=BB12_2997 Depth=2
	s_or_b64 exec, exec, s[40:41]
	buffer_load_dword v24, off, s[0:3], s33 offset:184 ; 4-byte Folded Reload
	buffer_load_dword v25, off, s[0:3], s33 offset:188 ; 4-byte Folded Reload
	;; [unrolled: 1-line block ×4, first 2 shown]
                                        ; implicit-def: $vgpr5
	s_waitcnt vmcnt(1)
	v_lshlrev_b32_e32 v2, 16, v26
	v_mul_f32_e32 v2, v2, v1
	v_and_b32_e32 v3, 0x7f800000, v2
	v_cmp_ne_u32_e32 vcc, s97, v3
	s_and_saveexec_b64 s[40:41], vcc
	s_xor_b64 s[40:41], exec, s[40:41]
; %bb.3711:                             ;   in Loop: Header=BB12_2997 Depth=2
	v_bfe_u32 v3, v2, 16, 1
	v_add3_u32 v5, v2, v3, s46
                                        ; implicit-def: $vgpr2
; %bb.3712:                             ;   in Loop: Header=BB12_2997 Depth=2
	s_andn2_saveexec_b64 s[40:41], s[40:41]
	s_cbranch_execz .LBB12_3714
; %bb.3713:                             ;   in Loop: Header=BB12_2997 Depth=2
	buffer_load_dword v24, off, s[0:3], s33 offset:128 ; 4-byte Folded Reload
	buffer_load_dword v25, off, s[0:3], s33 offset:132 ; 4-byte Folded Reload
	v_or_b32_e32 v3, 0x10000, v2
	s_waitcnt vmcnt(1)
	v_cmp_eq_u32_sdwa vcc, v2, v24 src0_sel:WORD_0 src1_sel:DWORD
	v_cndmask_b32_e32 v5, v3, v2, vcc
.LBB12_3714:                            ;   in Loop: Header=BB12_2997 Depth=2
	s_or_b64 exec, exec, s[40:41]
	buffer_load_dword v24, off, s[0:3], s33 offset:184 ; 4-byte Folded Reload
	buffer_load_dword v25, off, s[0:3], s33 offset:188 ; 4-byte Folded Reload
	;; [unrolled: 1-line block ×4, first 2 shown]
	s_waitcnt vmcnt(1)
	v_and_b32_e32 v2, 0xffff0000, v26
	v_mul_f32_e32 v3, v2, v1
	v_and_b32_e32 v2, 0x7f800000, v3
	v_cmp_ne_u32_e32 vcc, s97, v2
                                        ; implicit-def: $vgpr2
	s_and_saveexec_b64 s[40:41], vcc
	s_xor_b64 s[40:41], exec, s[40:41]
; %bb.3715:                             ;   in Loop: Header=BB12_2997 Depth=2
	v_bfe_u32 v2, v3, 16, 1
	v_add3_u32 v2, v3, v2, s46
                                        ; implicit-def: $vgpr3
; %bb.3716:                             ;   in Loop: Header=BB12_2997 Depth=2
	s_andn2_saveexec_b64 s[40:41], s[40:41]
	s_cbranch_execz .LBB12_3718
; %bb.3717:                             ;   in Loop: Header=BB12_2997 Depth=2
	buffer_load_dword v24, off, s[0:3], s33 offset:128 ; 4-byte Folded Reload
	buffer_load_dword v25, off, s[0:3], s33 offset:132 ; 4-byte Folded Reload
	v_or_b32_e32 v2, 0x10000, v3
	s_waitcnt vmcnt(1)
	v_cmp_eq_u32_sdwa vcc, v3, v24 src0_sel:WORD_0 src1_sel:DWORD
	v_cndmask_b32_e32 v2, v2, v3, vcc
.LBB12_3718:                            ;   in Loop: Header=BB12_2997 Depth=2
	s_or_b64 exec, exec, s[40:41]
	buffer_load_dword v24, off, s[0:3], s33 offset:184 ; 4-byte Folded Reload
	buffer_load_dword v25, off, s[0:3], s33 offset:188 ; 4-byte Folded Reload
	;; [unrolled: 1-line block ×4, first 2 shown]
	s_waitcnt vmcnt(0)
	v_lshlrev_b32_e32 v3, 16, v27
	v_mul_f32_e32 v24, v3, v1
	v_and_b32_e32 v3, 0x7f800000, v24
	v_cmp_ne_u32_e32 vcc, s97, v3
                                        ; implicit-def: $vgpr3
	s_and_saveexec_b64 s[40:41], vcc
	s_xor_b64 s[40:41], exec, s[40:41]
; %bb.3719:                             ;   in Loop: Header=BB12_2997 Depth=2
	v_bfe_u32 v3, v24, 16, 1
	v_add3_u32 v3, v24, v3, s46
                                        ; implicit-def: $vgpr24
; %bb.3720:                             ;   in Loop: Header=BB12_2997 Depth=2
	s_andn2_saveexec_b64 s[40:41], s[40:41]
	s_cbranch_execz .LBB12_3722
; %bb.3721:                             ;   in Loop: Header=BB12_2997 Depth=2
	buffer_load_dword v25, off, s[0:3], s33 offset:128 ; 4-byte Folded Reload
	buffer_load_dword v26, off, s[0:3], s33 offset:132 ; 4-byte Folded Reload
	v_or_b32_e32 v3, 0x10000, v24
	s_waitcnt vmcnt(1)
	v_cmp_eq_u32_sdwa vcc, v24, v25 src0_sel:WORD_0 src1_sel:DWORD
	v_cndmask_b32_e32 v3, v3, v24, vcc
.LBB12_3722:                            ;   in Loop: Header=BB12_2997 Depth=2
	s_or_b64 exec, exec, s[40:41]
	buffer_load_dword v24, off, s[0:3], s33 offset:184 ; 4-byte Folded Reload
	buffer_load_dword v25, off, s[0:3], s33 offset:188 ; 4-byte Folded Reload
	;; [unrolled: 1-line block ×4, first 2 shown]
	s_waitcnt vmcnt(0)
	v_and_b32_e32 v24, 0xffff0000, v27
	v_mul_f32_e32 v24, v24, v1
	v_and_b32_e32 v1, 0x7f800000, v24
	v_cmp_ne_u32_e32 vcc, s97, v1
                                        ; implicit-def: $vgpr1
	s_and_saveexec_b64 s[40:41], vcc
	s_xor_b64 s[40:41], exec, s[40:41]
; %bb.3723:                             ;   in Loop: Header=BB12_2997 Depth=2
	v_bfe_u32 v1, v24, 16, 1
	v_add3_u32 v1, v24, v1, s46
                                        ; implicit-def: $vgpr24
; %bb.3724:                             ;   in Loop: Header=BB12_2997 Depth=2
	s_andn2_saveexec_b64 s[40:41], s[40:41]
	s_cbranch_execz .LBB12_3726
; %bb.3725:                             ;   in Loop: Header=BB12_2997 Depth=2
	buffer_load_dword v25, off, s[0:3], s33 offset:128 ; 4-byte Folded Reload
	buffer_load_dword v26, off, s[0:3], s33 offset:132 ; 4-byte Folded Reload
	v_or_b32_e32 v1, 0x10000, v24
	s_waitcnt vmcnt(1)
	v_cmp_eq_u32_sdwa vcc, v24, v25 src0_sel:WORD_0 src1_sel:DWORD
	v_cndmask_b32_e32 v1, v1, v24, vcc
.LBB12_3726:                            ;   in Loop: Header=BB12_2997 Depth=2
	s_or_b64 exec, exec, s[40:41]
	buffer_load_dword v24, off, s[0:3], s33 offset:284 ; 4-byte Folded Reload
	buffer_load_dword v25, off, s[0:3], s33 offset:288 ; 4-byte Folded Reload
	;; [unrolled: 1-line block ×4, first 2 shown]
	v_and_b32_e32 v0, 0xffff0000, v0
	s_waitcnt vmcnt(3)
	v_lshlrev_b32_e32 v24, 16, v24
	v_add_f32_e32 v24, v24, v0
	v_and_b32_e32 v0, 0x7f800000, v24
	v_cmp_ne_u32_e32 vcc, s97, v0
                                        ; implicit-def: $vgpr0
	s_and_saveexec_b64 s[40:41], vcc
	s_xor_b64 s[40:41], exec, s[40:41]
; %bb.3727:                             ;   in Loop: Header=BB12_2997 Depth=2
	v_bfe_u32 v0, v24, 16, 1
	v_add3_u32 v0, v24, v0, s46
                                        ; implicit-def: $vgpr24
; %bb.3728:                             ;   in Loop: Header=BB12_2997 Depth=2
	s_andn2_saveexec_b64 s[40:41], s[40:41]
	s_cbranch_execz .LBB12_3730
; %bb.3729:                             ;   in Loop: Header=BB12_2997 Depth=2
	buffer_load_dword v25, off, s[0:3], s33 offset:128 ; 4-byte Folded Reload
	buffer_load_dword v26, off, s[0:3], s33 offset:132 ; 4-byte Folded Reload
	v_or_b32_e32 v0, 0x10000, v24
	s_waitcnt vmcnt(1)
	v_cmp_eq_u32_sdwa vcc, v24, v25 src0_sel:WORD_0 src1_sel:DWORD
	v_cndmask_b32_e32 v0, v0, v24, vcc
.LBB12_3730:                            ;   in Loop: Header=BB12_2997 Depth=2
	s_or_b64 exec, exec, s[40:41]
	buffer_load_dword v24, off, s[0:3], s33 offset:284 ; 4-byte Folded Reload
	buffer_load_dword v25, off, s[0:3], s33 offset:288 ; 4-byte Folded Reload
	;; [unrolled: 1-line block ×4, first 2 shown]
	s_waitcnt vmcnt(2)
	v_and_b32_e32 v25, 0xffff0000, v38
	v_and_b32_e32 v24, 0xffff0000, v24
	v_add_f32_e32 v25, v24, v25
	v_and_b32_e32 v24, 0x7f800000, v25
	v_cmp_ne_u32_e32 vcc, s97, v24
                                        ; implicit-def: $vgpr24
	s_and_saveexec_b64 s[40:41], vcc
	s_xor_b64 s[40:41], exec, s[40:41]
; %bb.3731:                             ;   in Loop: Header=BB12_2997 Depth=2
	v_bfe_u32 v24, v25, 16, 1
	v_add3_u32 v24, v25, v24, s46
                                        ; implicit-def: $vgpr25
; %bb.3732:                             ;   in Loop: Header=BB12_2997 Depth=2
	s_andn2_saveexec_b64 s[40:41], s[40:41]
	s_cbranch_execz .LBB12_3734
; %bb.3733:                             ;   in Loop: Header=BB12_2997 Depth=2
	buffer_load_dword v26, off, s[0:3], s33 offset:128 ; 4-byte Folded Reload
	buffer_load_dword v27, off, s[0:3], s33 offset:132 ; 4-byte Folded Reload
	v_or_b32_e32 v24, 0x10000, v25
	s_waitcnt vmcnt(1)
	v_cmp_eq_u32_sdwa vcc, v25, v26 src0_sel:WORD_0 src1_sel:DWORD
	v_cndmask_b32_e32 v24, v24, v25, vcc
.LBB12_3734:                            ;   in Loop: Header=BB12_2997 Depth=2
	s_or_b64 exec, exec, s[40:41]
	buffer_load_dword v48, off, s[0:3], s33 offset:284 ; 4-byte Folded Reload
	buffer_load_dword v49, off, s[0:3], s33 offset:288 ; 4-byte Folded Reload
	;; [unrolled: 1-line block ×4, first 2 shown]
	v_and_b32_e32 v25, 0xffff0000, v39
	s_waitcnt vmcnt(2)
	v_lshlrev_b32_e32 v26, 16, v49
	v_add_f32_e32 v26, v26, v25
	v_and_b32_e32 v25, 0x7f800000, v26
	v_cmp_ne_u32_e32 vcc, s97, v25
                                        ; implicit-def: $vgpr25
	s_and_saveexec_b64 s[40:41], vcc
	s_xor_b64 s[40:41], exec, s[40:41]
; %bb.3735:                             ;   in Loop: Header=BB12_2997 Depth=2
	v_bfe_u32 v25, v26, 16, 1
	v_add3_u32 v25, v26, v25, s46
                                        ; implicit-def: $vgpr26
; %bb.3736:                             ;   in Loop: Header=BB12_2997 Depth=2
	s_andn2_saveexec_b64 s[40:41], s[40:41]
	s_cbranch_execz .LBB12_3738
; %bb.3737:                             ;   in Loop: Header=BB12_2997 Depth=2
	buffer_load_dword v38, off, s[0:3], s33 offset:128 ; 4-byte Folded Reload
	buffer_load_dword v39, off, s[0:3], s33 offset:132 ; 4-byte Folded Reload
	v_or_b32_e32 v25, 0x10000, v26
	s_waitcnt vmcnt(1)
	v_cmp_eq_u32_sdwa vcc, v26, v38 src0_sel:WORD_0 src1_sel:DWORD
	v_cndmask_b32_e32 v25, v25, v26, vcc
.LBB12_3738:                            ;   in Loop: Header=BB12_2997 Depth=2
	s_or_b64 exec, exec, s[40:41]
	buffer_load_dword v48, off, s[0:3], s33 offset:284 ; 4-byte Folded Reload
	buffer_load_dword v49, off, s[0:3], s33 offset:288 ; 4-byte Folded Reload
	;; [unrolled: 1-line block ×4, first 2 shown]
	v_and_b32_e32 v27, 0xffff0000, v36
	s_waitcnt vmcnt(2)
	v_and_b32_e32 v26, 0xffff0000, v49
	v_add_f32_e32 v27, v26, v27
	v_and_b32_e32 v26, 0x7f800000, v27
	v_cmp_ne_u32_e32 vcc, s97, v26
                                        ; implicit-def: $vgpr26
	s_and_saveexec_b64 s[40:41], vcc
	s_xor_b64 s[40:41], exec, s[40:41]
; %bb.3739:                             ;   in Loop: Header=BB12_2997 Depth=2
	v_bfe_u32 v26, v27, 16, 1
	v_add3_u32 v26, v27, v26, s46
                                        ; implicit-def: $vgpr27
; %bb.3740:                             ;   in Loop: Header=BB12_2997 Depth=2
	s_andn2_saveexec_b64 s[40:41], s[40:41]
	s_cbranch_execz .LBB12_3742
; %bb.3741:                             ;   in Loop: Header=BB12_2997 Depth=2
	buffer_load_dword v38, off, s[0:3], s33 offset:128 ; 4-byte Folded Reload
	buffer_load_dword v39, off, s[0:3], s33 offset:132 ; 4-byte Folded Reload
	v_or_b32_e32 v26, 0x10000, v27
	s_waitcnt vmcnt(1)
	v_cmp_eq_u32_sdwa vcc, v27, v38 src0_sel:WORD_0 src1_sel:DWORD
	v_cndmask_b32_e32 v26, v26, v27, vcc
.LBB12_3742:                            ;   in Loop: Header=BB12_2997 Depth=2
	s_or_b64 exec, exec, s[40:41]
	v_and_b32_e32 v27, 0xffff0000, v37
	buffer_load_dword v36, off, s[0:3], s33 offset:284 ; 4-byte Folded Reload
	buffer_load_dword v37, off, s[0:3], s33 offset:288 ; 4-byte Folded Reload
	;; [unrolled: 1-line block ×4, first 2 shown]
	s_waitcnt vmcnt(1)
	v_lshlrev_b32_e32 v36, 16, v38
	v_add_f32_e32 v36, v36, v27
	v_and_b32_e32 v27, 0x7f800000, v36
	v_cmp_ne_u32_e32 vcc, s97, v27
                                        ; implicit-def: $vgpr27
	s_and_saveexec_b64 s[40:41], vcc
	s_xor_b64 s[40:41], exec, s[40:41]
; %bb.3743:                             ;   in Loop: Header=BB12_2997 Depth=2
	v_bfe_u32 v27, v36, 16, 1
	v_add3_u32 v27, v36, v27, s46
                                        ; implicit-def: $vgpr36
; %bb.3744:                             ;   in Loop: Header=BB12_2997 Depth=2
	s_andn2_saveexec_b64 s[40:41], s[40:41]
	s_cbranch_execz .LBB12_3746
; %bb.3745:                             ;   in Loop: Header=BB12_2997 Depth=2
	buffer_load_dword v37, off, s[0:3], s33 offset:128 ; 4-byte Folded Reload
	buffer_load_dword v38, off, s[0:3], s33 offset:132 ; 4-byte Folded Reload
	v_or_b32_e32 v27, 0x10000, v36
	s_waitcnt vmcnt(1)
	v_cmp_eq_u32_sdwa vcc, v36, v37 src0_sel:WORD_0 src1_sel:DWORD
	v_cndmask_b32_e32 v27, v27, v36, vcc
.LBB12_3746:                            ;   in Loop: Header=BB12_2997 Depth=2
	s_or_b64 exec, exec, s[40:41]
	buffer_load_dword v36, off, s[0:3], s33 offset:284 ; 4-byte Folded Reload
	buffer_load_dword v37, off, s[0:3], s33 offset:288 ; 4-byte Folded Reload
	;; [unrolled: 1-line block ×4, first 2 shown]
	v_and_b32_e32 v34, 0xffff0000, v34
	s_waitcnt vmcnt(1)
	v_and_b32_e32 v36, 0xffff0000, v38
	v_add_f32_e32 v36, v36, v34
	v_and_b32_e32 v34, 0x7f800000, v36
	v_cmp_ne_u32_e32 vcc, s97, v34
                                        ; implicit-def: $vgpr34
	s_and_saveexec_b64 s[40:41], vcc
	s_xor_b64 s[40:41], exec, s[40:41]
; %bb.3747:                             ;   in Loop: Header=BB12_2997 Depth=2
	v_bfe_u32 v34, v36, 16, 1
	v_add3_u32 v34, v36, v34, s46
                                        ; implicit-def: $vgpr36
; %bb.3748:                             ;   in Loop: Header=BB12_2997 Depth=2
	s_andn2_saveexec_b64 s[40:41], s[40:41]
	s_cbranch_execz .LBB12_3750
; %bb.3749:                             ;   in Loop: Header=BB12_2997 Depth=2
	buffer_load_dword v37, off, s[0:3], s33 offset:128 ; 4-byte Folded Reload
	buffer_load_dword v38, off, s[0:3], s33 offset:132 ; 4-byte Folded Reload
	v_or_b32_e32 v34, 0x10000, v36
	s_waitcnt vmcnt(1)
	v_cmp_eq_u32_sdwa vcc, v36, v37 src0_sel:WORD_0 src1_sel:DWORD
	v_cndmask_b32_e32 v34, v34, v36, vcc
.LBB12_3750:                            ;   in Loop: Header=BB12_2997 Depth=2
	s_or_b64 exec, exec, s[40:41]
	buffer_load_dword v36, off, s[0:3], s33 offset:284 ; 4-byte Folded Reload
	buffer_load_dword v37, off, s[0:3], s33 offset:288 ; 4-byte Folded Reload
	;; [unrolled: 1-line block ×4, first 2 shown]
	v_and_b32_e32 v35, 0xffff0000, v35
	s_waitcnt vmcnt(0)
	v_lshlrev_b32_e32 v36, 16, v39
	v_add_f32_e32 v36, v36, v35
	v_and_b32_e32 v35, 0x7f800000, v36
	v_cmp_ne_u32_e32 vcc, s97, v35
                                        ; implicit-def: $vgpr35
	s_and_saveexec_b64 s[40:41], vcc
	s_xor_b64 s[40:41], exec, s[40:41]
; %bb.3751:                             ;   in Loop: Header=BB12_2997 Depth=2
	v_bfe_u32 v35, v36, 16, 1
	v_add3_u32 v35, v36, v35, s46
                                        ; implicit-def: $vgpr36
; %bb.3752:                             ;   in Loop: Header=BB12_2997 Depth=2
	s_andn2_saveexec_b64 s[40:41], s[40:41]
	s_cbranch_execz .LBB12_3754
; %bb.3753:                             ;   in Loop: Header=BB12_2997 Depth=2
	buffer_load_dword v37, off, s[0:3], s33 offset:128 ; 4-byte Folded Reload
	buffer_load_dword v38, off, s[0:3], s33 offset:132 ; 4-byte Folded Reload
	v_or_b32_e32 v35, 0x10000, v36
	s_waitcnt vmcnt(1)
	v_cmp_eq_u32_sdwa vcc, v36, v37 src0_sel:WORD_0 src1_sel:DWORD
	v_cndmask_b32_e32 v35, v35, v36, vcc
.LBB12_3754:                            ;   in Loop: Header=BB12_2997 Depth=2
	s_or_b64 exec, exec, s[40:41]
	buffer_load_dword v36, off, s[0:3], s33 offset:284 ; 4-byte Folded Reload
	buffer_load_dword v37, off, s[0:3], s33 offset:288 ; 4-byte Folded Reload
	;; [unrolled: 1-line block ×4, first 2 shown]
	v_and_b32_e32 v32, 0xffff0000, v32
	s_waitcnt vmcnt(0)
	v_and_b32_e32 v36, 0xffff0000, v39
	v_add_f32_e32 v36, v36, v32
	v_and_b32_e32 v32, 0x7f800000, v36
	v_cmp_ne_u32_e32 vcc, s97, v32
                                        ; implicit-def: $vgpr32
	s_and_saveexec_b64 s[40:41], vcc
	s_xor_b64 s[40:41], exec, s[40:41]
; %bb.3755:                             ;   in Loop: Header=BB12_2997 Depth=2
	v_bfe_u32 v32, v36, 16, 1
	v_add3_u32 v32, v36, v32, s46
                                        ; implicit-def: $vgpr36
; %bb.3756:                             ;   in Loop: Header=BB12_2997 Depth=2
	s_andn2_saveexec_b64 s[40:41], s[40:41]
	s_cbranch_execz .LBB12_3758
; %bb.3757:                             ;   in Loop: Header=BB12_2997 Depth=2
	buffer_load_dword v37, off, s[0:3], s33 offset:128 ; 4-byte Folded Reload
	buffer_load_dword v38, off, s[0:3], s33 offset:132 ; 4-byte Folded Reload
	v_or_b32_e32 v32, 0x10000, v36
	s_waitcnt vmcnt(1)
	v_cmp_eq_u32_sdwa vcc, v36, v37 src0_sel:WORD_0 src1_sel:DWORD
	v_cndmask_b32_e32 v32, v32, v36, vcc
.LBB12_3758:                            ;   in Loop: Header=BB12_2997 Depth=2
	s_or_b64 exec, exec, s[40:41]
	buffer_load_dword v36, off, s[0:3], s33 offset:240 ; 4-byte Folded Reload
	buffer_load_dword v37, off, s[0:3], s33 offset:244 ; 4-byte Folded Reload
	;; [unrolled: 1-line block ×4, first 2 shown]
	v_and_b32_e32 v33, 0xffff0000, v33
	s_waitcnt vmcnt(3)
	v_lshlrev_b32_e32 v36, 16, v36
	v_add_f32_e32 v36, v36, v33
	v_and_b32_e32 v33, 0x7f800000, v36
	v_cmp_ne_u32_e32 vcc, s97, v33
                                        ; implicit-def: $vgpr33
	s_and_saveexec_b64 s[40:41], vcc
	s_xor_b64 s[40:41], exec, s[40:41]
; %bb.3759:                             ;   in Loop: Header=BB12_2997 Depth=2
	v_bfe_u32 v33, v36, 16, 1
	v_add3_u32 v33, v36, v33, s46
                                        ; implicit-def: $vgpr36
; %bb.3760:                             ;   in Loop: Header=BB12_2997 Depth=2
	s_andn2_saveexec_b64 s[40:41], s[40:41]
	s_cbranch_execz .LBB12_3762
; %bb.3761:                             ;   in Loop: Header=BB12_2997 Depth=2
	buffer_load_dword v37, off, s[0:3], s33 offset:128 ; 4-byte Folded Reload
	buffer_load_dword v38, off, s[0:3], s33 offset:132 ; 4-byte Folded Reload
	v_or_b32_e32 v33, 0x10000, v36
	s_waitcnt vmcnt(1)
	v_cmp_eq_u32_sdwa vcc, v36, v37 src0_sel:WORD_0 src1_sel:DWORD
	v_cndmask_b32_e32 v33, v33, v36, vcc
.LBB12_3762:                            ;   in Loop: Header=BB12_2997 Depth=2
	s_or_b64 exec, exec, s[40:41]
	buffer_load_dword v36, off, s[0:3], s33 offset:240 ; 4-byte Folded Reload
	buffer_load_dword v37, off, s[0:3], s33 offset:244 ; 4-byte Folded Reload
	;; [unrolled: 1-line block ×4, first 2 shown]
	v_and_b32_e32 v30, 0xffff0000, v30
	s_waitcnt vmcnt(3)
	v_and_b32_e32 v36, 0xffff0000, v36
	v_add_f32_e32 v36, v36, v30
	v_and_b32_e32 v30, 0x7f800000, v36
	v_cmp_ne_u32_e32 vcc, s97, v30
                                        ; implicit-def: $vgpr30
	s_and_saveexec_b64 s[40:41], vcc
	s_xor_b64 s[40:41], exec, s[40:41]
; %bb.3763:                             ;   in Loop: Header=BB12_2997 Depth=2
	v_bfe_u32 v30, v36, 16, 1
	v_add3_u32 v30, v36, v30, s46
                                        ; implicit-def: $vgpr36
; %bb.3764:                             ;   in Loop: Header=BB12_2997 Depth=2
	s_andn2_saveexec_b64 s[40:41], s[40:41]
	s_cbranch_execz .LBB12_3766
; %bb.3765:                             ;   in Loop: Header=BB12_2997 Depth=2
	buffer_load_dword v37, off, s[0:3], s33 offset:128 ; 4-byte Folded Reload
	buffer_load_dword v38, off, s[0:3], s33 offset:132 ; 4-byte Folded Reload
	v_or_b32_e32 v30, 0x10000, v36
	s_waitcnt vmcnt(1)
	v_cmp_eq_u32_sdwa vcc, v36, v37 src0_sel:WORD_0 src1_sel:DWORD
	v_cndmask_b32_e32 v30, v30, v36, vcc
.LBB12_3766:                            ;   in Loop: Header=BB12_2997 Depth=2
	s_or_b64 exec, exec, s[40:41]
	buffer_load_dword v36, off, s[0:3], s33 offset:240 ; 4-byte Folded Reload
	buffer_load_dword v37, off, s[0:3], s33 offset:244 ; 4-byte Folded Reload
	;; [unrolled: 1-line block ×4, first 2 shown]
	v_and_b32_e32 v31, 0xffff0000, v31
	s_waitcnt vmcnt(2)
	v_lshlrev_b32_e32 v36, 16, v37
	v_add_f32_e32 v36, v36, v31
	v_and_b32_e32 v31, 0x7f800000, v36
	v_cmp_ne_u32_e32 vcc, s97, v31
                                        ; implicit-def: $vgpr31
	s_and_saveexec_b64 s[40:41], vcc
	s_xor_b64 s[40:41], exec, s[40:41]
; %bb.3767:                             ;   in Loop: Header=BB12_2997 Depth=2
	v_bfe_u32 v31, v36, 16, 1
	v_add3_u32 v31, v36, v31, s46
                                        ; implicit-def: $vgpr36
; %bb.3768:                             ;   in Loop: Header=BB12_2997 Depth=2
	s_andn2_saveexec_b64 s[40:41], s[40:41]
	s_cbranch_execz .LBB12_3770
; %bb.3769:                             ;   in Loop: Header=BB12_2997 Depth=2
	buffer_load_dword v37, off, s[0:3], s33 offset:128 ; 4-byte Folded Reload
	buffer_load_dword v38, off, s[0:3], s33 offset:132 ; 4-byte Folded Reload
	v_or_b32_e32 v31, 0x10000, v36
	s_waitcnt vmcnt(1)
	v_cmp_eq_u32_sdwa vcc, v36, v37 src0_sel:WORD_0 src1_sel:DWORD
	v_cndmask_b32_e32 v31, v31, v36, vcc
.LBB12_3770:                            ;   in Loop: Header=BB12_2997 Depth=2
	s_or_b64 exec, exec, s[40:41]
	buffer_load_dword v36, off, s[0:3], s33 offset:240 ; 4-byte Folded Reload
	buffer_load_dword v37, off, s[0:3], s33 offset:244 ; 4-byte Folded Reload
	;; [unrolled: 1-line block ×4, first 2 shown]
	v_and_b32_e32 v28, 0xffff0000, v28
	s_waitcnt vmcnt(2)
	v_and_b32_e32 v36, 0xffff0000, v37
	v_add_f32_e32 v36, v36, v28
	v_and_b32_e32 v28, 0x7f800000, v36
	v_cmp_ne_u32_e32 vcc, s97, v28
                                        ; implicit-def: $vgpr28
	s_and_saveexec_b64 s[40:41], vcc
	s_xor_b64 s[40:41], exec, s[40:41]
; %bb.3771:                             ;   in Loop: Header=BB12_2997 Depth=2
	v_bfe_u32 v28, v36, 16, 1
	v_add3_u32 v28, v36, v28, s46
                                        ; implicit-def: $vgpr36
; %bb.3772:                             ;   in Loop: Header=BB12_2997 Depth=2
	s_andn2_saveexec_b64 s[40:41], s[40:41]
	s_cbranch_execz .LBB12_3774
; %bb.3773:                             ;   in Loop: Header=BB12_2997 Depth=2
	buffer_load_dword v37, off, s[0:3], s33 offset:128 ; 4-byte Folded Reload
	buffer_load_dword v38, off, s[0:3], s33 offset:132 ; 4-byte Folded Reload
	v_or_b32_e32 v28, 0x10000, v36
	s_waitcnt vmcnt(1)
	v_cmp_eq_u32_sdwa vcc, v36, v37 src0_sel:WORD_0 src1_sel:DWORD
	v_cndmask_b32_e32 v28, v28, v36, vcc
.LBB12_3774:                            ;   in Loop: Header=BB12_2997 Depth=2
	s_or_b64 exec, exec, s[40:41]
	buffer_load_dword v36, off, s[0:3], s33 offset:240 ; 4-byte Folded Reload
	buffer_load_dword v37, off, s[0:3], s33 offset:244 ; 4-byte Folded Reload
	;; [unrolled: 1-line block ×4, first 2 shown]
	v_and_b32_e32 v29, 0xffff0000, v29
	s_waitcnt vmcnt(1)
	v_lshlrev_b32_e32 v36, 16, v38
	v_add_f32_e32 v36, v36, v29
	v_and_b32_e32 v29, 0x7f800000, v36
	v_cmp_ne_u32_e32 vcc, s97, v29
                                        ; implicit-def: $vgpr29
	s_and_saveexec_b64 s[40:41], vcc
	s_xor_b64 s[40:41], exec, s[40:41]
; %bb.3775:                             ;   in Loop: Header=BB12_2997 Depth=2
	v_bfe_u32 v29, v36, 16, 1
	v_add3_u32 v29, v36, v29, s46
                                        ; implicit-def: $vgpr36
; %bb.3776:                             ;   in Loop: Header=BB12_2997 Depth=2
	s_andn2_saveexec_b64 s[40:41], s[40:41]
	s_cbranch_execz .LBB12_3778
; %bb.3777:                             ;   in Loop: Header=BB12_2997 Depth=2
	buffer_load_dword v37, off, s[0:3], s33 offset:128 ; 4-byte Folded Reload
	buffer_load_dword v38, off, s[0:3], s33 offset:132 ; 4-byte Folded Reload
	v_or_b32_e32 v29, 0x10000, v36
	s_waitcnt vmcnt(1)
	v_cmp_eq_u32_sdwa vcc, v36, v37 src0_sel:WORD_0 src1_sel:DWORD
	v_cndmask_b32_e32 v29, v29, v36, vcc
.LBB12_3778:                            ;   in Loop: Header=BB12_2997 Depth=2
	s_or_b64 exec, exec, s[40:41]
	buffer_load_dword v36, off, s[0:3], s33 offset:240 ; 4-byte Folded Reload
	buffer_load_dword v37, off, s[0:3], s33 offset:244 ; 4-byte Folded Reload
	;; [unrolled: 1-line block ×4, first 2 shown]
	v_and_b32_e32 v22, 0xffff0000, v22
	s_waitcnt vmcnt(1)
	v_and_b32_e32 v36, 0xffff0000, v38
	v_add_f32_e32 v36, v36, v22
	v_and_b32_e32 v22, 0x7f800000, v36
	v_cmp_ne_u32_e32 vcc, s97, v22
                                        ; implicit-def: $vgpr22
	s_and_saveexec_b64 s[40:41], vcc
	s_xor_b64 s[40:41], exec, s[40:41]
; %bb.3779:                             ;   in Loop: Header=BB12_2997 Depth=2
	v_bfe_u32 v22, v36, 16, 1
	v_add3_u32 v22, v36, v22, s46
                                        ; implicit-def: $vgpr36
; %bb.3780:                             ;   in Loop: Header=BB12_2997 Depth=2
	s_andn2_saveexec_b64 s[40:41], s[40:41]
	s_cbranch_execz .LBB12_3782
; %bb.3781:                             ;   in Loop: Header=BB12_2997 Depth=2
	buffer_load_dword v37, off, s[0:3], s33 offset:128 ; 4-byte Folded Reload
	buffer_load_dword v38, off, s[0:3], s33 offset:132 ; 4-byte Folded Reload
	v_or_b32_e32 v22, 0x10000, v36
	s_waitcnt vmcnt(1)
	v_cmp_eq_u32_sdwa vcc, v36, v37 src0_sel:WORD_0 src1_sel:DWORD
	v_cndmask_b32_e32 v22, v22, v36, vcc
.LBB12_3782:                            ;   in Loop: Header=BB12_2997 Depth=2
	s_or_b64 exec, exec, s[40:41]
	buffer_load_dword v36, off, s[0:3], s33 offset:240 ; 4-byte Folded Reload
	buffer_load_dword v37, off, s[0:3], s33 offset:244 ; 4-byte Folded Reload
	;; [unrolled: 1-line block ×4, first 2 shown]
	v_and_b32_e32 v23, 0xffff0000, v23
	s_waitcnt vmcnt(0)
	v_lshlrev_b32_e32 v36, 16, v39
	v_add_f32_e32 v36, v36, v23
	v_and_b32_e32 v23, 0x7f800000, v36
	v_cmp_ne_u32_e32 vcc, s97, v23
                                        ; implicit-def: $vgpr23
	s_and_saveexec_b64 s[40:41], vcc
	s_xor_b64 s[40:41], exec, s[40:41]
; %bb.3783:                             ;   in Loop: Header=BB12_2997 Depth=2
	v_bfe_u32 v23, v36, 16, 1
	v_add3_u32 v23, v36, v23, s46
                                        ; implicit-def: $vgpr36
; %bb.3784:                             ;   in Loop: Header=BB12_2997 Depth=2
	s_andn2_saveexec_b64 s[40:41], s[40:41]
	s_cbranch_execz .LBB12_3786
; %bb.3785:                             ;   in Loop: Header=BB12_2997 Depth=2
	buffer_load_dword v37, off, s[0:3], s33 offset:128 ; 4-byte Folded Reload
	buffer_load_dword v38, off, s[0:3], s33 offset:132 ; 4-byte Folded Reload
	v_or_b32_e32 v23, 0x10000, v36
	s_waitcnt vmcnt(1)
	v_cmp_eq_u32_sdwa vcc, v36, v37 src0_sel:WORD_0 src1_sel:DWORD
	v_cndmask_b32_e32 v23, v23, v36, vcc
.LBB12_3786:                            ;   in Loop: Header=BB12_2997 Depth=2
	s_or_b64 exec, exec, s[40:41]
	buffer_load_dword v36, off, s[0:3], s33 offset:240 ; 4-byte Folded Reload
	buffer_load_dword v37, off, s[0:3], s33 offset:244 ; 4-byte Folded Reload
	buffer_load_dword v38, off, s[0:3], s33 offset:248 ; 4-byte Folded Reload
	buffer_load_dword v39, off, s[0:3], s33 offset:252 ; 4-byte Folded Reload
	v_and_b32_e32 v20, 0xffff0000, v20
	s_waitcnt vmcnt(0)
	v_and_b32_e32 v36, 0xffff0000, v39
	v_add_f32_e32 v36, v36, v20
	v_and_b32_e32 v20, 0x7f800000, v36
	v_cmp_ne_u32_e32 vcc, s97, v20
                                        ; implicit-def: $vgpr20
	s_and_saveexec_b64 s[40:41], vcc
	s_xor_b64 s[40:41], exec, s[40:41]
; %bb.3787:                             ;   in Loop: Header=BB12_2997 Depth=2
	v_bfe_u32 v20, v36, 16, 1
	v_add3_u32 v20, v36, v20, s46
                                        ; implicit-def: $vgpr36
; %bb.3788:                             ;   in Loop: Header=BB12_2997 Depth=2
	s_andn2_saveexec_b64 s[40:41], s[40:41]
	s_cbranch_execz .LBB12_3790
; %bb.3789:                             ;   in Loop: Header=BB12_2997 Depth=2
	buffer_load_dword v37, off, s[0:3], s33 offset:128 ; 4-byte Folded Reload
	buffer_load_dword v38, off, s[0:3], s33 offset:132 ; 4-byte Folded Reload
	v_or_b32_e32 v20, 0x10000, v36
	s_waitcnt vmcnt(1)
	v_cmp_eq_u32_sdwa vcc, v36, v37 src0_sel:WORD_0 src1_sel:DWORD
	v_cndmask_b32_e32 v20, v20, v36, vcc
.LBB12_3790:                            ;   in Loop: Header=BB12_2997 Depth=2
	s_or_b64 exec, exec, s[40:41]
	buffer_load_dword v36, off, s[0:3], s33 offset:216 ; 4-byte Folded Reload
	buffer_load_dword v37, off, s[0:3], s33 offset:220 ; 4-byte Folded Reload
	;; [unrolled: 1-line block ×4, first 2 shown]
	v_and_b32_e32 v21, 0xffff0000, v21
	s_waitcnt vmcnt(3)
	v_lshlrev_b32_e32 v36, 16, v36
	v_add_f32_e32 v36, v36, v21
	v_and_b32_e32 v21, 0x7f800000, v36
	v_cmp_ne_u32_e32 vcc, s97, v21
                                        ; implicit-def: $vgpr21
	s_and_saveexec_b64 s[40:41], vcc
	s_xor_b64 s[40:41], exec, s[40:41]
; %bb.3791:                             ;   in Loop: Header=BB12_2997 Depth=2
	v_bfe_u32 v21, v36, 16, 1
	v_add3_u32 v21, v36, v21, s46
                                        ; implicit-def: $vgpr36
; %bb.3792:                             ;   in Loop: Header=BB12_2997 Depth=2
	s_andn2_saveexec_b64 s[40:41], s[40:41]
	s_cbranch_execz .LBB12_3794
; %bb.3793:                             ;   in Loop: Header=BB12_2997 Depth=2
	buffer_load_dword v37, off, s[0:3], s33 offset:128 ; 4-byte Folded Reload
	buffer_load_dword v38, off, s[0:3], s33 offset:132 ; 4-byte Folded Reload
	v_or_b32_e32 v21, 0x10000, v36
	s_waitcnt vmcnt(1)
	v_cmp_eq_u32_sdwa vcc, v36, v37 src0_sel:WORD_0 src1_sel:DWORD
	v_cndmask_b32_e32 v21, v21, v36, vcc
.LBB12_3794:                            ;   in Loop: Header=BB12_2997 Depth=2
	s_or_b64 exec, exec, s[40:41]
	buffer_load_dword v36, off, s[0:3], s33 offset:216 ; 4-byte Folded Reload
	buffer_load_dword v37, off, s[0:3], s33 offset:220 ; 4-byte Folded Reload
	;; [unrolled: 1-line block ×4, first 2 shown]
	v_and_b32_e32 v18, 0xffff0000, v18
	s_waitcnt vmcnt(3)
	v_and_b32_e32 v36, 0xffff0000, v36
	v_add_f32_e32 v36, v36, v18
	v_and_b32_e32 v18, 0x7f800000, v36
	v_cmp_ne_u32_e32 vcc, s97, v18
                                        ; implicit-def: $vgpr18
	s_and_saveexec_b64 s[40:41], vcc
	s_xor_b64 s[40:41], exec, s[40:41]
; %bb.3795:                             ;   in Loop: Header=BB12_2997 Depth=2
	v_bfe_u32 v18, v36, 16, 1
	v_add3_u32 v18, v36, v18, s46
                                        ; implicit-def: $vgpr36
; %bb.3796:                             ;   in Loop: Header=BB12_2997 Depth=2
	s_andn2_saveexec_b64 s[40:41], s[40:41]
	s_cbranch_execz .LBB12_3798
; %bb.3797:                             ;   in Loop: Header=BB12_2997 Depth=2
	buffer_load_dword v37, off, s[0:3], s33 offset:128 ; 4-byte Folded Reload
	buffer_load_dword v38, off, s[0:3], s33 offset:132 ; 4-byte Folded Reload
	v_or_b32_e32 v18, 0x10000, v36
	s_waitcnt vmcnt(1)
	v_cmp_eq_u32_sdwa vcc, v36, v37 src0_sel:WORD_0 src1_sel:DWORD
	v_cndmask_b32_e32 v18, v18, v36, vcc
.LBB12_3798:                            ;   in Loop: Header=BB12_2997 Depth=2
	s_or_b64 exec, exec, s[40:41]
	buffer_load_dword v36, off, s[0:3], s33 offset:216 ; 4-byte Folded Reload
	buffer_load_dword v37, off, s[0:3], s33 offset:220 ; 4-byte Folded Reload
	;; [unrolled: 1-line block ×4, first 2 shown]
	v_and_b32_e32 v19, 0xffff0000, v19
	s_waitcnt vmcnt(2)
	v_lshlrev_b32_e32 v36, 16, v37
	v_add_f32_e32 v36, v36, v19
	v_and_b32_e32 v19, 0x7f800000, v36
	v_cmp_ne_u32_e32 vcc, s97, v19
                                        ; implicit-def: $vgpr19
	s_and_saveexec_b64 s[40:41], vcc
	s_xor_b64 s[40:41], exec, s[40:41]
; %bb.3799:                             ;   in Loop: Header=BB12_2997 Depth=2
	v_bfe_u32 v19, v36, 16, 1
	v_add3_u32 v19, v36, v19, s46
                                        ; implicit-def: $vgpr36
; %bb.3800:                             ;   in Loop: Header=BB12_2997 Depth=2
	s_andn2_saveexec_b64 s[40:41], s[40:41]
	s_cbranch_execz .LBB12_3802
; %bb.3801:                             ;   in Loop: Header=BB12_2997 Depth=2
	buffer_load_dword v37, off, s[0:3], s33 offset:128 ; 4-byte Folded Reload
	buffer_load_dword v38, off, s[0:3], s33 offset:132 ; 4-byte Folded Reload
	v_or_b32_e32 v19, 0x10000, v36
	s_waitcnt vmcnt(1)
	v_cmp_eq_u32_sdwa vcc, v36, v37 src0_sel:WORD_0 src1_sel:DWORD
	v_cndmask_b32_e32 v19, v19, v36, vcc
.LBB12_3802:                            ;   in Loop: Header=BB12_2997 Depth=2
	s_or_b64 exec, exec, s[40:41]
	buffer_load_dword v36, off, s[0:3], s33 offset:216 ; 4-byte Folded Reload
	buffer_load_dword v37, off, s[0:3], s33 offset:220 ; 4-byte Folded Reload
	;; [unrolled: 1-line block ×4, first 2 shown]
	v_and_b32_e32 v12, 0xffff0000, v12
	s_waitcnt vmcnt(2)
	v_and_b32_e32 v36, 0xffff0000, v37
	v_add_f32_e32 v36, v36, v12
	v_and_b32_e32 v12, 0x7f800000, v36
	v_cmp_ne_u32_e32 vcc, s97, v12
                                        ; implicit-def: $vgpr12
	s_and_saveexec_b64 s[40:41], vcc
	s_xor_b64 s[40:41], exec, s[40:41]
; %bb.3803:                             ;   in Loop: Header=BB12_2997 Depth=2
	v_bfe_u32 v12, v36, 16, 1
	v_add3_u32 v12, v36, v12, s46
                                        ; implicit-def: $vgpr36
; %bb.3804:                             ;   in Loop: Header=BB12_2997 Depth=2
	s_andn2_saveexec_b64 s[40:41], s[40:41]
	s_cbranch_execz .LBB12_3806
; %bb.3805:                             ;   in Loop: Header=BB12_2997 Depth=2
	buffer_load_dword v37, off, s[0:3], s33 offset:128 ; 4-byte Folded Reload
	buffer_load_dword v38, off, s[0:3], s33 offset:132 ; 4-byte Folded Reload
	v_or_b32_e32 v12, 0x10000, v36
	s_waitcnt vmcnt(1)
	v_cmp_eq_u32_sdwa vcc, v36, v37 src0_sel:WORD_0 src1_sel:DWORD
	v_cndmask_b32_e32 v12, v12, v36, vcc
.LBB12_3806:                            ;   in Loop: Header=BB12_2997 Depth=2
	s_or_b64 exec, exec, s[40:41]
	buffer_load_dword v36, off, s[0:3], s33 offset:216 ; 4-byte Folded Reload
	buffer_load_dword v37, off, s[0:3], s33 offset:220 ; 4-byte Folded Reload
	;; [unrolled: 1-line block ×4, first 2 shown]
	v_and_b32_e32 v13, 0xffff0000, v13
	s_waitcnt vmcnt(1)
	v_lshlrev_b32_e32 v36, 16, v38
	v_add_f32_e32 v36, v36, v13
	v_and_b32_e32 v13, 0x7f800000, v36
	v_cmp_ne_u32_e32 vcc, s97, v13
                                        ; implicit-def: $vgpr13
	s_and_saveexec_b64 s[40:41], vcc
	s_xor_b64 s[40:41], exec, s[40:41]
; %bb.3807:                             ;   in Loop: Header=BB12_2997 Depth=2
	v_bfe_u32 v13, v36, 16, 1
	v_add3_u32 v13, v36, v13, s46
                                        ; implicit-def: $vgpr36
; %bb.3808:                             ;   in Loop: Header=BB12_2997 Depth=2
	s_andn2_saveexec_b64 s[40:41], s[40:41]
	s_cbranch_execz .LBB12_3810
; %bb.3809:                             ;   in Loop: Header=BB12_2997 Depth=2
	buffer_load_dword v37, off, s[0:3], s33 offset:128 ; 4-byte Folded Reload
	buffer_load_dword v38, off, s[0:3], s33 offset:132 ; 4-byte Folded Reload
	v_or_b32_e32 v13, 0x10000, v36
	s_waitcnt vmcnt(1)
	v_cmp_eq_u32_sdwa vcc, v36, v37 src0_sel:WORD_0 src1_sel:DWORD
	v_cndmask_b32_e32 v13, v13, v36, vcc
.LBB12_3810:                            ;   in Loop: Header=BB12_2997 Depth=2
	s_or_b64 exec, exec, s[40:41]
	buffer_load_dword v36, off, s[0:3], s33 offset:216 ; 4-byte Folded Reload
	buffer_load_dword v37, off, s[0:3], s33 offset:220 ; 4-byte Folded Reload
	;; [unrolled: 1-line block ×4, first 2 shown]
	v_and_b32_e32 v10, 0xffff0000, v10
	s_waitcnt vmcnt(1)
	v_and_b32_e32 v36, 0xffff0000, v38
	v_add_f32_e32 v36, v36, v10
	v_and_b32_e32 v10, 0x7f800000, v36
	v_cmp_ne_u32_e32 vcc, s97, v10
                                        ; implicit-def: $vgpr10
	s_and_saveexec_b64 s[40:41], vcc
	s_xor_b64 s[40:41], exec, s[40:41]
; %bb.3811:                             ;   in Loop: Header=BB12_2997 Depth=2
	v_bfe_u32 v10, v36, 16, 1
	v_add3_u32 v10, v36, v10, s46
                                        ; implicit-def: $vgpr36
; %bb.3812:                             ;   in Loop: Header=BB12_2997 Depth=2
	s_andn2_saveexec_b64 s[40:41], s[40:41]
	s_cbranch_execz .LBB12_3814
; %bb.3813:                             ;   in Loop: Header=BB12_2997 Depth=2
	buffer_load_dword v37, off, s[0:3], s33 offset:128 ; 4-byte Folded Reload
	buffer_load_dword v38, off, s[0:3], s33 offset:132 ; 4-byte Folded Reload
	v_or_b32_e32 v10, 0x10000, v36
	s_waitcnt vmcnt(1)
	v_cmp_eq_u32_sdwa vcc, v36, v37 src0_sel:WORD_0 src1_sel:DWORD
	v_cndmask_b32_e32 v10, v10, v36, vcc
.LBB12_3814:                            ;   in Loop: Header=BB12_2997 Depth=2
	s_or_b64 exec, exec, s[40:41]
	buffer_load_dword v36, off, s[0:3], s33 offset:216 ; 4-byte Folded Reload
	buffer_load_dword v37, off, s[0:3], s33 offset:220 ; 4-byte Folded Reload
	;; [unrolled: 1-line block ×4, first 2 shown]
	v_and_b32_e32 v11, 0xffff0000, v11
	s_waitcnt vmcnt(0)
	v_lshlrev_b32_e32 v36, 16, v39
	v_add_f32_e32 v36, v36, v11
	v_and_b32_e32 v11, 0x7f800000, v36
	v_cmp_ne_u32_e32 vcc, s97, v11
                                        ; implicit-def: $vgpr11
	s_and_saveexec_b64 s[40:41], vcc
	s_xor_b64 s[40:41], exec, s[40:41]
; %bb.3815:                             ;   in Loop: Header=BB12_2997 Depth=2
	v_bfe_u32 v11, v36, 16, 1
	v_add3_u32 v11, v36, v11, s46
                                        ; implicit-def: $vgpr36
; %bb.3816:                             ;   in Loop: Header=BB12_2997 Depth=2
	s_andn2_saveexec_b64 s[40:41], s[40:41]
	s_cbranch_execz .LBB12_3818
; %bb.3817:                             ;   in Loop: Header=BB12_2997 Depth=2
	buffer_load_dword v37, off, s[0:3], s33 offset:128 ; 4-byte Folded Reload
	buffer_load_dword v38, off, s[0:3], s33 offset:132 ; 4-byte Folded Reload
	v_or_b32_e32 v11, 0x10000, v36
	s_waitcnt vmcnt(1)
	v_cmp_eq_u32_sdwa vcc, v36, v37 src0_sel:WORD_0 src1_sel:DWORD
	v_cndmask_b32_e32 v11, v11, v36, vcc
.LBB12_3818:                            ;   in Loop: Header=BB12_2997 Depth=2
	s_or_b64 exec, exec, s[40:41]
	buffer_load_dword v36, off, s[0:3], s33 offset:216 ; 4-byte Folded Reload
	buffer_load_dword v37, off, s[0:3], s33 offset:220 ; 4-byte Folded Reload
	;; [unrolled: 1-line block ×4, first 2 shown]
	v_and_b32_e32 v8, 0xffff0000, v8
	s_waitcnt vmcnt(0)
	v_and_b32_e32 v36, 0xffff0000, v39
	v_add_f32_e32 v36, v36, v8
	v_and_b32_e32 v8, 0x7f800000, v36
	v_cmp_ne_u32_e32 vcc, s97, v8
                                        ; implicit-def: $vgpr8
	s_and_saveexec_b64 s[40:41], vcc
	s_xor_b64 s[40:41], exec, s[40:41]
; %bb.3819:                             ;   in Loop: Header=BB12_2997 Depth=2
	v_bfe_u32 v8, v36, 16, 1
	v_add3_u32 v8, v36, v8, s46
                                        ; implicit-def: $vgpr36
; %bb.3820:                             ;   in Loop: Header=BB12_2997 Depth=2
	s_andn2_saveexec_b64 s[40:41], s[40:41]
	s_cbranch_execz .LBB12_3822
; %bb.3821:                             ;   in Loop: Header=BB12_2997 Depth=2
	buffer_load_dword v37, off, s[0:3], s33 offset:128 ; 4-byte Folded Reload
	buffer_load_dword v38, off, s[0:3], s33 offset:132 ; 4-byte Folded Reload
	v_or_b32_e32 v8, 0x10000, v36
	s_waitcnt vmcnt(1)
	v_cmp_eq_u32_sdwa vcc, v36, v37 src0_sel:WORD_0 src1_sel:DWORD
	v_cndmask_b32_e32 v8, v8, v36, vcc
.LBB12_3822:                            ;   in Loop: Header=BB12_2997 Depth=2
	s_or_b64 exec, exec, s[40:41]
	buffer_load_dword v36, off, s[0:3], s33 offset:200 ; 4-byte Folded Reload
	buffer_load_dword v37, off, s[0:3], s33 offset:204 ; 4-byte Folded Reload
	;; [unrolled: 1-line block ×4, first 2 shown]
	v_and_b32_e32 v9, 0xffff0000, v9
	s_waitcnt vmcnt(3)
	v_lshlrev_b32_e32 v36, 16, v36
	v_add_f32_e32 v36, v36, v9
	v_and_b32_e32 v9, 0x7f800000, v36
	v_cmp_ne_u32_e32 vcc, s97, v9
                                        ; implicit-def: $vgpr9
	s_and_saveexec_b64 s[40:41], vcc
	s_xor_b64 s[40:41], exec, s[40:41]
; %bb.3823:                             ;   in Loop: Header=BB12_2997 Depth=2
	v_bfe_u32 v9, v36, 16, 1
	v_add3_u32 v9, v36, v9, s46
                                        ; implicit-def: $vgpr36
; %bb.3824:                             ;   in Loop: Header=BB12_2997 Depth=2
	s_andn2_saveexec_b64 s[40:41], s[40:41]
	s_cbranch_execz .LBB12_3826
; %bb.3825:                             ;   in Loop: Header=BB12_2997 Depth=2
	buffer_load_dword v37, off, s[0:3], s33 offset:128 ; 4-byte Folded Reload
	buffer_load_dword v38, off, s[0:3], s33 offset:132 ; 4-byte Folded Reload
	v_or_b32_e32 v9, 0x10000, v36
	s_waitcnt vmcnt(1)
	v_cmp_eq_u32_sdwa vcc, v36, v37 src0_sel:WORD_0 src1_sel:DWORD
	v_cndmask_b32_e32 v9, v9, v36, vcc
.LBB12_3826:                            ;   in Loop: Header=BB12_2997 Depth=2
	s_or_b64 exec, exec, s[40:41]
	buffer_load_dword v36, off, s[0:3], s33 offset:200 ; 4-byte Folded Reload
	buffer_load_dword v37, off, s[0:3], s33 offset:204 ; 4-byte Folded Reload
	;; [unrolled: 1-line block ×4, first 2 shown]
	v_and_b32_e32 v6, 0xffff0000, v6
	s_waitcnt vmcnt(3)
	v_and_b32_e32 v36, 0xffff0000, v36
	v_add_f32_e32 v36, v36, v6
	v_and_b32_e32 v6, 0x7f800000, v36
	v_cmp_ne_u32_e32 vcc, s97, v6
                                        ; implicit-def: $vgpr6
	s_and_saveexec_b64 s[40:41], vcc
	s_xor_b64 s[40:41], exec, s[40:41]
; %bb.3827:                             ;   in Loop: Header=BB12_2997 Depth=2
	v_bfe_u32 v6, v36, 16, 1
	v_add3_u32 v6, v36, v6, s46
                                        ; implicit-def: $vgpr36
; %bb.3828:                             ;   in Loop: Header=BB12_2997 Depth=2
	s_andn2_saveexec_b64 s[40:41], s[40:41]
	s_cbranch_execz .LBB12_3830
; %bb.3829:                             ;   in Loop: Header=BB12_2997 Depth=2
	buffer_load_dword v37, off, s[0:3], s33 offset:128 ; 4-byte Folded Reload
	buffer_load_dword v38, off, s[0:3], s33 offset:132 ; 4-byte Folded Reload
	v_or_b32_e32 v6, 0x10000, v36
	s_waitcnt vmcnt(1)
	v_cmp_eq_u32_sdwa vcc, v36, v37 src0_sel:WORD_0 src1_sel:DWORD
	v_cndmask_b32_e32 v6, v6, v36, vcc
.LBB12_3830:                            ;   in Loop: Header=BB12_2997 Depth=2
	s_or_b64 exec, exec, s[40:41]
	buffer_load_dword v36, off, s[0:3], s33 offset:200 ; 4-byte Folded Reload
	buffer_load_dword v37, off, s[0:3], s33 offset:204 ; 4-byte Folded Reload
	;; [unrolled: 1-line block ×4, first 2 shown]
	v_and_b32_e32 v7, 0xffff0000, v7
	s_waitcnt vmcnt(2)
	v_lshlrev_b32_e32 v36, 16, v37
	v_add_f32_e32 v36, v36, v7
	v_and_b32_e32 v7, 0x7f800000, v36
	v_cmp_ne_u32_e32 vcc, s97, v7
                                        ; implicit-def: $vgpr7
	s_and_saveexec_b64 s[40:41], vcc
	s_xor_b64 s[40:41], exec, s[40:41]
; %bb.3831:                             ;   in Loop: Header=BB12_2997 Depth=2
	v_bfe_u32 v7, v36, 16, 1
	v_add3_u32 v7, v36, v7, s46
                                        ; implicit-def: $vgpr36
; %bb.3832:                             ;   in Loop: Header=BB12_2997 Depth=2
	s_andn2_saveexec_b64 s[40:41], s[40:41]
	s_cbranch_execz .LBB12_3834
; %bb.3833:                             ;   in Loop: Header=BB12_2997 Depth=2
	buffer_load_dword v37, off, s[0:3], s33 offset:128 ; 4-byte Folded Reload
	buffer_load_dword v38, off, s[0:3], s33 offset:132 ; 4-byte Folded Reload
	v_or_b32_e32 v7, 0x10000, v36
	s_waitcnt vmcnt(1)
	v_cmp_eq_u32_sdwa vcc, v36, v37 src0_sel:WORD_0 src1_sel:DWORD
	v_cndmask_b32_e32 v7, v7, v36, vcc
.LBB12_3834:                            ;   in Loop: Header=BB12_2997 Depth=2
	s_or_b64 exec, exec, s[40:41]
	buffer_load_dword v36, off, s[0:3], s33 offset:200 ; 4-byte Folded Reload
	buffer_load_dword v37, off, s[0:3], s33 offset:204 ; 4-byte Folded Reload
	;; [unrolled: 1-line block ×4, first 2 shown]
	v_and_b32_e32 v4, 0xffff0000, v4
	s_waitcnt vmcnt(2)
	v_and_b32_e32 v36, 0xffff0000, v37
	v_add_f32_e32 v36, v36, v4
	v_and_b32_e32 v4, 0x7f800000, v36
	v_cmp_ne_u32_e32 vcc, s97, v4
                                        ; implicit-def: $vgpr4
	s_and_saveexec_b64 s[40:41], vcc
	s_xor_b64 s[40:41], exec, s[40:41]
; %bb.3835:                             ;   in Loop: Header=BB12_2997 Depth=2
	v_bfe_u32 v4, v36, 16, 1
	v_add3_u32 v4, v36, v4, s46
                                        ; implicit-def: $vgpr36
; %bb.3836:                             ;   in Loop: Header=BB12_2997 Depth=2
	s_andn2_saveexec_b64 s[40:41], s[40:41]
	s_cbranch_execz .LBB12_3838
; %bb.3837:                             ;   in Loop: Header=BB12_2997 Depth=2
	buffer_load_dword v37, off, s[0:3], s33 offset:128 ; 4-byte Folded Reload
	buffer_load_dword v38, off, s[0:3], s33 offset:132 ; 4-byte Folded Reload
	v_or_b32_e32 v4, 0x10000, v36
	s_waitcnt vmcnt(1)
	v_cmp_eq_u32_sdwa vcc, v36, v37 src0_sel:WORD_0 src1_sel:DWORD
	v_cndmask_b32_e32 v4, v4, v36, vcc
.LBB12_3838:                            ;   in Loop: Header=BB12_2997 Depth=2
	s_or_b64 exec, exec, s[40:41]
	buffer_load_dword v36, off, s[0:3], s33 offset:200 ; 4-byte Folded Reload
	buffer_load_dword v37, off, s[0:3], s33 offset:204 ; 4-byte Folded Reload
	;; [unrolled: 1-line block ×4, first 2 shown]
	v_and_b32_e32 v5, 0xffff0000, v5
	s_waitcnt vmcnt(1)
	v_lshlrev_b32_e32 v36, 16, v38
	v_add_f32_e32 v36, v36, v5
	v_and_b32_e32 v5, 0x7f800000, v36
	v_cmp_ne_u32_e32 vcc, s97, v5
                                        ; implicit-def: $vgpr5
	s_and_saveexec_b64 s[40:41], vcc
	s_xor_b64 s[40:41], exec, s[40:41]
; %bb.3839:                             ;   in Loop: Header=BB12_2997 Depth=2
	v_bfe_u32 v5, v36, 16, 1
	v_add3_u32 v5, v36, v5, s46
                                        ; implicit-def: $vgpr36
; %bb.3840:                             ;   in Loop: Header=BB12_2997 Depth=2
	s_andn2_saveexec_b64 s[40:41], s[40:41]
	s_cbranch_execz .LBB12_3842
; %bb.3841:                             ;   in Loop: Header=BB12_2997 Depth=2
	buffer_load_dword v37, off, s[0:3], s33 offset:128 ; 4-byte Folded Reload
	buffer_load_dword v38, off, s[0:3], s33 offset:132 ; 4-byte Folded Reload
	v_or_b32_e32 v5, 0x10000, v36
	s_waitcnt vmcnt(1)
	v_cmp_eq_u32_sdwa vcc, v36, v37 src0_sel:WORD_0 src1_sel:DWORD
	v_cndmask_b32_e32 v5, v5, v36, vcc
.LBB12_3842:                            ;   in Loop: Header=BB12_2997 Depth=2
	s_or_b64 exec, exec, s[40:41]
	buffer_load_dword v36, off, s[0:3], s33 offset:200 ; 4-byte Folded Reload
	buffer_load_dword v37, off, s[0:3], s33 offset:204 ; 4-byte Folded Reload
	;; [unrolled: 1-line block ×4, first 2 shown]
	v_and_b32_e32 v2, 0xffff0000, v2
	s_waitcnt vmcnt(1)
	v_and_b32_e32 v36, 0xffff0000, v38
	v_add_f32_e32 v36, v36, v2
	v_and_b32_e32 v2, 0x7f800000, v36
	v_cmp_ne_u32_e32 vcc, s97, v2
                                        ; implicit-def: $vgpr2
	s_and_saveexec_b64 s[40:41], vcc
	s_xor_b64 s[40:41], exec, s[40:41]
; %bb.3843:                             ;   in Loop: Header=BB12_2997 Depth=2
	v_bfe_u32 v2, v36, 16, 1
	v_add3_u32 v2, v36, v2, s46
                                        ; implicit-def: $vgpr36
; %bb.3844:                             ;   in Loop: Header=BB12_2997 Depth=2
	s_andn2_saveexec_b64 s[40:41], s[40:41]
	s_cbranch_execz .LBB12_3846
; %bb.3845:                             ;   in Loop: Header=BB12_2997 Depth=2
	buffer_load_dword v37, off, s[0:3], s33 offset:128 ; 4-byte Folded Reload
	buffer_load_dword v38, off, s[0:3], s33 offset:132 ; 4-byte Folded Reload
	v_or_b32_e32 v2, 0x10000, v36
	s_waitcnt vmcnt(1)
	v_cmp_eq_u32_sdwa vcc, v36, v37 src0_sel:WORD_0 src1_sel:DWORD
	v_cndmask_b32_e32 v2, v2, v36, vcc
.LBB12_3846:                            ;   in Loop: Header=BB12_2997 Depth=2
	s_or_b64 exec, exec, s[40:41]
	buffer_load_dword v36, off, s[0:3], s33 offset:200 ; 4-byte Folded Reload
	buffer_load_dword v37, off, s[0:3], s33 offset:204 ; 4-byte Folded Reload
	;; [unrolled: 1-line block ×4, first 2 shown]
	v_and_b32_e32 v3, 0xffff0000, v3
	s_waitcnt vmcnt(0)
	v_lshlrev_b32_e32 v36, 16, v39
	v_add_f32_e32 v36, v36, v3
	v_and_b32_e32 v3, 0x7f800000, v36
	v_cmp_ne_u32_e32 vcc, s97, v3
                                        ; implicit-def: $vgpr3
	s_and_saveexec_b64 s[40:41], vcc
	s_xor_b64 s[40:41], exec, s[40:41]
; %bb.3847:                             ;   in Loop: Header=BB12_2997 Depth=2
	v_bfe_u32 v3, v36, 16, 1
	v_add3_u32 v3, v36, v3, s46
                                        ; implicit-def: $vgpr36
; %bb.3848:                             ;   in Loop: Header=BB12_2997 Depth=2
	s_andn2_saveexec_b64 s[40:41], s[40:41]
	s_cbranch_execz .LBB12_3850
; %bb.3849:                             ;   in Loop: Header=BB12_2997 Depth=2
	buffer_load_dword v37, off, s[0:3], s33 offset:128 ; 4-byte Folded Reload
	buffer_load_dword v38, off, s[0:3], s33 offset:132 ; 4-byte Folded Reload
	v_or_b32_e32 v3, 0x10000, v36
	s_waitcnt vmcnt(1)
	v_cmp_eq_u32_sdwa vcc, v36, v37 src0_sel:WORD_0 src1_sel:DWORD
	v_cndmask_b32_e32 v3, v3, v36, vcc
.LBB12_3850:                            ;   in Loop: Header=BB12_2997 Depth=2
	s_or_b64 exec, exec, s[40:41]
	buffer_load_dword v36, off, s[0:3], s33 offset:200 ; 4-byte Folded Reload
	buffer_load_dword v37, off, s[0:3], s33 offset:204 ; 4-byte Folded Reload
	;; [unrolled: 1-line block ×4, first 2 shown]
	v_and_b32_e32 v1, 0xffff0000, v1
	s_waitcnt vmcnt(0)
	v_and_b32_e32 v36, 0xffff0000, v39
	v_add_f32_e32 v36, v36, v1
	v_and_b32_e32 v1, 0x7f800000, v36
	v_cmp_ne_u32_e32 vcc, s97, v1
                                        ; implicit-def: $vgpr1
	s_and_saveexec_b64 s[40:41], vcc
	s_xor_b64 s[40:41], exec, s[40:41]
; %bb.3851:                             ;   in Loop: Header=BB12_2997 Depth=2
	v_bfe_u32 v1, v36, 16, 1
	v_add3_u32 v1, v36, v1, s46
                                        ; implicit-def: $vgpr36
; %bb.3852:                             ;   in Loop: Header=BB12_2997 Depth=2
	s_andn2_saveexec_b64 s[40:41], s[40:41]
	s_cbranch_execz .LBB12_3854
; %bb.3853:                             ;   in Loop: Header=BB12_2997 Depth=2
	buffer_load_dword v37, off, s[0:3], s33 offset:128 ; 4-byte Folded Reload
	buffer_load_dword v38, off, s[0:3], s33 offset:132 ; 4-byte Folded Reload
	v_or_b32_e32 v1, 0x10000, v36
	s_waitcnt vmcnt(1)
	v_cmp_eq_u32_sdwa vcc, v36, v37 src0_sel:WORD_0 src1_sel:DWORD
	v_cndmask_b32_e32 v1, v1, v36, vcc
.LBB12_3854:                            ;   in Loop: Header=BB12_2997 Depth=2
	s_or_b64 exec, exec, s[40:41]
	v_lshrrev_b32_e32 v19, 16, v19
	v_and_or_b32 v37, v12, s47, v19
	v_lshrrev_b32_e32 v12, 16, v21
	v_and_or_b32 v36, v18, s47, v12
	v_lshrrev_b32_e32 v12, 16, v13
	s_waitcnt vmcnt(0)
	v_and_or_b32 v38, v10, s47, v12
	v_lshrrev_b32_e32 v10, 16, v11
	v_and_or_b32 v39, v8, s47, v10
	v_lshrrev_b32_e32 v8, 16, v31
	;; [unrolled: 2-line block ×4, first 2 shown]
	v_lshrrev_b32_e32 v0, 16, v0
	v_and_or_b32 v12, v22, s47, v8
	v_lshrrev_b32_e32 v8, 16, v23
	v_and_or_b32 v18, v24, s47, v0
	;; [unrolled: 2-line block ×3, first 2 shown]
	v_and_or_b32 v20, v34, s47, v0
	v_lshrrev_b32_e32 v0, 16, v35
	v_and_or_b32 v21, v32, s47, v0
	v_lshrrev_b32_e32 v0, 16, v7
	;; [unrolled: 2-line block ×3, first 2 shown]
	v_lshrrev_b32_e32 v8, 16, v25
	v_and_or_b32 v6, v6, s47, v0
	v_lshrrev_b32_e32 v0, 16, v5
	v_and_or_b32 v19, v26, s47, v8
	v_and_or_b32 v8, v2, s47, v0
	v_lshrrev_b32_e32 v0, 16, v3
	v_and_or_b32 v9, v1, s47, v0
	global_store_dwordx4 v[16:17], v[18:21], off glc slc
	global_store_dwordx4 v[16:17], v[10:13], off offset:1024 glc slc
	global_store_dwordx4 v[16:17], v[36:39], off offset:2048 glc slc
	;; [unrolled: 1-line block ×3, first 2 shown]
	global_store_dwordx4 v[14:15], v[18:21], off glc slc
	global_store_dwordx4 v[14:15], v[10:13], off offset:1024 glc slc
	global_store_dwordx4 v[14:15], v[36:39], off offset:2048 glc slc
	;; [unrolled: 1-line block ×3, first 2 shown]
.LBB12_3855:                            ;   in Loop: Header=BB12_2997 Depth=2
	s_or_b64 exec, exec, s[28:29]
	buffer_load_dword v1, off, s[0:3], s33 offset:612 ; 4-byte Folded Reload
	s_waitcnt vmcnt(1)
	v_lshlrev_b32_e32 v0, 12, v54
                                        ; implicit-def: $vgpr8
                                        ; implicit-def: $vgpr5
                                        ; implicit-def: $vgpr2
                                        ; implicit-def: $vgpr9
	s_waitcnt vmcnt(0)
	v_cmp_ne_u32_e32 vcc, v1, v0
	s_and_saveexec_b64 s[92:93], vcc
	s_cbranch_execz .LBB12_4071
; %bb.3856:                             ;   in Loop: Header=BB12_2997 Depth=2
	buffer_load_dword v1, off, s[0:3], s33 offset:612 ; 4-byte Folded Reload
	s_mov_b64 s[40:41], 0
	buffer_load_dword v2, off, s[0:3], s33 offset:580 ; 4-byte Folded Reload
	s_waitcnt vmcnt(1)
	v_sub_u32_e32 v3, v1, v0
	buffer_load_dword v1, off, s[0:3], s33 offset:300 ; 4-byte Folded Reload
	s_waitcnt vmcnt(0)
	v_lshlrev_b32_e32 v1, 6, v1
	v_sub_u32_e32 v1, v2, v1
	v_ashrrev_i32_e32 v2, 31, v1
	v_lshrrev_b32_e32 v2, 26, v2
	v_add_u32_e32 v2, v1, v2
	v_ashrrev_i32_e32 v4, 6, v2
	v_and_b32_e32 v2, 0xffffffc0, v2
	v_sub_u32_e32 v1, v1, v2
	v_lshlrev_b32_e32 v2, 4, v1
	v_lshl_add_u32 v5, v4, 10, v2
	v_add_u32_e32 v2, v5, v0
	v_sub_u32_e32 v13, v3, v5
	v_ashrrev_i32_e32 v5, 31, v3
	v_lshrrev_b32_e32 v5, 22, v5
	v_add_u32_e32 v5, v3, v5
	v_and_b32_e32 v6, 0xfffffc00, v5
	v_sub_u32_e32 v7, v3, v6
	v_ashrrev_i32_e32 v8, 10, v5
	v_cmp_lt_i32_e64 s[28:29], 15, v7
	v_addc_co_u32_e64 v5, vcc, 0, v8, s[28:29]
	buffer_load_dword v8, off, s[0:3], s33 offset:620 ; 4-byte Folded Reload
	buffer_load_dword v9, off, s[0:3], s33 offset:624 ; 4-byte Folded Reload
	v_ashrrev_i32_e32 v3, 31, v2
	v_sub_u32_e32 v11, v5, v4
	s_waitcnt vmcnt(1)
	v_add_co_u32_e32 v8, vcc, v2, v8
	s_waitcnt vmcnt(0)
	v_addc_co_u32_e32 v9, vcc, v3, v9, vcc
	v_add_co_u32_e32 v10, vcc, v2, v52
	v_addc_co_u32_e32 v12, vcc, v3, v53, vcc
	v_cmp_lt_i32_e32 vcc, 15, v13
	s_and_saveexec_b64 s[94:95], vcc
	s_cbranch_execz .LBB12_4001
; %bb.3857:                             ;   in Loop: Header=BB12_2997 Depth=2
	s_trap 2
	ds_read_b64 v[4:5], v0
	buffer_load_dword v14, off, s[0:3], s33 offset:636 ; 4-byte Folded Reload
	buffer_load_dword v15, off, s[0:3], s33 offset:640 ; 4-byte Folded Reload
	s_mov_b64 s[36:37], 0
	s_mov_b64 s[30:31], 0
                                        ; implicit-def: $sgpr34_sgpr35
	s_waitcnt vmcnt(1)
	v_add_co_u32_e32 v14, vcc, v2, v14
	s_waitcnt vmcnt(0)
	v_addc_co_u32_e32 v15, vcc, v3, v15, vcc
	s_waitcnt lgkmcnt(0)
	v_add_co_u32_e32 v16, vcc, v4, v2
	ds_read_b32 v2, v0
	v_addc_co_u32_e32 v17, vcc, v5, v3, vcc
	s_waitcnt lgkmcnt(0)
	v_lshlrev_b32_e32 v18, 16, v2
	s_branch .LBB12_3859
.LBB12_3858:                            ;   in Loop: Header=BB12_3859 Depth=3
	s_or_b64 exec, exec, s[40:41]
	v_cmp_gt_i32_e32 vcc, 16, v13
	s_or_b64 s[30:31], vcc, s[30:31]
	s_andn2_b64 s[40:41], s[34:35], exec
	s_and_b64 s[42:43], s[36:37], exec
	s_or_b64 s[34:35], s[40:41], s[42:43]
	s_andn2_b64 exec, exec, s[30:31]
	s_cbranch_execz .LBB12_4000
.LBB12_3859:                            ;   Parent Loop BB12_47 Depth=1
                                        ;     Parent Loop BB12_2997 Depth=2
                                        ; =>    This Loop Header: Depth=3
                                        ;         Child Loop BB12_3860 Depth 4
                                        ;         Child Loop BB12_3927 Depth 4
                                        ;         Child Loop BB12_3931 Depth 4
                                        ;         Child Loop BB12_3997 Depth 4
	s_lshr_b32 s9, s33, 6
	s_add_i32 s9, s9, 64
	s_mov_b64 s[42:43], -1
	s_mov_b64 s[38:39], 0
.LBB12_3860:                            ;   Parent Loop BB12_47 Depth=1
                                        ;     Parent Loop BB12_2997 Depth=2
                                        ;       Parent Loop BB12_3859 Depth=3
                                        ; =>      This Inner Loop Header: Depth=4
	s_cmp_eq_u32 s38, 1
	s_cselect_b64 s[40:41], -1, 0
	v_cndmask_b32_e64 v20, v15, v17, s[40:41]
	v_cndmask_b32_e64 v19, v14, v16, s[40:41]
	global_load_dwordx4 v[2:5], v[19:20], off glc slc
	v_mov_b32_e32 v21, s9
	s_cmp_eq_u32 s38, 0
	s_mov_b64 s[38:39], 1
	s_mov_b32 s9, s83
	s_waitcnt vmcnt(0)
	buffer_store_dword v3, v21, s[0:3], 0 offen offset:4
	buffer_store_dword v2, v21, s[0:3], 0 offen
	buffer_store_dword v5, v21, s[0:3], 0 offen offset:12
	buffer_store_dword v4, v21, s[0:3], 0 offen offset:8
	v_add_co_u32_e32 v2, vcc, s55, v19
	v_addc_co_u32_e32 v3, vcc, 0, v20, vcc
	s_cselect_b64 vcc, -1, 0
	v_cndmask_b32_e32 v15, v15, v3, vcc
	v_cndmask_b32_e32 v14, v14, v2, vcc
	v_cndmask_b32_e64 v17, v17, v3, s[40:41]
	v_cndmask_b32_e64 v16, v16, v2, s[40:41]
	s_and_b64 vcc, exec, s[42:43]
	s_mov_b64 s[42:43], 0
	s_cbranch_vccnz .LBB12_3860
; %bb.3861:                             ;   in Loop: Header=BB12_3859 Depth=3
	s_and_saveexec_b64 s[38:39], s[36:37]
	s_cbranch_execz .LBB12_3929
; %bb.3862:                             ;   in Loop: Header=BB12_3859 Depth=3
	buffer_load_dword v19, off, s[0:3], s33 offset:96
	buffer_load_dword v4, off, s[0:3], s33 offset:100
	;; [unrolled: 1-line block ×4, first 2 shown]
	s_waitcnt vmcnt(3)
	v_lshlrev_b32_e32 v5, 16, v19
	v_mul_f32_e32 v20, v18, v5
	v_and_b32_e32 v5, 0x7f800000, v20
	v_cmp_ne_u32_e32 vcc, s97, v5
                                        ; implicit-def: $vgpr5
	s_and_saveexec_b64 s[40:41], vcc
	s_xor_b64 s[40:41], exec, s[40:41]
; %bb.3863:                             ;   in Loop: Header=BB12_3859 Depth=3
	v_bfe_u32 v5, v20, 16, 1
	v_add3_u32 v5, v20, v5, s46
                                        ; implicit-def: $vgpr20
; %bb.3864:                             ;   in Loop: Header=BB12_3859 Depth=3
	s_andn2_saveexec_b64 s[40:41], s[40:41]
	s_cbranch_execz .LBB12_3866
; %bb.3865:                             ;   in Loop: Header=BB12_3859 Depth=3
	buffer_load_dword v21, off, s[0:3], s33 offset:128 ; 4-byte Folded Reload
	buffer_load_dword v22, off, s[0:3], s33 offset:132 ; 4-byte Folded Reload
	v_or_b32_e32 v5, 0x10000, v20
	s_waitcnt vmcnt(1)
	v_cmp_eq_u32_sdwa vcc, v20, v21 src0_sel:WORD_0 src1_sel:DWORD
	v_cndmask_b32_e32 v5, v5, v20, vcc
.LBB12_3866:                            ;   in Loop: Header=BB12_3859 Depth=3
	s_or_b64 exec, exec, s[40:41]
	v_and_b32_e32 v19, 0xffff0000, v19
	v_mul_f32_e32 v19, v18, v19
	v_and_b32_e32 v20, 0x7f800000, v19
	v_cmp_ne_u32_e32 vcc, s97, v20
                                        ; implicit-def: $vgpr22
	s_and_saveexec_b64 s[40:41], vcc
	s_xor_b64 s[40:41], exec, s[40:41]
	s_cbranch_execz .LBB12_3868
; %bb.3867:                             ;   in Loop: Header=BB12_3859 Depth=3
	v_bfe_u32 v20, v19, 16, 1
	s_waitcnt vmcnt(0)
	v_add3_u32 v22, v19, v20, s46
                                        ; implicit-def: $vgpr19
.LBB12_3868:                            ;   in Loop: Header=BB12_3859 Depth=3
	s_andn2_saveexec_b64 s[40:41], s[40:41]
	s_cbranch_execz .LBB12_3870
; %bb.3869:                             ;   in Loop: Header=BB12_3859 Depth=3
	buffer_load_dword v21, off, s[0:3], s33 offset:128 ; 4-byte Folded Reload
	buffer_load_dword v22, off, s[0:3], s33 offset:132 ; 4-byte Folded Reload
	v_or_b32_e32 v20, 0x10000, v19
	s_waitcnt vmcnt(1)
	v_cmp_eq_u32_sdwa vcc, v19, v21 src0_sel:WORD_0 src1_sel:DWORD
	s_waitcnt vmcnt(0)
	v_cndmask_b32_e32 v22, v20, v19, vcc
.LBB12_3870:                            ;   in Loop: Header=BB12_3859 Depth=3
	s_or_b64 exec, exec, s[40:41]
	s_waitcnt vmcnt(2)
	v_lshlrev_b32_e32 v19, 16, v4
	v_mul_f32_e32 v19, v18, v19
	v_and_b32_e32 v20, 0x7f800000, v19
	v_cmp_ne_u32_e32 vcc, s97, v20
                                        ; implicit-def: $vgpr21
	s_and_saveexec_b64 s[40:41], vcc
	s_xor_b64 s[40:41], exec, s[40:41]
; %bb.3871:                             ;   in Loop: Header=BB12_3859 Depth=3
	v_bfe_u32 v20, v19, 16, 1
	v_add3_u32 v21, v19, v20, s46
                                        ; implicit-def: $vgpr19
; %bb.3872:                             ;   in Loop: Header=BB12_3859 Depth=3
	s_andn2_saveexec_b64 s[40:41], s[40:41]
	s_cbranch_execz .LBB12_3874
; %bb.3873:                             ;   in Loop: Header=BB12_3859 Depth=3
	buffer_load_dword v23, off, s[0:3], s33 offset:128 ; 4-byte Folded Reload
	buffer_load_dword v24, off, s[0:3], s33 offset:132 ; 4-byte Folded Reload
	v_or_b32_e32 v20, 0x10000, v19
	s_waitcnt vmcnt(1)
	v_cmp_eq_u32_sdwa vcc, v19, v23 src0_sel:WORD_0 src1_sel:DWORD
	v_cndmask_b32_e32 v21, v20, v19, vcc
.LBB12_3874:                            ;   in Loop: Header=BB12_3859 Depth=3
	s_or_b64 exec, exec, s[40:41]
	v_and_b32_e32 v4, 0xffff0000, v4
	v_mul_f32_e32 v4, v18, v4
	v_and_b32_e32 v19, 0x7f800000, v4
	v_cmp_ne_u32_e32 vcc, s97, v19
                                        ; implicit-def: $vgpr19
	s_and_saveexec_b64 s[40:41], vcc
	s_xor_b64 s[40:41], exec, s[40:41]
; %bb.3875:                             ;   in Loop: Header=BB12_3859 Depth=3
	v_bfe_u32 v19, v4, 16, 1
	v_add3_u32 v19, v4, v19, s46
                                        ; implicit-def: $vgpr4
; %bb.3876:                             ;   in Loop: Header=BB12_3859 Depth=3
	s_andn2_saveexec_b64 s[40:41], s[40:41]
	s_cbranch_execz .LBB12_3878
; %bb.3877:                             ;   in Loop: Header=BB12_3859 Depth=3
	buffer_load_dword v23, off, s[0:3], s33 offset:128 ; 4-byte Folded Reload
	buffer_load_dword v24, off, s[0:3], s33 offset:132 ; 4-byte Folded Reload
	v_or_b32_e32 v19, 0x10000, v4
	s_waitcnt vmcnt(1)
	v_cmp_eq_u32_sdwa vcc, v4, v23 src0_sel:WORD_0 src1_sel:DWORD
	v_cndmask_b32_e32 v19, v19, v4, vcc
.LBB12_3878:                            ;   in Loop: Header=BB12_3859 Depth=3
	s_or_b64 exec, exec, s[40:41]
	s_waitcnt vmcnt(1)
	v_lshlrev_b32_e32 v4, 16, v3
	v_mul_f32_e32 v4, v18, v4
	v_and_b32_e32 v20, 0x7f800000, v4
	v_cmp_ne_u32_e32 vcc, s97, v20
                                        ; implicit-def: $vgpr20
	s_and_saveexec_b64 s[40:41], vcc
	s_xor_b64 s[40:41], exec, s[40:41]
; %bb.3879:                             ;   in Loop: Header=BB12_3859 Depth=3
	v_bfe_u32 v20, v4, 16, 1
	v_add3_u32 v20, v4, v20, s46
                                        ; implicit-def: $vgpr4
; %bb.3880:                             ;   in Loop: Header=BB12_3859 Depth=3
	s_andn2_saveexec_b64 s[40:41], s[40:41]
	s_cbranch_execz .LBB12_3882
; %bb.3881:                             ;   in Loop: Header=BB12_3859 Depth=3
	buffer_load_dword v23, off, s[0:3], s33 offset:128 ; 4-byte Folded Reload
	buffer_load_dword v24, off, s[0:3], s33 offset:132 ; 4-byte Folded Reload
	v_or_b32_e32 v20, 0x10000, v4
	s_waitcnt vmcnt(1)
	v_cmp_eq_u32_sdwa vcc, v4, v23 src0_sel:WORD_0 src1_sel:DWORD
	v_cndmask_b32_e32 v20, v20, v4, vcc
.LBB12_3882:                            ;   in Loop: Header=BB12_3859 Depth=3
	s_or_b64 exec, exec, s[40:41]
	v_and_b32_e32 v3, 0xffff0000, v3
	v_mul_f32_e32 v4, v18, v3
	v_and_b32_e32 v3, 0x7f800000, v4
	v_cmp_ne_u32_e32 vcc, s97, v3
                                        ; implicit-def: $vgpr3
	s_and_saveexec_b64 s[40:41], vcc
	s_xor_b64 s[40:41], exec, s[40:41]
; %bb.3883:                             ;   in Loop: Header=BB12_3859 Depth=3
	v_bfe_u32 v3, v4, 16, 1
	v_add3_u32 v3, v4, v3, s46
                                        ; implicit-def: $vgpr4
; %bb.3884:                             ;   in Loop: Header=BB12_3859 Depth=3
	s_andn2_saveexec_b64 s[40:41], s[40:41]
	s_cbranch_execz .LBB12_3886
; %bb.3885:                             ;   in Loop: Header=BB12_3859 Depth=3
	buffer_load_dword v23, off, s[0:3], s33 offset:128 ; 4-byte Folded Reload
	buffer_load_dword v24, off, s[0:3], s33 offset:132 ; 4-byte Folded Reload
	v_or_b32_e32 v3, 0x10000, v4
	s_waitcnt vmcnt(1)
	v_cmp_eq_u32_sdwa vcc, v4, v23 src0_sel:WORD_0 src1_sel:DWORD
	v_cndmask_b32_e32 v3, v3, v4, vcc
.LBB12_3886:                            ;   in Loop: Header=BB12_3859 Depth=3
	s_or_b64 exec, exec, s[40:41]
	s_waitcnt vmcnt(0)
	v_lshlrev_b32_e32 v4, 16, v2
	v_mul_f32_e32 v23, v18, v4
	v_and_b32_e32 v4, 0x7f800000, v23
	v_cmp_ne_u32_e32 vcc, s97, v4
                                        ; implicit-def: $vgpr4
	s_and_saveexec_b64 s[40:41], vcc
	s_xor_b64 s[40:41], exec, s[40:41]
; %bb.3887:                             ;   in Loop: Header=BB12_3859 Depth=3
	v_bfe_u32 v4, v23, 16, 1
	v_add3_u32 v4, v23, v4, s46
                                        ; implicit-def: $vgpr23
; %bb.3888:                             ;   in Loop: Header=BB12_3859 Depth=3
	s_andn2_saveexec_b64 s[40:41], s[40:41]
	s_cbranch_execz .LBB12_3890
; %bb.3889:                             ;   in Loop: Header=BB12_3859 Depth=3
	buffer_load_dword v24, off, s[0:3], s33 offset:128 ; 4-byte Folded Reload
	buffer_load_dword v25, off, s[0:3], s33 offset:132 ; 4-byte Folded Reload
	v_or_b32_e32 v4, 0x10000, v23
	s_waitcnt vmcnt(1)
	v_cmp_eq_u32_sdwa vcc, v23, v24 src0_sel:WORD_0 src1_sel:DWORD
	v_cndmask_b32_e32 v4, v4, v23, vcc
.LBB12_3890:                            ;   in Loop: Header=BB12_3859 Depth=3
	s_or_b64 exec, exec, s[40:41]
	v_and_b32_e32 v2, 0xffff0000, v2
	v_mul_f32_e32 v23, v18, v2
	v_and_b32_e32 v2, 0x7f800000, v23
	v_cmp_ne_u32_e32 vcc, s97, v2
                                        ; implicit-def: $vgpr2
	s_and_saveexec_b64 s[40:41], vcc
	s_xor_b64 s[40:41], exec, s[40:41]
; %bb.3891:                             ;   in Loop: Header=BB12_3859 Depth=3
	v_bfe_u32 v2, v23, 16, 1
	v_add3_u32 v2, v23, v2, s46
                                        ; implicit-def: $vgpr23
; %bb.3892:                             ;   in Loop: Header=BB12_3859 Depth=3
	s_andn2_saveexec_b64 s[40:41], s[40:41]
	s_cbranch_execz .LBB12_3894
; %bb.3893:                             ;   in Loop: Header=BB12_3859 Depth=3
	buffer_load_dword v24, off, s[0:3], s33 offset:128 ; 4-byte Folded Reload
	buffer_load_dword v25, off, s[0:3], s33 offset:132 ; 4-byte Folded Reload
	v_or_b32_e32 v2, 0x10000, v23
	s_waitcnt vmcnt(1)
	v_cmp_eq_u32_sdwa vcc, v23, v24 src0_sel:WORD_0 src1_sel:DWORD
	v_cndmask_b32_e32 v2, v2, v23, vcc
.LBB12_3894:                            ;   in Loop: Header=BB12_3859 Depth=3
	s_or_b64 exec, exec, s[40:41]
	buffer_load_dword v26, off, s[0:3], s33 offset:112
	buffer_load_dword v25, off, s[0:3], s33 offset:116
	;; [unrolled: 1-line block ×4, first 2 shown]
	v_and_b32_e32 v5, 0xffff0000, v5
	s_waitcnt vmcnt(3)
	v_lshlrev_b32_e32 v27, 16, v26
	v_add_f32_e32 v27, v5, v27
	v_and_b32_e32 v5, 0x7f800000, v27
	v_cmp_ne_u32_e32 vcc, s97, v5
                                        ; implicit-def: $vgpr5
	s_and_saveexec_b64 s[40:41], vcc
	s_xor_b64 s[40:41], exec, s[40:41]
; %bb.3895:                             ;   in Loop: Header=BB12_3859 Depth=3
	v_bfe_u32 v5, v27, 16, 1
	v_add3_u32 v5, v27, v5, s46
                                        ; implicit-def: $vgpr27
; %bb.3896:                             ;   in Loop: Header=BB12_3859 Depth=3
	s_andn2_saveexec_b64 s[40:41], s[40:41]
	s_cbranch_execz .LBB12_3898
; %bb.3897:                             ;   in Loop: Header=BB12_3859 Depth=3
	buffer_load_dword v28, off, s[0:3], s33 offset:128 ; 4-byte Folded Reload
	buffer_load_dword v29, off, s[0:3], s33 offset:132 ; 4-byte Folded Reload
	v_or_b32_e32 v5, 0x10000, v27
	s_waitcnt vmcnt(1)
	v_cmp_eq_u32_sdwa vcc, v27, v28 src0_sel:WORD_0 src1_sel:DWORD
	v_cndmask_b32_e32 v5, v5, v27, vcc
.LBB12_3898:                            ;   in Loop: Header=BB12_3859 Depth=3
	s_or_b64 exec, exec, s[40:41]
	v_and_b32_e32 v22, 0xffff0000, v22
	v_and_b32_e32 v26, 0xffff0000, v26
	v_add_f32_e32 v26, v22, v26
	v_and_b32_e32 v22, 0x7f800000, v26
	v_cmp_ne_u32_e32 vcc, s97, v22
                                        ; implicit-def: $vgpr22
	s_and_saveexec_b64 s[40:41], vcc
	s_xor_b64 s[40:41], exec, s[40:41]
; %bb.3899:                             ;   in Loop: Header=BB12_3859 Depth=3
	v_bfe_u32 v22, v26, 16, 1
	v_add3_u32 v22, v26, v22, s46
                                        ; implicit-def: $vgpr26
; %bb.3900:                             ;   in Loop: Header=BB12_3859 Depth=3
	s_andn2_saveexec_b64 s[40:41], s[40:41]
	s_cbranch_execz .LBB12_3902
; %bb.3901:                             ;   in Loop: Header=BB12_3859 Depth=3
	buffer_load_dword v27, off, s[0:3], s33 offset:128 ; 4-byte Folded Reload
	buffer_load_dword v28, off, s[0:3], s33 offset:132 ; 4-byte Folded Reload
	v_or_b32_e32 v22, 0x10000, v26
	s_waitcnt vmcnt(1)
	v_cmp_eq_u32_sdwa vcc, v26, v27 src0_sel:WORD_0 src1_sel:DWORD
	v_cndmask_b32_e32 v22, v22, v26, vcc
.LBB12_3902:                            ;   in Loop: Header=BB12_3859 Depth=3
	s_or_b64 exec, exec, s[40:41]
	v_and_b32_e32 v21, 0xffff0000, v21
	s_waitcnt vmcnt(2)
	v_lshlrev_b32_e32 v26, 16, v25
	v_add_f32_e32 v26, v21, v26
	v_and_b32_e32 v21, 0x7f800000, v26
	v_cmp_ne_u32_e32 vcc, s97, v21
                                        ; implicit-def: $vgpr21
	s_and_saveexec_b64 s[40:41], vcc
	s_xor_b64 s[40:41], exec, s[40:41]
; %bb.3903:                             ;   in Loop: Header=BB12_3859 Depth=3
	v_bfe_u32 v21, v26, 16, 1
	v_add3_u32 v21, v26, v21, s46
                                        ; implicit-def: $vgpr26
; %bb.3904:                             ;   in Loop: Header=BB12_3859 Depth=3
	s_andn2_saveexec_b64 s[40:41], s[40:41]
	s_cbranch_execz .LBB12_3906
; %bb.3905:                             ;   in Loop: Header=BB12_3859 Depth=3
	buffer_load_dword v27, off, s[0:3], s33 offset:128 ; 4-byte Folded Reload
	buffer_load_dword v28, off, s[0:3], s33 offset:132 ; 4-byte Folded Reload
	v_or_b32_e32 v21, 0x10000, v26
	s_waitcnt vmcnt(1)
	v_cmp_eq_u32_sdwa vcc, v26, v27 src0_sel:WORD_0 src1_sel:DWORD
	v_cndmask_b32_e32 v21, v21, v26, vcc
.LBB12_3906:                            ;   in Loop: Header=BB12_3859 Depth=3
	s_or_b64 exec, exec, s[40:41]
	v_and_b32_e32 v25, 0xffff0000, v25
	v_and_b32_e32 v19, 0xffff0000, v19
	v_add_f32_e32 v25, v19, v25
	v_and_b32_e32 v19, 0x7f800000, v25
	v_cmp_ne_u32_e32 vcc, s97, v19
                                        ; implicit-def: $vgpr19
	s_and_saveexec_b64 s[40:41], vcc
	s_xor_b64 s[40:41], exec, s[40:41]
; %bb.3907:                             ;   in Loop: Header=BB12_3859 Depth=3
	v_bfe_u32 v19, v25, 16, 1
	v_add3_u32 v19, v25, v19, s46
                                        ; implicit-def: $vgpr25
; %bb.3908:                             ;   in Loop: Header=BB12_3859 Depth=3
	s_andn2_saveexec_b64 s[40:41], s[40:41]
	s_cbranch_execz .LBB12_3910
; %bb.3909:                             ;   in Loop: Header=BB12_3859 Depth=3
	buffer_load_dword v26, off, s[0:3], s33 offset:128 ; 4-byte Folded Reload
	buffer_load_dword v27, off, s[0:3], s33 offset:132 ; 4-byte Folded Reload
	v_or_b32_e32 v19, 0x10000, v25
	s_waitcnt vmcnt(1)
	v_cmp_eq_u32_sdwa vcc, v25, v26 src0_sel:WORD_0 src1_sel:DWORD
	v_cndmask_b32_e32 v19, v19, v25, vcc
.LBB12_3910:                            ;   in Loop: Header=BB12_3859 Depth=3
	s_or_b64 exec, exec, s[40:41]
	v_and_b32_e32 v20, 0xffff0000, v20
	s_waitcnt vmcnt(1)
	v_lshlrev_b32_e32 v25, 16, v24
	v_add_f32_e32 v25, v20, v25
	v_and_b32_e32 v20, 0x7f800000, v25
	v_cmp_ne_u32_e32 vcc, s97, v20
                                        ; implicit-def: $vgpr20
	s_and_saveexec_b64 s[40:41], vcc
	s_xor_b64 s[40:41], exec, s[40:41]
; %bb.3911:                             ;   in Loop: Header=BB12_3859 Depth=3
	v_bfe_u32 v20, v25, 16, 1
	v_add3_u32 v20, v25, v20, s46
                                        ; implicit-def: $vgpr25
; %bb.3912:                             ;   in Loop: Header=BB12_3859 Depth=3
	s_andn2_saveexec_b64 s[40:41], s[40:41]
	s_cbranch_execz .LBB12_3914
; %bb.3913:                             ;   in Loop: Header=BB12_3859 Depth=3
	buffer_load_dword v26, off, s[0:3], s33 offset:128 ; 4-byte Folded Reload
	buffer_load_dword v27, off, s[0:3], s33 offset:132 ; 4-byte Folded Reload
	v_or_b32_e32 v20, 0x10000, v25
	s_waitcnt vmcnt(1)
	v_cmp_eq_u32_sdwa vcc, v25, v26 src0_sel:WORD_0 src1_sel:DWORD
	v_cndmask_b32_e32 v20, v20, v25, vcc
.LBB12_3914:                            ;   in Loop: Header=BB12_3859 Depth=3
	s_or_b64 exec, exec, s[40:41]
	v_and_b32_e32 v24, 0xffff0000, v24
	v_and_b32_e32 v3, 0xffff0000, v3
	v_add_f32_e32 v3, v3, v24
	v_and_b32_e32 v24, 0x7f800000, v3
	v_cmp_ne_u32_e32 vcc, s97, v24
                                        ; implicit-def: $vgpr24
	s_and_saveexec_b64 s[40:41], vcc
	s_xor_b64 s[40:41], exec, s[40:41]
; %bb.3915:                             ;   in Loop: Header=BB12_3859 Depth=3
	v_bfe_u32 v24, v3, 16, 1
	v_add3_u32 v24, v3, v24, s46
                                        ; implicit-def: $vgpr3
; %bb.3916:                             ;   in Loop: Header=BB12_3859 Depth=3
	s_andn2_saveexec_b64 s[40:41], s[40:41]
	s_cbranch_execz .LBB12_3918
; %bb.3917:                             ;   in Loop: Header=BB12_3859 Depth=3
	buffer_load_dword v25, off, s[0:3], s33 offset:128 ; 4-byte Folded Reload
	buffer_load_dword v26, off, s[0:3], s33 offset:132 ; 4-byte Folded Reload
	v_or_b32_e32 v24, 0x10000, v3
	s_waitcnt vmcnt(1)
	v_cmp_eq_u32_sdwa vcc, v3, v25 src0_sel:WORD_0 src1_sel:DWORD
	v_cndmask_b32_e32 v24, v24, v3, vcc
.LBB12_3918:                            ;   in Loop: Header=BB12_3859 Depth=3
	s_or_b64 exec, exec, s[40:41]
	v_and_b32_e32 v3, 0xffff0000, v4
	s_waitcnt vmcnt(0)
	v_lshlrev_b32_e32 v4, 16, v23
	v_add_f32_e32 v3, v3, v4
	v_and_b32_e32 v4, 0x7f800000, v3
	v_cmp_ne_u32_e32 vcc, s97, v4
                                        ; implicit-def: $vgpr25
	s_and_saveexec_b64 s[40:41], vcc
	s_xor_b64 s[40:41], exec, s[40:41]
; %bb.3919:                             ;   in Loop: Header=BB12_3859 Depth=3
	v_bfe_u32 v4, v3, 16, 1
	v_add3_u32 v25, v3, v4, s46
                                        ; implicit-def: $vgpr3
; %bb.3920:                             ;   in Loop: Header=BB12_3859 Depth=3
	s_andn2_saveexec_b64 s[40:41], s[40:41]
	s_cbranch_execz .LBB12_3922
; %bb.3921:                             ;   in Loop: Header=BB12_3859 Depth=3
	buffer_load_dword v25, off, s[0:3], s33 offset:128 ; 4-byte Folded Reload
	buffer_load_dword v26, off, s[0:3], s33 offset:132 ; 4-byte Folded Reload
	v_or_b32_e32 v4, 0x10000, v3
	s_waitcnt vmcnt(1)
	v_cmp_eq_u32_sdwa vcc, v3, v25 src0_sel:WORD_0 src1_sel:DWORD
	v_cndmask_b32_e32 v25, v4, v3, vcc
.LBB12_3922:                            ;   in Loop: Header=BB12_3859 Depth=3
	s_or_b64 exec, exec, s[40:41]
	v_and_b32_e32 v3, 0xffff0000, v23
	v_and_b32_e32 v2, 0xffff0000, v2
	v_add_f32_e32 v2, v2, v3
	v_and_b32_e32 v3, 0x7f800000, v2
	v_cmp_ne_u32_e32 vcc, s97, v3
                                        ; implicit-def: $vgpr23
	s_and_saveexec_b64 s[40:41], vcc
	s_xor_b64 s[40:41], exec, s[40:41]
; %bb.3923:                             ;   in Loop: Header=BB12_3859 Depth=3
	v_bfe_u32 v3, v2, 16, 1
	v_add3_u32 v23, v2, v3, s46
                                        ; implicit-def: $vgpr2
; %bb.3924:                             ;   in Loop: Header=BB12_3859 Depth=3
	s_andn2_saveexec_b64 s[40:41], s[40:41]
	s_cbranch_execz .LBB12_3926
; %bb.3925:                             ;   in Loop: Header=BB12_3859 Depth=3
	buffer_load_dword v26, off, s[0:3], s33 offset:128 ; 4-byte Folded Reload
	buffer_load_dword v27, off, s[0:3], s33 offset:132 ; 4-byte Folded Reload
	v_or_b32_e32 v3, 0x10000, v2
	s_waitcnt vmcnt(1)
	v_cmp_eq_u32_sdwa vcc, v2, v26 src0_sel:WORD_0 src1_sel:DWORD
	v_cndmask_b32_e32 v23, v3, v2, vcc
.LBB12_3926:                            ;   in Loop: Header=BB12_3859 Depth=3
	s_or_b64 exec, exec, s[40:41]
	v_lshrrev_b32_e32 v2, 16, v21
	v_and_or_b32 v3, v19, s47, v2
	v_lshrrev_b32_e32 v2, 16, v5
	v_lshrrev_b32_e32 v4, 16, v20
	;; [unrolled: 1-line block ×3, first 2 shown]
	v_and_or_b32 v2, v22, s47, v2
	v_and_or_b32 v4, v24, s47, v4
	;; [unrolled: 1-line block ×3, first 2 shown]
	s_mov_b64 s[48:49], 0
	s_mov_b64 s[36:37], -1
	buffer_store_dword v3, off, s[0:3], s33 offset:100
	buffer_store_dword v2, off, s[0:3], s33 offset:96
	;; [unrolled: 1-line block ×4, first 2 shown]
.LBB12_3927:                            ;   Parent Loop BB12_47 Depth=1
                                        ;     Parent Loop BB12_2997 Depth=2
                                        ;       Parent Loop BB12_3859 Depth=3
                                        ; =>      This Inner Loop Header: Depth=4
	s_cmp_eq_u32 s48, 1
	s_cselect_b64 s[40:41], -1, 0
	v_cndmask_b32_e64 v20, v9, v12, s[40:41]
	v_cndmask_b32_e64 v19, v8, v10, s[40:41]
	global_store_dwordx4 v[19:20], v[2:5], off glc slc
	v_add_co_u32_e32 v19, vcc, 0x400, v19
	s_cmp_eq_u32 s48, 0
	v_addc_co_u32_e32 v20, vcc, 0, v20, vcc
	s_cselect_b64 vcc, -1, 0
	s_and_b64 s[42:43], exec, s[36:37]
	s_mov_b64 s[48:49], 1
	v_cndmask_b32_e64 v10, v10, v19, s[40:41]
	s_mov_b64 s[36:37], 0
	v_cndmask_b32_e64 v12, v12, v20, s[40:41]
	v_cndmask_b32_e32 v9, v9, v20, vcc
	v_cndmask_b32_e32 v8, v8, v19, vcc
	s_mov_b64 vcc, s[42:43]
	s_cbranch_vccnz .LBB12_3927
; %bb.3928:                             ;   in Loop: Header=BB12_3859 Depth=3
	buffer_load_dword v2, off, s[0:3], s33 offset:412 ; 4-byte Folded Reload
	buffer_load_dword v3, off, s[0:3], s33 offset:416 ; 4-byte Folded Reload
	s_waitcnt vmcnt(1)
	v_add_co_u32_e32 v8, vcc, v8, v2
	s_waitcnt vmcnt(0)
	v_addc_co_u32_e32 v9, vcc, v9, v3, vcc
	v_add_co_u32_e32 v10, vcc, v10, v2
	v_addc_co_u32_e32 v12, vcc, v12, v3, vcc
.LBB12_3929:                            ;   in Loop: Header=BB12_3859 Depth=3
	s_or_b64 exec, exec, s[38:39]
	buffer_load_dword v2, off, s[0:3], s33 offset:412 ; 4-byte Folded Reload
	buffer_load_dword v3, off, s[0:3], s33 offset:416 ; 4-byte Folded Reload
	s_waitcnt vmcnt(1)
	v_add_co_u32_e32 v14, vcc, v14, v2
	s_waitcnt vmcnt(0)
	v_addc_co_u32_e32 v15, vcc, v15, v3, vcc
	v_add_co_u32_e32 v16, vcc, v16, v2
	buffer_load_dword v2, off, s[0:3], s33 offset:384 ; 4-byte Folded Reload
	v_addc_co_u32_e32 v17, vcc, v17, v3, vcc
	s_waitcnt vmcnt(0)
	v_sub_u32_e32 v13, v13, v2
	v_cmp_lt_i32_e64 s[36:37], 15, v13
	s_and_saveexec_b64 s[42:43], s[36:37]
	s_cbranch_execz .LBB12_3932
; %bb.3930:                             ;   in Loop: Header=BB12_3859 Depth=3
	s_lshr_b32 s9, s33, 6
	s_addk_i32 s9, 0x60
	s_mov_b64 s[48:49], 0
	s_mov_b64 s[38:39], -1
.LBB12_3931:                            ;   Parent Loop BB12_47 Depth=1
                                        ;     Parent Loop BB12_2997 Depth=2
                                        ;       Parent Loop BB12_3859 Depth=3
                                        ; =>      This Inner Loop Header: Depth=4
	s_cmp_eq_u32 s48, 1
	s_cselect_b64 s[40:41], -1, 0
	v_cndmask_b32_e64 v20, v15, v17, s[40:41]
	v_cndmask_b32_e64 v19, v14, v16, s[40:41]
	global_load_dwordx4 v[2:5], v[19:20], off glc slc
	v_mov_b32_e32 v21, s9
	s_cmp_eq_u32 s48, 0
	s_mov_b64 s[48:49], 1
	s_mov_b32 s9, s82
	s_waitcnt vmcnt(0)
	buffer_store_dword v3, v21, s[0:3], 0 offen offset:4
	buffer_store_dword v2, v21, s[0:3], 0 offen
	buffer_store_dword v5, v21, s[0:3], 0 offen offset:12
	buffer_store_dword v4, v21, s[0:3], 0 offen offset:8
	v_add_co_u32_e32 v2, vcc, s55, v19
	v_addc_co_u32_e32 v3, vcc, 0, v20, vcc
	s_cselect_b64 vcc, -1, 0
	v_cndmask_b32_e32 v15, v15, v3, vcc
	v_cndmask_b32_e32 v14, v14, v2, vcc
	v_cndmask_b32_e64 v17, v17, v3, s[40:41]
	v_cndmask_b32_e64 v16, v16, v2, s[40:41]
	s_and_b64 vcc, exec, s[38:39]
	s_mov_b64 s[38:39], 0
	s_cbranch_vccnz .LBB12_3931
.LBB12_3932:                            ;   in Loop: Header=BB12_3859 Depth=3
	s_or_b64 exec, exec, s[42:43]
	buffer_load_dword v19, off, s[0:3], s33 offset:64
	buffer_load_dword v4, off, s[0:3], s33 offset:68
	;; [unrolled: 1-line block ×4, first 2 shown]
	s_waitcnt vmcnt(3)
	v_lshlrev_b32_e32 v5, 16, v19
	v_mul_f32_e32 v20, v18, v5
	v_and_b32_e32 v5, 0x7f800000, v20
	v_cmp_ne_u32_e32 vcc, s97, v5
                                        ; implicit-def: $vgpr5
	s_and_saveexec_b64 s[40:41], vcc
	s_xor_b64 s[40:41], exec, s[40:41]
; %bb.3933:                             ;   in Loop: Header=BB12_3859 Depth=3
	v_bfe_u32 v5, v20, 16, 1
	v_add3_u32 v5, v20, v5, s46
                                        ; implicit-def: $vgpr20
; %bb.3934:                             ;   in Loop: Header=BB12_3859 Depth=3
	s_andn2_saveexec_b64 s[40:41], s[40:41]
	s_cbranch_execz .LBB12_3936
; %bb.3935:                             ;   in Loop: Header=BB12_3859 Depth=3
	buffer_load_dword v21, off, s[0:3], s33 offset:128 ; 4-byte Folded Reload
	buffer_load_dword v22, off, s[0:3], s33 offset:132 ; 4-byte Folded Reload
	v_or_b32_e32 v5, 0x10000, v20
	s_waitcnt vmcnt(1)
	v_cmp_eq_u32_sdwa vcc, v20, v21 src0_sel:WORD_0 src1_sel:DWORD
	v_cndmask_b32_e32 v5, v5, v20, vcc
.LBB12_3936:                            ;   in Loop: Header=BB12_3859 Depth=3
	s_or_b64 exec, exec, s[40:41]
	v_and_b32_e32 v19, 0xffff0000, v19
	v_mul_f32_e32 v19, v18, v19
	v_and_b32_e32 v20, 0x7f800000, v19
	v_cmp_ne_u32_e32 vcc, s97, v20
                                        ; implicit-def: $vgpr22
	s_and_saveexec_b64 s[40:41], vcc
	s_xor_b64 s[40:41], exec, s[40:41]
	s_cbranch_execz .LBB12_3938
; %bb.3937:                             ;   in Loop: Header=BB12_3859 Depth=3
	v_bfe_u32 v20, v19, 16, 1
	s_waitcnt vmcnt(0)
	v_add3_u32 v22, v19, v20, s46
                                        ; implicit-def: $vgpr19
.LBB12_3938:                            ;   in Loop: Header=BB12_3859 Depth=3
	s_andn2_saveexec_b64 s[40:41], s[40:41]
	s_cbranch_execz .LBB12_3940
; %bb.3939:                             ;   in Loop: Header=BB12_3859 Depth=3
	buffer_load_dword v21, off, s[0:3], s33 offset:128 ; 4-byte Folded Reload
	buffer_load_dword v22, off, s[0:3], s33 offset:132 ; 4-byte Folded Reload
	v_or_b32_e32 v20, 0x10000, v19
	s_waitcnt vmcnt(1)
	v_cmp_eq_u32_sdwa vcc, v19, v21 src0_sel:WORD_0 src1_sel:DWORD
	s_waitcnt vmcnt(0)
	v_cndmask_b32_e32 v22, v20, v19, vcc
.LBB12_3940:                            ;   in Loop: Header=BB12_3859 Depth=3
	s_or_b64 exec, exec, s[40:41]
	s_waitcnt vmcnt(2)
	v_lshlrev_b32_e32 v19, 16, v4
	v_mul_f32_e32 v19, v18, v19
	v_and_b32_e32 v20, 0x7f800000, v19
	v_cmp_ne_u32_e32 vcc, s97, v20
                                        ; implicit-def: $vgpr21
	s_and_saveexec_b64 s[40:41], vcc
	s_xor_b64 s[40:41], exec, s[40:41]
; %bb.3941:                             ;   in Loop: Header=BB12_3859 Depth=3
	v_bfe_u32 v20, v19, 16, 1
	v_add3_u32 v21, v19, v20, s46
                                        ; implicit-def: $vgpr19
; %bb.3942:                             ;   in Loop: Header=BB12_3859 Depth=3
	s_andn2_saveexec_b64 s[40:41], s[40:41]
	s_cbranch_execz .LBB12_3944
; %bb.3943:                             ;   in Loop: Header=BB12_3859 Depth=3
	buffer_load_dword v23, off, s[0:3], s33 offset:128 ; 4-byte Folded Reload
	buffer_load_dword v24, off, s[0:3], s33 offset:132 ; 4-byte Folded Reload
	v_or_b32_e32 v20, 0x10000, v19
	s_waitcnt vmcnt(1)
	v_cmp_eq_u32_sdwa vcc, v19, v23 src0_sel:WORD_0 src1_sel:DWORD
	v_cndmask_b32_e32 v21, v20, v19, vcc
.LBB12_3944:                            ;   in Loop: Header=BB12_3859 Depth=3
	s_or_b64 exec, exec, s[40:41]
	v_and_b32_e32 v4, 0xffff0000, v4
	v_mul_f32_e32 v4, v18, v4
	v_and_b32_e32 v19, 0x7f800000, v4
	v_cmp_ne_u32_e32 vcc, s97, v19
                                        ; implicit-def: $vgpr19
	s_and_saveexec_b64 s[40:41], vcc
	s_xor_b64 s[40:41], exec, s[40:41]
; %bb.3945:                             ;   in Loop: Header=BB12_3859 Depth=3
	v_bfe_u32 v19, v4, 16, 1
	v_add3_u32 v19, v4, v19, s46
                                        ; implicit-def: $vgpr4
; %bb.3946:                             ;   in Loop: Header=BB12_3859 Depth=3
	s_andn2_saveexec_b64 s[40:41], s[40:41]
	s_cbranch_execz .LBB12_3948
; %bb.3947:                             ;   in Loop: Header=BB12_3859 Depth=3
	buffer_load_dword v23, off, s[0:3], s33 offset:128 ; 4-byte Folded Reload
	buffer_load_dword v24, off, s[0:3], s33 offset:132 ; 4-byte Folded Reload
	v_or_b32_e32 v19, 0x10000, v4
	s_waitcnt vmcnt(1)
	v_cmp_eq_u32_sdwa vcc, v4, v23 src0_sel:WORD_0 src1_sel:DWORD
	v_cndmask_b32_e32 v19, v19, v4, vcc
.LBB12_3948:                            ;   in Loop: Header=BB12_3859 Depth=3
	s_or_b64 exec, exec, s[40:41]
	s_waitcnt vmcnt(1)
	v_lshlrev_b32_e32 v4, 16, v3
	v_mul_f32_e32 v4, v18, v4
	v_and_b32_e32 v20, 0x7f800000, v4
	v_cmp_ne_u32_e32 vcc, s97, v20
                                        ; implicit-def: $vgpr20
	s_and_saveexec_b64 s[40:41], vcc
	s_xor_b64 s[40:41], exec, s[40:41]
; %bb.3949:                             ;   in Loop: Header=BB12_3859 Depth=3
	v_bfe_u32 v20, v4, 16, 1
	v_add3_u32 v20, v4, v20, s46
                                        ; implicit-def: $vgpr4
; %bb.3950:                             ;   in Loop: Header=BB12_3859 Depth=3
	s_andn2_saveexec_b64 s[40:41], s[40:41]
	s_cbranch_execz .LBB12_3952
; %bb.3951:                             ;   in Loop: Header=BB12_3859 Depth=3
	buffer_load_dword v23, off, s[0:3], s33 offset:128 ; 4-byte Folded Reload
	buffer_load_dword v24, off, s[0:3], s33 offset:132 ; 4-byte Folded Reload
	v_or_b32_e32 v20, 0x10000, v4
	s_waitcnt vmcnt(1)
	v_cmp_eq_u32_sdwa vcc, v4, v23 src0_sel:WORD_0 src1_sel:DWORD
	v_cndmask_b32_e32 v20, v20, v4, vcc
.LBB12_3952:                            ;   in Loop: Header=BB12_3859 Depth=3
	s_or_b64 exec, exec, s[40:41]
	v_and_b32_e32 v3, 0xffff0000, v3
	v_mul_f32_e32 v4, v18, v3
	v_and_b32_e32 v3, 0x7f800000, v4
	v_cmp_ne_u32_e32 vcc, s97, v3
                                        ; implicit-def: $vgpr3
	s_and_saveexec_b64 s[40:41], vcc
	s_xor_b64 s[40:41], exec, s[40:41]
; %bb.3953:                             ;   in Loop: Header=BB12_3859 Depth=3
	v_bfe_u32 v3, v4, 16, 1
	v_add3_u32 v3, v4, v3, s46
                                        ; implicit-def: $vgpr4
; %bb.3954:                             ;   in Loop: Header=BB12_3859 Depth=3
	s_andn2_saveexec_b64 s[40:41], s[40:41]
	s_cbranch_execz .LBB12_3956
; %bb.3955:                             ;   in Loop: Header=BB12_3859 Depth=3
	buffer_load_dword v23, off, s[0:3], s33 offset:128 ; 4-byte Folded Reload
	buffer_load_dword v24, off, s[0:3], s33 offset:132 ; 4-byte Folded Reload
	v_or_b32_e32 v3, 0x10000, v4
	s_waitcnt vmcnt(1)
	v_cmp_eq_u32_sdwa vcc, v4, v23 src0_sel:WORD_0 src1_sel:DWORD
	v_cndmask_b32_e32 v3, v3, v4, vcc
.LBB12_3956:                            ;   in Loop: Header=BB12_3859 Depth=3
	s_or_b64 exec, exec, s[40:41]
	s_waitcnt vmcnt(0)
	v_lshlrev_b32_e32 v4, 16, v2
	v_mul_f32_e32 v23, v18, v4
	v_and_b32_e32 v4, 0x7f800000, v23
	v_cmp_ne_u32_e32 vcc, s97, v4
                                        ; implicit-def: $vgpr4
	s_and_saveexec_b64 s[40:41], vcc
	s_xor_b64 s[40:41], exec, s[40:41]
; %bb.3957:                             ;   in Loop: Header=BB12_3859 Depth=3
	v_bfe_u32 v4, v23, 16, 1
	v_add3_u32 v4, v23, v4, s46
                                        ; implicit-def: $vgpr23
; %bb.3958:                             ;   in Loop: Header=BB12_3859 Depth=3
	s_andn2_saveexec_b64 s[40:41], s[40:41]
	s_cbranch_execz .LBB12_3960
; %bb.3959:                             ;   in Loop: Header=BB12_3859 Depth=3
	buffer_load_dword v24, off, s[0:3], s33 offset:128 ; 4-byte Folded Reload
	buffer_load_dword v25, off, s[0:3], s33 offset:132 ; 4-byte Folded Reload
	v_or_b32_e32 v4, 0x10000, v23
	s_waitcnt vmcnt(1)
	v_cmp_eq_u32_sdwa vcc, v23, v24 src0_sel:WORD_0 src1_sel:DWORD
	v_cndmask_b32_e32 v4, v4, v23, vcc
.LBB12_3960:                            ;   in Loop: Header=BB12_3859 Depth=3
	s_or_b64 exec, exec, s[40:41]
	v_and_b32_e32 v2, 0xffff0000, v2
	v_mul_f32_e32 v23, v18, v2
	v_and_b32_e32 v2, 0x7f800000, v23
	v_cmp_ne_u32_e32 vcc, s97, v2
                                        ; implicit-def: $vgpr2
	s_and_saveexec_b64 s[40:41], vcc
	s_xor_b64 s[40:41], exec, s[40:41]
; %bb.3961:                             ;   in Loop: Header=BB12_3859 Depth=3
	v_bfe_u32 v2, v23, 16, 1
	v_add3_u32 v2, v23, v2, s46
                                        ; implicit-def: $vgpr23
; %bb.3962:                             ;   in Loop: Header=BB12_3859 Depth=3
	s_andn2_saveexec_b64 s[40:41], s[40:41]
	s_cbranch_execz .LBB12_3964
; %bb.3963:                             ;   in Loop: Header=BB12_3859 Depth=3
	buffer_load_dword v24, off, s[0:3], s33 offset:128 ; 4-byte Folded Reload
	buffer_load_dword v25, off, s[0:3], s33 offset:132 ; 4-byte Folded Reload
	v_or_b32_e32 v2, 0x10000, v23
	s_waitcnt vmcnt(1)
	v_cmp_eq_u32_sdwa vcc, v23, v24 src0_sel:WORD_0 src1_sel:DWORD
	v_cndmask_b32_e32 v2, v2, v23, vcc
.LBB12_3964:                            ;   in Loop: Header=BB12_3859 Depth=3
	s_or_b64 exec, exec, s[40:41]
	buffer_load_dword v26, off, s[0:3], s33 offset:80
	buffer_load_dword v25, off, s[0:3], s33 offset:84
	;; [unrolled: 1-line block ×4, first 2 shown]
	v_and_b32_e32 v5, 0xffff0000, v5
	s_waitcnt vmcnt(3)
	v_lshlrev_b32_e32 v27, 16, v26
	v_add_f32_e32 v27, v5, v27
	v_and_b32_e32 v5, 0x7f800000, v27
	v_cmp_ne_u32_e32 vcc, s97, v5
                                        ; implicit-def: $vgpr5
	s_and_saveexec_b64 s[40:41], vcc
	s_xor_b64 s[40:41], exec, s[40:41]
; %bb.3965:                             ;   in Loop: Header=BB12_3859 Depth=3
	v_bfe_u32 v5, v27, 16, 1
	v_add3_u32 v5, v27, v5, s46
                                        ; implicit-def: $vgpr27
; %bb.3966:                             ;   in Loop: Header=BB12_3859 Depth=3
	s_andn2_saveexec_b64 s[40:41], s[40:41]
	s_cbranch_execz .LBB12_3968
; %bb.3967:                             ;   in Loop: Header=BB12_3859 Depth=3
	buffer_load_dword v28, off, s[0:3], s33 offset:128 ; 4-byte Folded Reload
	buffer_load_dword v29, off, s[0:3], s33 offset:132 ; 4-byte Folded Reload
	v_or_b32_e32 v5, 0x10000, v27
	s_waitcnt vmcnt(1)
	v_cmp_eq_u32_sdwa vcc, v27, v28 src0_sel:WORD_0 src1_sel:DWORD
	v_cndmask_b32_e32 v5, v5, v27, vcc
.LBB12_3968:                            ;   in Loop: Header=BB12_3859 Depth=3
	s_or_b64 exec, exec, s[40:41]
	v_and_b32_e32 v22, 0xffff0000, v22
	v_and_b32_e32 v26, 0xffff0000, v26
	v_add_f32_e32 v26, v22, v26
	v_and_b32_e32 v22, 0x7f800000, v26
	v_cmp_ne_u32_e32 vcc, s97, v22
                                        ; implicit-def: $vgpr22
	s_and_saveexec_b64 s[40:41], vcc
	s_xor_b64 s[40:41], exec, s[40:41]
; %bb.3969:                             ;   in Loop: Header=BB12_3859 Depth=3
	v_bfe_u32 v22, v26, 16, 1
	v_add3_u32 v22, v26, v22, s46
                                        ; implicit-def: $vgpr26
; %bb.3970:                             ;   in Loop: Header=BB12_3859 Depth=3
	s_andn2_saveexec_b64 s[40:41], s[40:41]
	s_cbranch_execz .LBB12_3972
; %bb.3971:                             ;   in Loop: Header=BB12_3859 Depth=3
	buffer_load_dword v27, off, s[0:3], s33 offset:128 ; 4-byte Folded Reload
	buffer_load_dword v28, off, s[0:3], s33 offset:132 ; 4-byte Folded Reload
	v_or_b32_e32 v22, 0x10000, v26
	s_waitcnt vmcnt(1)
	v_cmp_eq_u32_sdwa vcc, v26, v27 src0_sel:WORD_0 src1_sel:DWORD
	v_cndmask_b32_e32 v22, v22, v26, vcc
.LBB12_3972:                            ;   in Loop: Header=BB12_3859 Depth=3
	s_or_b64 exec, exec, s[40:41]
	v_and_b32_e32 v21, 0xffff0000, v21
	s_waitcnt vmcnt(2)
	v_lshlrev_b32_e32 v26, 16, v25
	v_add_f32_e32 v26, v21, v26
	v_and_b32_e32 v21, 0x7f800000, v26
	v_cmp_ne_u32_e32 vcc, s97, v21
                                        ; implicit-def: $vgpr21
	s_and_saveexec_b64 s[40:41], vcc
	s_xor_b64 s[40:41], exec, s[40:41]
; %bb.3973:                             ;   in Loop: Header=BB12_3859 Depth=3
	v_bfe_u32 v21, v26, 16, 1
	v_add3_u32 v21, v26, v21, s46
                                        ; implicit-def: $vgpr26
; %bb.3974:                             ;   in Loop: Header=BB12_3859 Depth=3
	s_andn2_saveexec_b64 s[40:41], s[40:41]
	s_cbranch_execz .LBB12_3976
; %bb.3975:                             ;   in Loop: Header=BB12_3859 Depth=3
	buffer_load_dword v27, off, s[0:3], s33 offset:128 ; 4-byte Folded Reload
	buffer_load_dword v28, off, s[0:3], s33 offset:132 ; 4-byte Folded Reload
	v_or_b32_e32 v21, 0x10000, v26
	s_waitcnt vmcnt(1)
	v_cmp_eq_u32_sdwa vcc, v26, v27 src0_sel:WORD_0 src1_sel:DWORD
	v_cndmask_b32_e32 v21, v21, v26, vcc
.LBB12_3976:                            ;   in Loop: Header=BB12_3859 Depth=3
	s_or_b64 exec, exec, s[40:41]
	v_and_b32_e32 v25, 0xffff0000, v25
	v_and_b32_e32 v19, 0xffff0000, v19
	v_add_f32_e32 v25, v19, v25
	v_and_b32_e32 v19, 0x7f800000, v25
	v_cmp_ne_u32_e32 vcc, s97, v19
                                        ; implicit-def: $vgpr19
	s_and_saveexec_b64 s[40:41], vcc
	s_xor_b64 s[40:41], exec, s[40:41]
; %bb.3977:                             ;   in Loop: Header=BB12_3859 Depth=3
	v_bfe_u32 v19, v25, 16, 1
	v_add3_u32 v19, v25, v19, s46
                                        ; implicit-def: $vgpr25
; %bb.3978:                             ;   in Loop: Header=BB12_3859 Depth=3
	s_andn2_saveexec_b64 s[40:41], s[40:41]
	s_cbranch_execz .LBB12_3980
; %bb.3979:                             ;   in Loop: Header=BB12_3859 Depth=3
	buffer_load_dword v26, off, s[0:3], s33 offset:128 ; 4-byte Folded Reload
	buffer_load_dword v27, off, s[0:3], s33 offset:132 ; 4-byte Folded Reload
	v_or_b32_e32 v19, 0x10000, v25
	s_waitcnt vmcnt(1)
	v_cmp_eq_u32_sdwa vcc, v25, v26 src0_sel:WORD_0 src1_sel:DWORD
	v_cndmask_b32_e32 v19, v19, v25, vcc
.LBB12_3980:                            ;   in Loop: Header=BB12_3859 Depth=3
	s_or_b64 exec, exec, s[40:41]
	v_and_b32_e32 v20, 0xffff0000, v20
	s_waitcnt vmcnt(1)
	v_lshlrev_b32_e32 v25, 16, v24
	v_add_f32_e32 v25, v20, v25
	v_and_b32_e32 v20, 0x7f800000, v25
	v_cmp_ne_u32_e32 vcc, s97, v20
                                        ; implicit-def: $vgpr20
	s_and_saveexec_b64 s[40:41], vcc
	s_xor_b64 s[40:41], exec, s[40:41]
; %bb.3981:                             ;   in Loop: Header=BB12_3859 Depth=3
	v_bfe_u32 v20, v25, 16, 1
	v_add3_u32 v20, v25, v20, s46
                                        ; implicit-def: $vgpr25
; %bb.3982:                             ;   in Loop: Header=BB12_3859 Depth=3
	s_andn2_saveexec_b64 s[40:41], s[40:41]
	s_cbranch_execz .LBB12_3984
; %bb.3983:                             ;   in Loop: Header=BB12_3859 Depth=3
	buffer_load_dword v26, off, s[0:3], s33 offset:128 ; 4-byte Folded Reload
	buffer_load_dword v27, off, s[0:3], s33 offset:132 ; 4-byte Folded Reload
	v_or_b32_e32 v20, 0x10000, v25
	s_waitcnt vmcnt(1)
	v_cmp_eq_u32_sdwa vcc, v25, v26 src0_sel:WORD_0 src1_sel:DWORD
	v_cndmask_b32_e32 v20, v20, v25, vcc
.LBB12_3984:                            ;   in Loop: Header=BB12_3859 Depth=3
	s_or_b64 exec, exec, s[40:41]
	v_and_b32_e32 v24, 0xffff0000, v24
	v_and_b32_e32 v3, 0xffff0000, v3
	v_add_f32_e32 v3, v3, v24
	v_and_b32_e32 v24, 0x7f800000, v3
	v_cmp_ne_u32_e32 vcc, s97, v24
                                        ; implicit-def: $vgpr24
	s_and_saveexec_b64 s[40:41], vcc
	s_xor_b64 s[40:41], exec, s[40:41]
; %bb.3985:                             ;   in Loop: Header=BB12_3859 Depth=3
	v_bfe_u32 v24, v3, 16, 1
	v_add3_u32 v24, v3, v24, s46
                                        ; implicit-def: $vgpr3
; %bb.3986:                             ;   in Loop: Header=BB12_3859 Depth=3
	s_andn2_saveexec_b64 s[40:41], s[40:41]
	s_cbranch_execz .LBB12_3988
; %bb.3987:                             ;   in Loop: Header=BB12_3859 Depth=3
	buffer_load_dword v25, off, s[0:3], s33 offset:128 ; 4-byte Folded Reload
	buffer_load_dword v26, off, s[0:3], s33 offset:132 ; 4-byte Folded Reload
	v_or_b32_e32 v24, 0x10000, v3
	s_waitcnt vmcnt(1)
	v_cmp_eq_u32_sdwa vcc, v3, v25 src0_sel:WORD_0 src1_sel:DWORD
	v_cndmask_b32_e32 v24, v24, v3, vcc
.LBB12_3988:                            ;   in Loop: Header=BB12_3859 Depth=3
	s_or_b64 exec, exec, s[40:41]
	v_and_b32_e32 v3, 0xffff0000, v4
	s_waitcnt vmcnt(0)
	v_lshlrev_b32_e32 v4, 16, v23
	v_add_f32_e32 v3, v3, v4
	v_and_b32_e32 v4, 0x7f800000, v3
	v_cmp_ne_u32_e32 vcc, s97, v4
                                        ; implicit-def: $vgpr25
	s_and_saveexec_b64 s[40:41], vcc
	s_xor_b64 s[40:41], exec, s[40:41]
; %bb.3989:                             ;   in Loop: Header=BB12_3859 Depth=3
	v_bfe_u32 v4, v3, 16, 1
	v_add3_u32 v25, v3, v4, s46
                                        ; implicit-def: $vgpr3
; %bb.3990:                             ;   in Loop: Header=BB12_3859 Depth=3
	s_andn2_saveexec_b64 s[40:41], s[40:41]
	s_cbranch_execz .LBB12_3992
; %bb.3991:                             ;   in Loop: Header=BB12_3859 Depth=3
	buffer_load_dword v25, off, s[0:3], s33 offset:128 ; 4-byte Folded Reload
	buffer_load_dword v26, off, s[0:3], s33 offset:132 ; 4-byte Folded Reload
	v_or_b32_e32 v4, 0x10000, v3
	s_waitcnt vmcnt(1)
	v_cmp_eq_u32_sdwa vcc, v3, v25 src0_sel:WORD_0 src1_sel:DWORD
	v_cndmask_b32_e32 v25, v4, v3, vcc
.LBB12_3992:                            ;   in Loop: Header=BB12_3859 Depth=3
	s_or_b64 exec, exec, s[40:41]
	v_and_b32_e32 v3, 0xffff0000, v23
	v_and_b32_e32 v2, 0xffff0000, v2
	v_add_f32_e32 v2, v2, v3
	v_and_b32_e32 v3, 0x7f800000, v2
	v_cmp_ne_u32_e32 vcc, s97, v3
                                        ; implicit-def: $vgpr23
	s_and_saveexec_b64 s[40:41], vcc
	s_xor_b64 s[40:41], exec, s[40:41]
; %bb.3993:                             ;   in Loop: Header=BB12_3859 Depth=3
	v_bfe_u32 v3, v2, 16, 1
	v_add3_u32 v23, v2, v3, s46
                                        ; implicit-def: $vgpr2
; %bb.3994:                             ;   in Loop: Header=BB12_3859 Depth=3
	s_andn2_saveexec_b64 s[40:41], s[40:41]
	s_cbranch_execz .LBB12_3996
; %bb.3995:                             ;   in Loop: Header=BB12_3859 Depth=3
	buffer_load_dword v26, off, s[0:3], s33 offset:128 ; 4-byte Folded Reload
	buffer_load_dword v27, off, s[0:3], s33 offset:132 ; 4-byte Folded Reload
	v_or_b32_e32 v3, 0x10000, v2
	s_waitcnt vmcnt(1)
	v_cmp_eq_u32_sdwa vcc, v2, v26 src0_sel:WORD_0 src1_sel:DWORD
	v_cndmask_b32_e32 v23, v3, v2, vcc
.LBB12_3996:                            ;   in Loop: Header=BB12_3859 Depth=3
	s_or_b64 exec, exec, s[40:41]
	v_lshrrev_b32_e32 v2, 16, v21
	v_and_or_b32 v3, v19, s47, v2
	v_lshrrev_b32_e32 v2, 16, v5
	v_lshrrev_b32_e32 v4, 16, v20
	;; [unrolled: 1-line block ×3, first 2 shown]
	v_and_or_b32 v2, v22, s47, v2
	v_and_or_b32 v4, v24, s47, v4
	;; [unrolled: 1-line block ×3, first 2 shown]
	s_mov_b64 s[48:49], 0
	s_mov_b64 s[38:39], -1
	buffer_store_dword v3, off, s[0:3], s33 offset:68
	buffer_store_dword v2, off, s[0:3], s33 offset:64
	;; [unrolled: 1-line block ×4, first 2 shown]
.LBB12_3997:                            ;   Parent Loop BB12_47 Depth=1
                                        ;     Parent Loop BB12_2997 Depth=2
                                        ;       Parent Loop BB12_3859 Depth=3
                                        ; =>      This Inner Loop Header: Depth=4
	s_cmp_eq_u32 s48, 1
	s_cselect_b64 s[40:41], -1, 0
	v_cndmask_b32_e64 v20, v9, v12, s[40:41]
	v_cndmask_b32_e64 v19, v8, v10, s[40:41]
	global_store_dwordx4 v[19:20], v[2:5], off glc slc
	v_add_co_u32_e32 v19, vcc, 0x400, v19
	s_cmp_eq_u32 s48, 0
	v_addc_co_u32_e32 v20, vcc, 0, v20, vcc
	s_cselect_b64 vcc, -1, 0
	s_and_b64 s[42:43], exec, s[38:39]
	s_mov_b64 s[48:49], 1
	v_cndmask_b32_e64 v10, v10, v19, s[40:41]
	s_mov_b64 s[38:39], 0
	v_cndmask_b32_e64 v12, v12, v20, s[40:41]
	v_cndmask_b32_e32 v9, v9, v20, vcc
	v_cndmask_b32_e32 v8, v8, v19, vcc
	s_mov_b64 vcc, s[42:43]
	s_cbranch_vccnz .LBB12_3997
; %bb.3998:                             ;   in Loop: Header=BB12_3859 Depth=3
	buffer_load_dword v2, off, s[0:3], s33 offset:152 ; 4-byte Folded Reload
	s_waitcnt vmcnt(0)
	v_sub_u32_e32 v11, v11, v2
	s_and_saveexec_b64 s[40:41], s[36:37]
	s_cbranch_execz .LBB12_3858
; %bb.3999:                             ;   in Loop: Header=BB12_3859 Depth=3
	buffer_load_dword v2, off, s[0:3], s33 offset:412 ; 4-byte Folded Reload
	buffer_load_dword v3, off, s[0:3], s33 offset:416 ; 4-byte Folded Reload
	s_waitcnt vmcnt(1)
	v_add_co_u32_e32 v8, vcc, v8, v2
	s_waitcnt vmcnt(0)
	v_addc_co_u32_e32 v9, vcc, v9, v3, vcc
	v_add_co_u32_e32 v10, vcc, v10, v2
	v_addc_co_u32_e32 v12, vcc, v12, v3, vcc
	v_add_co_u32_e32 v14, vcc, v14, v2
	v_addc_co_u32_e32 v15, vcc, v15, v3, vcc
	v_add_co_u32_e32 v16, vcc, v16, v2
	buffer_load_dword v2, off, s[0:3], s33 offset:384 ; 4-byte Folded Reload
	v_addc_co_u32_e32 v17, vcc, v17, v3, vcc
	s_waitcnt vmcnt(0)
	v_sub_u32_e32 v13, v13, v2
	buffer_load_dword v2, off, s[0:3], s33 offset:152 ; 4-byte Folded Reload
	s_waitcnt vmcnt(0)
	v_sub_u32_e32 v11, v11, v2
	s_branch .LBB12_3858
.LBB12_4000:                            ;   in Loop: Header=BB12_2997 Depth=2
	s_or_b64 exec, exec, s[30:31]
	s_and_b64 s[40:41], s[34:35], exec
.LBB12_4001:                            ;   in Loop: Header=BB12_2997 Depth=2
	s_or_b64 exec, exec, s[94:95]
	s_and_saveexec_b64 s[94:95], s[40:41]
	s_cbranch_execz .LBB12_4068
; %bb.4002:                             ;   in Loop: Header=BB12_2997 Depth=2
	s_trap 2
	buffer_load_dword v13, off, s[0:3], s33 offset:96
	buffer_load_dword v4, off, s[0:3], s33 offset:100
	;; [unrolled: 1-line block ×4, first 2 shown]
	ds_read_b32 v5, v0
	s_waitcnt lgkmcnt(0)
	v_lshlrev_b32_e32 v17, 16, v5
	s_waitcnt vmcnt(3)
	v_lshlrev_b32_e32 v5, 16, v13
	v_mul_f32_e32 v14, v17, v5
	v_and_b32_e32 v5, 0x7f800000, v14
	v_cmp_ne_u32_e32 vcc, s97, v5
                                        ; implicit-def: $vgpr5
	s_and_saveexec_b64 s[40:41], vcc
	s_xor_b64 s[40:41], exec, s[40:41]
; %bb.4003:                             ;   in Loop: Header=BB12_2997 Depth=2
	v_bfe_u32 v5, v14, 16, 1
	v_add3_u32 v5, v14, v5, s46
                                        ; implicit-def: $vgpr14
; %bb.4004:                             ;   in Loop: Header=BB12_2997 Depth=2
	s_andn2_saveexec_b64 s[40:41], s[40:41]
	s_cbranch_execz .LBB12_4006
; %bb.4005:                             ;   in Loop: Header=BB12_2997 Depth=2
	buffer_load_dword v15, off, s[0:3], s33 offset:128 ; 4-byte Folded Reload
	buffer_load_dword v16, off, s[0:3], s33 offset:132 ; 4-byte Folded Reload
	v_or_b32_e32 v5, 0x10000, v14
	s_waitcnt vmcnt(1)
	v_cmp_eq_u32_sdwa vcc, v14, v15 src0_sel:WORD_0 src1_sel:DWORD
	v_cndmask_b32_e32 v5, v5, v14, vcc
.LBB12_4006:                            ;   in Loop: Header=BB12_2997 Depth=2
	s_or_b64 exec, exec, s[40:41]
	v_and_b32_e32 v13, 0xffff0000, v13
	v_mul_f32_e32 v13, v17, v13
	v_and_b32_e32 v14, 0x7f800000, v13
	v_cmp_ne_u32_e32 vcc, s97, v14
                                        ; implicit-def: $vgpr16
	s_and_saveexec_b64 s[40:41], vcc
	s_xor_b64 s[40:41], exec, s[40:41]
	s_cbranch_execz .LBB12_4008
; %bb.4007:                             ;   in Loop: Header=BB12_2997 Depth=2
	v_bfe_u32 v14, v13, 16, 1
	s_waitcnt vmcnt(0)
	v_add3_u32 v16, v13, v14, s46
                                        ; implicit-def: $vgpr13
.LBB12_4008:                            ;   in Loop: Header=BB12_2997 Depth=2
	s_andn2_saveexec_b64 s[40:41], s[40:41]
	s_cbranch_execz .LBB12_4010
; %bb.4009:                             ;   in Loop: Header=BB12_2997 Depth=2
	buffer_load_dword v15, off, s[0:3], s33 offset:128 ; 4-byte Folded Reload
	buffer_load_dword v16, off, s[0:3], s33 offset:132 ; 4-byte Folded Reload
	v_or_b32_e32 v14, 0x10000, v13
	s_waitcnt vmcnt(1)
	v_cmp_eq_u32_sdwa vcc, v13, v15 src0_sel:WORD_0 src1_sel:DWORD
	s_waitcnt vmcnt(0)
	v_cndmask_b32_e32 v16, v14, v13, vcc
.LBB12_4010:                            ;   in Loop: Header=BB12_2997 Depth=2
	s_or_b64 exec, exec, s[40:41]
	s_waitcnt vmcnt(2)
	v_lshlrev_b32_e32 v13, 16, v4
	v_mul_f32_e32 v13, v17, v13
	v_and_b32_e32 v14, 0x7f800000, v13
	v_cmp_ne_u32_e32 vcc, s97, v14
                                        ; implicit-def: $vgpr15
	s_and_saveexec_b64 s[40:41], vcc
	s_xor_b64 s[40:41], exec, s[40:41]
; %bb.4011:                             ;   in Loop: Header=BB12_2997 Depth=2
	v_bfe_u32 v14, v13, 16, 1
	v_add3_u32 v15, v13, v14, s46
                                        ; implicit-def: $vgpr13
; %bb.4012:                             ;   in Loop: Header=BB12_2997 Depth=2
	s_andn2_saveexec_b64 s[40:41], s[40:41]
	s_cbranch_execz .LBB12_4014
; %bb.4013:                             ;   in Loop: Header=BB12_2997 Depth=2
	buffer_load_dword v18, off, s[0:3], s33 offset:128 ; 4-byte Folded Reload
	buffer_load_dword v19, off, s[0:3], s33 offset:132 ; 4-byte Folded Reload
	v_or_b32_e32 v14, 0x10000, v13
	s_waitcnt vmcnt(1)
	v_cmp_eq_u32_sdwa vcc, v13, v18 src0_sel:WORD_0 src1_sel:DWORD
	v_cndmask_b32_e32 v15, v14, v13, vcc
.LBB12_4014:                            ;   in Loop: Header=BB12_2997 Depth=2
	s_or_b64 exec, exec, s[40:41]
	v_and_b32_e32 v4, 0xffff0000, v4
	v_mul_f32_e32 v4, v17, v4
	v_and_b32_e32 v13, 0x7f800000, v4
	v_cmp_ne_u32_e32 vcc, s97, v13
                                        ; implicit-def: $vgpr13
	s_and_saveexec_b64 s[40:41], vcc
	s_xor_b64 s[40:41], exec, s[40:41]
; %bb.4015:                             ;   in Loop: Header=BB12_2997 Depth=2
	v_bfe_u32 v13, v4, 16, 1
	v_add3_u32 v13, v4, v13, s46
                                        ; implicit-def: $vgpr4
; %bb.4016:                             ;   in Loop: Header=BB12_2997 Depth=2
	s_andn2_saveexec_b64 s[40:41], s[40:41]
	s_cbranch_execz .LBB12_4018
; %bb.4017:                             ;   in Loop: Header=BB12_2997 Depth=2
	buffer_load_dword v18, off, s[0:3], s33 offset:128 ; 4-byte Folded Reload
	buffer_load_dword v19, off, s[0:3], s33 offset:132 ; 4-byte Folded Reload
	v_or_b32_e32 v13, 0x10000, v4
	s_waitcnt vmcnt(1)
	v_cmp_eq_u32_sdwa vcc, v4, v18 src0_sel:WORD_0 src1_sel:DWORD
	v_cndmask_b32_e32 v13, v13, v4, vcc
.LBB12_4018:                            ;   in Loop: Header=BB12_2997 Depth=2
	s_or_b64 exec, exec, s[40:41]
	s_waitcnt vmcnt(1)
	v_lshlrev_b32_e32 v4, 16, v3
	v_mul_f32_e32 v4, v17, v4
	v_and_b32_e32 v14, 0x7f800000, v4
	v_cmp_ne_u32_e32 vcc, s97, v14
                                        ; implicit-def: $vgpr14
	s_and_saveexec_b64 s[40:41], vcc
	s_xor_b64 s[40:41], exec, s[40:41]
; %bb.4019:                             ;   in Loop: Header=BB12_2997 Depth=2
	v_bfe_u32 v14, v4, 16, 1
	v_add3_u32 v14, v4, v14, s46
                                        ; implicit-def: $vgpr4
; %bb.4020:                             ;   in Loop: Header=BB12_2997 Depth=2
	s_andn2_saveexec_b64 s[40:41], s[40:41]
	s_cbranch_execz .LBB12_4022
; %bb.4021:                             ;   in Loop: Header=BB12_2997 Depth=2
	buffer_load_dword v18, off, s[0:3], s33 offset:128 ; 4-byte Folded Reload
	buffer_load_dword v19, off, s[0:3], s33 offset:132 ; 4-byte Folded Reload
	v_or_b32_e32 v14, 0x10000, v4
	s_waitcnt vmcnt(1)
	v_cmp_eq_u32_sdwa vcc, v4, v18 src0_sel:WORD_0 src1_sel:DWORD
	v_cndmask_b32_e32 v14, v14, v4, vcc
.LBB12_4022:                            ;   in Loop: Header=BB12_2997 Depth=2
	s_or_b64 exec, exec, s[40:41]
	v_and_b32_e32 v3, 0xffff0000, v3
	v_mul_f32_e32 v4, v17, v3
	v_and_b32_e32 v3, 0x7f800000, v4
	v_cmp_ne_u32_e32 vcc, s97, v3
                                        ; implicit-def: $vgpr3
	s_and_saveexec_b64 s[40:41], vcc
	s_xor_b64 s[40:41], exec, s[40:41]
; %bb.4023:                             ;   in Loop: Header=BB12_2997 Depth=2
	v_bfe_u32 v3, v4, 16, 1
	v_add3_u32 v3, v4, v3, s46
                                        ; implicit-def: $vgpr4
; %bb.4024:                             ;   in Loop: Header=BB12_2997 Depth=2
	s_andn2_saveexec_b64 s[40:41], s[40:41]
	s_cbranch_execz .LBB12_4026
; %bb.4025:                             ;   in Loop: Header=BB12_2997 Depth=2
	buffer_load_dword v18, off, s[0:3], s33 offset:128 ; 4-byte Folded Reload
	buffer_load_dword v19, off, s[0:3], s33 offset:132 ; 4-byte Folded Reload
	v_or_b32_e32 v3, 0x10000, v4
	s_waitcnt vmcnt(1)
	v_cmp_eq_u32_sdwa vcc, v4, v18 src0_sel:WORD_0 src1_sel:DWORD
	v_cndmask_b32_e32 v3, v3, v4, vcc
.LBB12_4026:                            ;   in Loop: Header=BB12_2997 Depth=2
	s_or_b64 exec, exec, s[40:41]
	s_waitcnt vmcnt(0)
	v_lshlrev_b32_e32 v4, 16, v2
	v_mul_f32_e32 v18, v17, v4
	v_and_b32_e32 v4, 0x7f800000, v18
	v_cmp_ne_u32_e32 vcc, s97, v4
                                        ; implicit-def: $vgpr4
	s_and_saveexec_b64 s[40:41], vcc
	s_xor_b64 s[40:41], exec, s[40:41]
; %bb.4027:                             ;   in Loop: Header=BB12_2997 Depth=2
	v_bfe_u32 v4, v18, 16, 1
	v_add3_u32 v4, v18, v4, s46
                                        ; implicit-def: $vgpr18
; %bb.4028:                             ;   in Loop: Header=BB12_2997 Depth=2
	s_andn2_saveexec_b64 s[40:41], s[40:41]
	s_cbranch_execz .LBB12_4030
; %bb.4029:                             ;   in Loop: Header=BB12_2997 Depth=2
	buffer_load_dword v19, off, s[0:3], s33 offset:128 ; 4-byte Folded Reload
	buffer_load_dword v20, off, s[0:3], s33 offset:132 ; 4-byte Folded Reload
	v_or_b32_e32 v4, 0x10000, v18
	s_waitcnt vmcnt(1)
	v_cmp_eq_u32_sdwa vcc, v18, v19 src0_sel:WORD_0 src1_sel:DWORD
	v_cndmask_b32_e32 v4, v4, v18, vcc
.LBB12_4030:                            ;   in Loop: Header=BB12_2997 Depth=2
	s_or_b64 exec, exec, s[40:41]
	v_and_b32_e32 v2, 0xffff0000, v2
	v_mul_f32_e32 v17, v17, v2
	v_and_b32_e32 v2, 0x7f800000, v17
	v_cmp_ne_u32_e32 vcc, s97, v2
                                        ; implicit-def: $vgpr2
	s_and_saveexec_b64 s[40:41], vcc
	s_xor_b64 s[40:41], exec, s[40:41]
; %bb.4031:                             ;   in Loop: Header=BB12_2997 Depth=2
	v_bfe_u32 v2, v17, 16, 1
	v_add3_u32 v2, v17, v2, s46
                                        ; implicit-def: $vgpr17
; %bb.4032:                             ;   in Loop: Header=BB12_2997 Depth=2
	s_andn2_saveexec_b64 s[40:41], s[40:41]
	s_cbranch_execz .LBB12_4034
; %bb.4033:                             ;   in Loop: Header=BB12_2997 Depth=2
	buffer_load_dword v18, off, s[0:3], s33 offset:128 ; 4-byte Folded Reload
	buffer_load_dword v19, off, s[0:3], s33 offset:132 ; 4-byte Folded Reload
	v_or_b32_e32 v2, 0x10000, v17
	s_waitcnt vmcnt(1)
	v_cmp_eq_u32_sdwa vcc, v17, v18 src0_sel:WORD_0 src1_sel:DWORD
	v_cndmask_b32_e32 v2, v2, v17, vcc
.LBB12_4034:                            ;   in Loop: Header=BB12_2997 Depth=2
	s_or_b64 exec, exec, s[40:41]
	buffer_load_dword v20, off, s[0:3], s33 offset:112
	buffer_load_dword v19, off, s[0:3], s33 offset:116
	;; [unrolled: 1-line block ×4, first 2 shown]
	v_and_b32_e32 v5, 0xffff0000, v5
	s_waitcnt vmcnt(3)
	v_lshlrev_b32_e32 v21, 16, v20
	v_add_f32_e32 v21, v5, v21
	v_and_b32_e32 v5, 0x7f800000, v21
	v_cmp_ne_u32_e32 vcc, s97, v5
                                        ; implicit-def: $vgpr5
	s_and_saveexec_b64 s[40:41], vcc
	s_xor_b64 s[40:41], exec, s[40:41]
; %bb.4035:                             ;   in Loop: Header=BB12_2997 Depth=2
	v_bfe_u32 v5, v21, 16, 1
	v_add3_u32 v5, v21, v5, s46
                                        ; implicit-def: $vgpr21
; %bb.4036:                             ;   in Loop: Header=BB12_2997 Depth=2
	s_andn2_saveexec_b64 s[40:41], s[40:41]
	s_cbranch_execz .LBB12_4038
; %bb.4037:                             ;   in Loop: Header=BB12_2997 Depth=2
	buffer_load_dword v22, off, s[0:3], s33 offset:128 ; 4-byte Folded Reload
	buffer_load_dword v23, off, s[0:3], s33 offset:132 ; 4-byte Folded Reload
	v_or_b32_e32 v5, 0x10000, v21
	s_waitcnt vmcnt(1)
	v_cmp_eq_u32_sdwa vcc, v21, v22 src0_sel:WORD_0 src1_sel:DWORD
	v_cndmask_b32_e32 v5, v5, v21, vcc
.LBB12_4038:                            ;   in Loop: Header=BB12_2997 Depth=2
	s_or_b64 exec, exec, s[40:41]
	v_and_b32_e32 v16, 0xffff0000, v16
	v_and_b32_e32 v20, 0xffff0000, v20
	v_add_f32_e32 v20, v16, v20
	v_and_b32_e32 v16, 0x7f800000, v20
	v_cmp_ne_u32_e32 vcc, s97, v16
                                        ; implicit-def: $vgpr16
	s_and_saveexec_b64 s[40:41], vcc
	s_xor_b64 s[40:41], exec, s[40:41]
; %bb.4039:                             ;   in Loop: Header=BB12_2997 Depth=2
	v_bfe_u32 v16, v20, 16, 1
	v_add3_u32 v16, v20, v16, s46
                                        ; implicit-def: $vgpr20
; %bb.4040:                             ;   in Loop: Header=BB12_2997 Depth=2
	s_andn2_saveexec_b64 s[40:41], s[40:41]
	s_cbranch_execz .LBB12_4042
; %bb.4041:                             ;   in Loop: Header=BB12_2997 Depth=2
	buffer_load_dword v21, off, s[0:3], s33 offset:128 ; 4-byte Folded Reload
	buffer_load_dword v22, off, s[0:3], s33 offset:132 ; 4-byte Folded Reload
	v_or_b32_e32 v16, 0x10000, v20
	s_waitcnt vmcnt(1)
	v_cmp_eq_u32_sdwa vcc, v20, v21 src0_sel:WORD_0 src1_sel:DWORD
	v_cndmask_b32_e32 v16, v16, v20, vcc
.LBB12_4042:                            ;   in Loop: Header=BB12_2997 Depth=2
	s_or_b64 exec, exec, s[40:41]
	v_and_b32_e32 v15, 0xffff0000, v15
	s_waitcnt vmcnt(2)
	v_lshlrev_b32_e32 v20, 16, v19
	v_add_f32_e32 v20, v15, v20
	v_and_b32_e32 v15, 0x7f800000, v20
	v_cmp_ne_u32_e32 vcc, s97, v15
                                        ; implicit-def: $vgpr15
	s_and_saveexec_b64 s[40:41], vcc
	s_xor_b64 s[40:41], exec, s[40:41]
; %bb.4043:                             ;   in Loop: Header=BB12_2997 Depth=2
	v_bfe_u32 v15, v20, 16, 1
	v_add3_u32 v15, v20, v15, s46
                                        ; implicit-def: $vgpr20
; %bb.4044:                             ;   in Loop: Header=BB12_2997 Depth=2
	s_andn2_saveexec_b64 s[40:41], s[40:41]
	s_cbranch_execz .LBB12_4046
; %bb.4045:                             ;   in Loop: Header=BB12_2997 Depth=2
	buffer_load_dword v21, off, s[0:3], s33 offset:128 ; 4-byte Folded Reload
	buffer_load_dword v22, off, s[0:3], s33 offset:132 ; 4-byte Folded Reload
	v_or_b32_e32 v15, 0x10000, v20
	s_waitcnt vmcnt(1)
	v_cmp_eq_u32_sdwa vcc, v20, v21 src0_sel:WORD_0 src1_sel:DWORD
	v_cndmask_b32_e32 v15, v15, v20, vcc
.LBB12_4046:                            ;   in Loop: Header=BB12_2997 Depth=2
	s_or_b64 exec, exec, s[40:41]
	v_and_b32_e32 v19, 0xffff0000, v19
	v_and_b32_e32 v13, 0xffff0000, v13
	v_add_f32_e32 v19, v13, v19
	v_and_b32_e32 v13, 0x7f800000, v19
	v_cmp_ne_u32_e32 vcc, s97, v13
                                        ; implicit-def: $vgpr13
	s_and_saveexec_b64 s[40:41], vcc
	s_xor_b64 s[40:41], exec, s[40:41]
; %bb.4047:                             ;   in Loop: Header=BB12_2997 Depth=2
	v_bfe_u32 v13, v19, 16, 1
	v_add3_u32 v13, v19, v13, s46
                                        ; implicit-def: $vgpr19
; %bb.4048:                             ;   in Loop: Header=BB12_2997 Depth=2
	s_andn2_saveexec_b64 s[40:41], s[40:41]
	s_cbranch_execz .LBB12_4050
; %bb.4049:                             ;   in Loop: Header=BB12_2997 Depth=2
	buffer_load_dword v20, off, s[0:3], s33 offset:128 ; 4-byte Folded Reload
	buffer_load_dword v21, off, s[0:3], s33 offset:132 ; 4-byte Folded Reload
	v_or_b32_e32 v13, 0x10000, v19
	s_waitcnt vmcnt(1)
	v_cmp_eq_u32_sdwa vcc, v19, v20 src0_sel:WORD_0 src1_sel:DWORD
	v_cndmask_b32_e32 v13, v13, v19, vcc
.LBB12_4050:                            ;   in Loop: Header=BB12_2997 Depth=2
	s_or_b64 exec, exec, s[40:41]
	v_and_b32_e32 v14, 0xffff0000, v14
	s_waitcnt vmcnt(1)
	v_lshlrev_b32_e32 v19, 16, v18
	v_add_f32_e32 v19, v14, v19
	v_and_b32_e32 v14, 0x7f800000, v19
	v_cmp_ne_u32_e32 vcc, s97, v14
                                        ; implicit-def: $vgpr14
	s_and_saveexec_b64 s[40:41], vcc
	s_xor_b64 s[40:41], exec, s[40:41]
; %bb.4051:                             ;   in Loop: Header=BB12_2997 Depth=2
	v_bfe_u32 v14, v19, 16, 1
	v_add3_u32 v14, v19, v14, s46
                                        ; implicit-def: $vgpr19
; %bb.4052:                             ;   in Loop: Header=BB12_2997 Depth=2
	s_andn2_saveexec_b64 s[40:41], s[40:41]
	s_cbranch_execz .LBB12_4054
; %bb.4053:                             ;   in Loop: Header=BB12_2997 Depth=2
	buffer_load_dword v20, off, s[0:3], s33 offset:128 ; 4-byte Folded Reload
	buffer_load_dword v21, off, s[0:3], s33 offset:132 ; 4-byte Folded Reload
	v_or_b32_e32 v14, 0x10000, v19
	s_waitcnt vmcnt(1)
	v_cmp_eq_u32_sdwa vcc, v19, v20 src0_sel:WORD_0 src1_sel:DWORD
	v_cndmask_b32_e32 v14, v14, v19, vcc
.LBB12_4054:                            ;   in Loop: Header=BB12_2997 Depth=2
	s_or_b64 exec, exec, s[40:41]
	v_and_b32_e32 v18, 0xffff0000, v18
	v_and_b32_e32 v3, 0xffff0000, v3
	v_add_f32_e32 v3, v3, v18
	v_and_b32_e32 v18, 0x7f800000, v3
	v_cmp_ne_u32_e32 vcc, s97, v18
                                        ; implicit-def: $vgpr18
	s_and_saveexec_b64 s[40:41], vcc
	s_xor_b64 s[40:41], exec, s[40:41]
; %bb.4055:                             ;   in Loop: Header=BB12_2997 Depth=2
	v_bfe_u32 v18, v3, 16, 1
	v_add3_u32 v18, v3, v18, s46
                                        ; implicit-def: $vgpr3
; %bb.4056:                             ;   in Loop: Header=BB12_2997 Depth=2
	s_andn2_saveexec_b64 s[40:41], s[40:41]
	s_cbranch_execz .LBB12_4058
; %bb.4057:                             ;   in Loop: Header=BB12_2997 Depth=2
	buffer_load_dword v19, off, s[0:3], s33 offset:128 ; 4-byte Folded Reload
	buffer_load_dword v20, off, s[0:3], s33 offset:132 ; 4-byte Folded Reload
	v_or_b32_e32 v18, 0x10000, v3
	s_waitcnt vmcnt(1)
	v_cmp_eq_u32_sdwa vcc, v3, v19 src0_sel:WORD_0 src1_sel:DWORD
	v_cndmask_b32_e32 v18, v18, v3, vcc
.LBB12_4058:                            ;   in Loop: Header=BB12_2997 Depth=2
	s_or_b64 exec, exec, s[40:41]
	v_and_b32_e32 v3, 0xffff0000, v4
	s_waitcnt vmcnt(0)
	v_lshlrev_b32_e32 v4, 16, v17
	v_add_f32_e32 v3, v3, v4
	v_and_b32_e32 v4, 0x7f800000, v3
	v_cmp_ne_u32_e32 vcc, s97, v4
                                        ; implicit-def: $vgpr19
	s_and_saveexec_b64 s[40:41], vcc
	s_xor_b64 s[40:41], exec, s[40:41]
; %bb.4059:                             ;   in Loop: Header=BB12_2997 Depth=2
	v_bfe_u32 v4, v3, 16, 1
	v_add3_u32 v19, v3, v4, s46
                                        ; implicit-def: $vgpr3
; %bb.4060:                             ;   in Loop: Header=BB12_2997 Depth=2
	s_andn2_saveexec_b64 s[40:41], s[40:41]
	s_cbranch_execz .LBB12_4062
; %bb.4061:                             ;   in Loop: Header=BB12_2997 Depth=2
	buffer_load_dword v19, off, s[0:3], s33 offset:128 ; 4-byte Folded Reload
	buffer_load_dword v20, off, s[0:3], s33 offset:132 ; 4-byte Folded Reload
	v_or_b32_e32 v4, 0x10000, v3
	s_waitcnt vmcnt(1)
	v_cmp_eq_u32_sdwa vcc, v3, v19 src0_sel:WORD_0 src1_sel:DWORD
	v_cndmask_b32_e32 v19, v4, v3, vcc
.LBB12_4062:                            ;   in Loop: Header=BB12_2997 Depth=2
	s_or_b64 exec, exec, s[40:41]
	v_and_b32_e32 v3, 0xffff0000, v17
	v_and_b32_e32 v2, 0xffff0000, v2
	v_add_f32_e32 v2, v2, v3
	v_and_b32_e32 v3, 0x7f800000, v2
	v_cmp_ne_u32_e32 vcc, s97, v3
                                        ; implicit-def: $vgpr17
	s_and_saveexec_b64 s[40:41], vcc
	s_xor_b64 s[40:41], exec, s[40:41]
; %bb.4063:                             ;   in Loop: Header=BB12_2997 Depth=2
	v_bfe_u32 v3, v2, 16, 1
	v_add3_u32 v17, v2, v3, s46
                                        ; implicit-def: $vgpr2
; %bb.4064:                             ;   in Loop: Header=BB12_2997 Depth=2
	s_andn2_saveexec_b64 s[40:41], s[40:41]
	s_cbranch_execz .LBB12_4066
; %bb.4065:                             ;   in Loop: Header=BB12_2997 Depth=2
	buffer_load_dword v20, off, s[0:3], s33 offset:128 ; 4-byte Folded Reload
	buffer_load_dword v21, off, s[0:3], s33 offset:132 ; 4-byte Folded Reload
	v_or_b32_e32 v3, 0x10000, v2
	s_waitcnt vmcnt(1)
	v_cmp_eq_u32_sdwa vcc, v2, v20 src0_sel:WORD_0 src1_sel:DWORD
	v_cndmask_b32_e32 v17, v3, v2, vcc
.LBB12_4066:                            ;   in Loop: Header=BB12_2997 Depth=2
	s_or_b64 exec, exec, s[40:41]
	v_lshrrev_b32_e32 v2, 16, v15
	v_and_or_b32 v3, v13, s47, v2
	v_lshrrev_b32_e32 v2, 16, v5
	v_lshrrev_b32_e32 v4, 16, v14
	v_lshrrev_b32_e32 v5, 16, v19
	v_and_or_b32 v2, v16, s47, v2
	v_and_or_b32 v4, v18, s47, v4
	;; [unrolled: 1-line block ×3, first 2 shown]
	s_mov_b64 s[34:35], 0
	s_mov_b64 s[30:31], -1
.LBB12_4067:                            ;   Parent Loop BB12_47 Depth=1
                                        ;     Parent Loop BB12_2997 Depth=2
                                        ; =>    This Inner Loop Header: Depth=3
	s_cmp_eq_u32 s34, 1
	s_cselect_b64 s[40:41], -1, 0
	v_cndmask_b32_e64 v14, v9, v12, s[40:41]
	v_cndmask_b32_e64 v13, v8, v10, s[40:41]
	global_store_dwordx4 v[13:14], v[2:5], off glc slc
	v_add_co_u32_e32 v13, vcc, 0x400, v13
	s_cmp_eq_u32 s34, 0
	v_addc_co_u32_e32 v14, vcc, 0, v14, vcc
	s_cselect_b64 vcc, -1, 0
	s_and_b64 s[42:43], exec, s[30:31]
	s_mov_b64 s[34:35], 1
	v_cndmask_b32_e64 v10, v10, v13, s[40:41]
	s_mov_b64 s[30:31], 0
	v_cndmask_b32_e64 v12, v12, v14, s[40:41]
	v_cndmask_b32_e32 v9, v9, v14, vcc
	v_cndmask_b32_e32 v8, v8, v13, vcc
	s_mov_b64 vcc, s[42:43]
	s_cbranch_vccnz .LBB12_4067
.LBB12_4068:                            ;   in Loop: Header=BB12_2997 Depth=2
	s_or_b64 exec, exec, s[94:95]
	buffer_load_dword v2, off, s[0:3], s33 offset:612 ; 4-byte Folded Reload
	s_mov_b64 s[40:41], s[90:91]
                                        ; implicit-def: $vgpr5
                                        ; implicit-def: $vgpr9
	s_waitcnt vmcnt(0)
	v_and_b32_e32 v3, 14, v2
	v_cndmask_b32_e64 v8, v7, v3, s[28:29]
	v_cmp_ne_u32_e32 vcc, 0, v8
                                        ; implicit-def: $vgpr2
	s_and_saveexec_b64 s[42:43], vcc
	s_cbranch_execz .LBB12_4070
; %bb.4069:                             ;   in Loop: Header=BB12_2997 Depth=2
	v_sub_u32_e32 v2, v7, v3
	v_cndmask_b32_e64 v2, 0, v2, s[28:29]
	v_add3_u32 v5, v6, v0, v2
	buffer_load_dword v0, off, s[0:3], s33 offset:152 ; 4-byte Folded Reload
	v_cmp_lt_i32_e32 vcc, 0, v11
	s_or_b64 s[40:41], s[90:91], exec
	s_waitcnt vmcnt(0)
	v_cndmask_b32_e32 v0, 0, v0, vcc
	v_sub_u32_e32 v0, v0, v11
	v_lshl_add_u32 v2, v0, 6, v1
	v_ashrrev_i32_e32 v0, 31, v2
	v_lshrrev_b32_e32 v0, 26, v0
	v_add_u32_e32 v0, v2, v0
	v_and_b32_e32 v0, 0xffffffc0, v0
	v_sub_u32_e32 v9, v2, v0
.LBB12_4070:                            ;   in Loop: Header=BB12_2997 Depth=2
	s_or_b64 exec, exec, s[42:43]
	s_andn2_b64 s[28:29], s[90:91], exec
	s_and_b64 s[40:41], s[40:41], exec
	s_or_b64 s[90:91], s[28:29], s[40:41]
.LBB12_4071:                            ;   in Loop: Header=BB12_2997 Depth=2
	s_or_b64 exec, exec, s[92:93]
	s_and_saveexec_b64 s[42:43], s[90:91]
	s_cbranch_execz .LBB12_4512
.LBB12_4072:                            ;   in Loop: Header=BB12_2997 Depth=2
	s_waitcnt vmcnt(1)
	v_ashrrev_i32_e32 v0, 31, v2
	v_lshrrev_b32_e32 v0, 26, v0
	v_add_u32_e32 v0, v2, v0
	v_ashrrev_i32_e32 v4, 6, v0
	v_lshlrev_b32_e32 v0, 11, v4
	s_waitcnt vmcnt(0)
	v_lshlrev_b32_e32 v1, 1, v9
	v_add3_u32 v37, v5, v1, v0
	v_ashrrev_i32_e32 v0, 31, v8
	v_lshrrev_b32_e32 v0, 21, v0
	buffer_store_dword v9, off, s[0:3], s33 offset:456 ; 4-byte Folded Spill
	buffer_store_dword v5, off, s[0:3], s33 offset:448 ; 4-byte Folded Spill
	;; [unrolled: 1-line block ×3, first 2 shown]
	v_add_u32_e32 v0, v8, v0
	v_ashrrev_i32_e32 v5, 11, v0
	buffer_load_dword v0, off, s[0:3], s33 offset:620 ; 4-byte Folded Reload
	buffer_load_dword v1, off, s[0:3], s33 offset:624 ; 4-byte Folded Reload
	v_ashrrev_i32_e32 v38, 31, v37
	v_sub_u32_e32 v12, v5, v4
	buffer_store_dword v5, off, s[0:3], s33 offset:460 ; 4-byte Folded Spill
	v_mov_b32_e32 v35, 0
	s_mov_b64 s[40:41], 0
	v_mov_b32_e32 v36, 0
	v_mov_b32_e32 v34, 0
	;; [unrolled: 1-line block ×31, first 2 shown]
	s_waitcnt vmcnt(2)
	v_add_co_u32_e32 v2, vcc, v0, v37
	s_waitcnt vmcnt(1)
	v_addc_co_u32_e32 v3, vcc, v1, v38, vcc
	v_add_co_u32_e32 v0, vcc, v52, v37
	v_addc_co_u32_e32 v1, vcc, v53, v38, vcc
	v_cmp_lt_i32_e32 vcc, 0, v12
	s_and_saveexec_b64 s[28:29], vcc
	s_cbranch_execz .LBB12_4338
; %bb.4073:                             ;   in Loop: Header=BB12_2997 Depth=2
	buffer_store_dword v52, off, s[0:3], s33 offset:480 ; 4-byte Folded Spill
	s_nop 0
	buffer_store_dword v53, off, s[0:3], s33 offset:484 ; 4-byte Folded Spill
	s_trap 2
	ds_read_b64 v[6:7], v0
	buffer_load_dword v4, off, s[0:3], s33 offset:636 ; 4-byte Folded Reload
	buffer_load_dword v5, off, s[0:3], s33 offset:640 ; 4-byte Folded Reload
                                        ; implicit-def: $vgpr9
                                        ; kill: killed $vgpr9
                                        ; implicit-def: $vgpr9
                                        ; kill: killed $vgpr9
	;; [unrolled: 2-line block ×13, first 2 shown]
                                        ; implicit-def: $vgpr9
	s_mov_b64 s[92:93], 0
	s_mov_b64 s[90:91], 0
                                        ; kill: killed $vgpr9
                                        ; implicit-def: $vgpr9
                                        ; implicit-def: $sgpr40_sgpr41
                                        ; implicit-def: $vgpr18
                                        ; implicit-def: $vgpr16
                                        ; implicit-def: $vgpr14
                                        ; implicit-def: $vgpr8
                                        ; implicit-def: $vgpr10
                                        ; implicit-def: $vgpr59
                                        ; implicit-def: $vgpr57
                                        ; implicit-def: $vgpr47
                                        ; implicit-def: $vgpr45
                                        ; implicit-def: $vgpr43
                                        ; implicit-def: $vgpr41
                                        ; implicit-def: $vgpr55
                                        ; implicit-def: $vgpr53
                                        ; implicit-def: $vgpr51
                                        ; implicit-def: $vgpr49
                                        ; implicit-def: $vgpr48
                                        ; kill: killed $vgpr9
                                        ; implicit-def: $vgpr9
                                        ; kill: killed $vgpr9
	s_waitcnt vmcnt(1)
	v_add_co_u32_e32 v4, vcc, v37, v4
	s_waitcnt vmcnt(0)
	v_addc_co_u32_e32 v5, vcc, v38, v5, vcc
	s_waitcnt lgkmcnt(0)
	v_add_co_u32_e32 v6, vcc, v6, v37
	v_addc_co_u32_e32 v7, vcc, v7, v38, vcc
	s_branch .LBB12_4075
.LBB12_4074:                            ;   in Loop: Header=BB12_4075 Depth=3
	s_or_b64 exec, exec, s[94:95]
	v_cmp_gt_i32_e32 vcc, 1, v12
	s_or_b64 s[90:91], vcc, s[90:91]
	s_andn2_b64 s[40:41], s[40:41], exec
	s_and_b64 s[94:95], s[92:93], exec
	s_or_b64 s[40:41], s[40:41], s[94:95]
	s_andn2_b64 exec, exec, s[90:91]
	s_cbranch_execz .LBB12_4337
.LBB12_4075:                            ;   Parent Loop BB12_47 Depth=1
                                        ;     Parent Loop BB12_2997 Depth=2
                                        ; =>    This Inner Loop Header: Depth=3
	flat_load_ushort v24, v[4:5] glc slc
	flat_load_ushort v23, v[4:5] offset:128 glc slc
	flat_load_ushort v22, v[4:5] offset:256 glc slc
	;; [unrolled: 1-line block ×15, first 2 shown]
	flat_load_ushort v42, v[6:7] glc slc
	flat_load_ushort v40, v[6:7] offset:128 glc slc
	flat_load_ushort v54, v[6:7] offset:256 glc slc
	;; [unrolled: 1-line block ×12, first 2 shown]
	s_waitcnt vmcnt(0) lgkmcnt(0)
	buffer_store_dword v25, off, s[0:3], s33 offset:216 ; 4-byte Folded Spill
	flat_load_ushort v25, v[6:7] offset:1664 glc slc
	s_waitcnt vmcnt(0) lgkmcnt(0)
	buffer_store_dword v25, off, s[0:3], s33 offset:200 ; 4-byte Folded Spill
	flat_load_ushort v25, v[6:7] offset:1792 glc slc
	;; [unrolled: 3-line block ×3, first 2 shown]
	s_waitcnt vmcnt(0) lgkmcnt(0)
	buffer_store_dword v25, off, s[0:3], s33 offset:168 ; 4-byte Folded Spill
	s_and_saveexec_b64 s[94:95], s[92:93]
	s_cbranch_execz .LBB12_4205
; %bb.4076:                             ;   in Loop: Header=BB12_4075 Depth=3
	s_trap 2
	ds_read_b32 v25, v0
	v_lshlrev_b32_e32 v18, 16, v18
	s_waitcnt lgkmcnt(0)
	v_lshlrev_b32_e32 v28, 16, v25
	v_mul_f32_e32 v25, v18, v28
	v_and_b32_e32 v18, 0x7f800000, v25
	v_cmp_ne_u32_e32 vcc, s97, v18
                                        ; implicit-def: $vgpr18
	s_and_saveexec_b64 s[92:93], vcc
	s_xor_b64 s[92:93], exec, s[92:93]
; %bb.4077:                             ;   in Loop: Header=BB12_4075 Depth=3
	v_bfe_u32 v18, v25, 16, 1
	v_add3_u32 v18, v25, v18, s46
                                        ; implicit-def: $vgpr25
; %bb.4078:                             ;   in Loop: Header=BB12_4075 Depth=3
	s_andn2_saveexec_b64 s[92:93], s[92:93]
	s_cbranch_execz .LBB12_4080
; %bb.4079:                             ;   in Loop: Header=BB12_4075 Depth=3
	buffer_load_dword v26, off, s[0:3], s33 offset:128 ; 4-byte Folded Reload
	buffer_load_dword v27, off, s[0:3], s33 offset:132 ; 4-byte Folded Reload
	v_or_b32_e32 v18, 0x10000, v25
	s_waitcnt vmcnt(1)
	v_cmp_eq_u32_sdwa vcc, v25, v26 src0_sel:WORD_0 src1_sel:DWORD
	v_cndmask_b32_e32 v18, v18, v25, vcc
.LBB12_4080:                            ;   in Loop: Header=BB12_4075 Depth=3
	s_or_b64 exec, exec, s[92:93]
	v_lshlrev_b32_e32 v16, 16, v16
	v_mul_f32_e32 v16, v16, v28
	v_and_b32_e32 v25, 0x7f800000, v16
	v_cmp_ne_u32_e32 vcc, s97, v25
                                        ; implicit-def: $vgpr27
	s_and_saveexec_b64 s[92:93], vcc
	s_xor_b64 s[92:93], exec, s[92:93]
	s_cbranch_execz .LBB12_4082
; %bb.4081:                             ;   in Loop: Header=BB12_4075 Depth=3
	v_bfe_u32 v25, v16, 16, 1
	s_waitcnt vmcnt(0)
	v_add3_u32 v27, v16, v25, s46
                                        ; implicit-def: $vgpr16
.LBB12_4082:                            ;   in Loop: Header=BB12_4075 Depth=3
	s_andn2_saveexec_b64 s[92:93], s[92:93]
	s_cbranch_execz .LBB12_4084
; %bb.4083:                             ;   in Loop: Header=BB12_4075 Depth=3
	buffer_load_dword v26, off, s[0:3], s33 offset:128 ; 4-byte Folded Reload
	buffer_load_dword v27, off, s[0:3], s33 offset:132 ; 4-byte Folded Reload
	v_or_b32_e32 v25, 0x10000, v16
	s_waitcnt vmcnt(1)
	v_cmp_eq_u32_sdwa vcc, v16, v26 src0_sel:WORD_0 src1_sel:DWORD
	s_waitcnt vmcnt(0)
	v_cndmask_b32_e32 v27, v25, v16, vcc
.LBB12_4084:                            ;   in Loop: Header=BB12_4075 Depth=3
	s_or_b64 exec, exec, s[92:93]
	v_lshlrev_b32_e32 v14, 16, v14
	v_mul_f32_e32 v14, v14, v28
	v_and_b32_e32 v16, 0x7f800000, v14
	v_cmp_ne_u32_e32 vcc, s97, v16
                                        ; implicit-def: $vgpr26
	s_and_saveexec_b64 s[92:93], vcc
	s_xor_b64 s[92:93], exec, s[92:93]
; %bb.4085:                             ;   in Loop: Header=BB12_4075 Depth=3
	v_bfe_u32 v16, v14, 16, 1
	v_add3_u32 v26, v14, v16, s46
                                        ; implicit-def: $vgpr14
; %bb.4086:                             ;   in Loop: Header=BB12_4075 Depth=3
	s_andn2_saveexec_b64 s[92:93], s[92:93]
	s_cbranch_execz .LBB12_4088
; %bb.4087:                             ;   in Loop: Header=BB12_4075 Depth=3
	buffer_load_dword v25, off, s[0:3], s33 offset:128 ; 4-byte Folded Reload
	buffer_load_dword v26, off, s[0:3], s33 offset:132 ; 4-byte Folded Reload
	v_or_b32_e32 v16, 0x10000, v14
	s_waitcnt vmcnt(1)
	v_cmp_eq_u32_sdwa vcc, v14, v25 src0_sel:WORD_0 src1_sel:DWORD
	s_waitcnt vmcnt(0)
	v_cndmask_b32_e32 v26, v16, v14, vcc
.LBB12_4088:                            ;   in Loop: Header=BB12_4075 Depth=3
	s_or_b64 exec, exec, s[92:93]
	v_lshlrev_b32_e32 v8, 16, v8
	v_mul_f32_e32 v8, v8, v28
	v_and_b32_e32 v14, 0x7f800000, v8
	v_cmp_ne_u32_e32 vcc, s97, v14
                                        ; implicit-def: $vgpr25
	s_and_saveexec_b64 s[92:93], vcc
	s_xor_b64 s[92:93], exec, s[92:93]
; %bb.4089:                             ;   in Loop: Header=BB12_4075 Depth=3
	v_bfe_u32 v14, v8, 16, 1
	v_add3_u32 v25, v8, v14, s46
                                        ; implicit-def: $vgpr8
; %bb.4090:                             ;   in Loop: Header=BB12_4075 Depth=3
	s_andn2_saveexec_b64 s[92:93], s[92:93]
	s_cbranch_execz .LBB12_4092
; %bb.4091:                             ;   in Loop: Header=BB12_4075 Depth=3
	buffer_load_dword v29, off, s[0:3], s33 offset:128 ; 4-byte Folded Reload
	buffer_load_dword v30, off, s[0:3], s33 offset:132 ; 4-byte Folded Reload
	v_or_b32_e32 v14, 0x10000, v8
	s_waitcnt vmcnt(1)
	v_cmp_eq_u32_sdwa vcc, v8, v29 src0_sel:WORD_0 src1_sel:DWORD
	v_cndmask_b32_e32 v25, v14, v8, vcc
.LBB12_4092:                            ;   in Loop: Header=BB12_4075 Depth=3
	s_or_b64 exec, exec, s[92:93]
	v_lshlrev_b32_e32 v8, 16, v10
	v_mul_f32_e32 v8, v8, v28
	v_and_b32_e32 v10, 0x7f800000, v8
	v_cmp_ne_u32_e32 vcc, s97, v10
                                        ; implicit-def: $vgpr60
	s_and_saveexec_b64 s[92:93], vcc
	s_xor_b64 s[92:93], exec, s[92:93]
; %bb.4093:                             ;   in Loop: Header=BB12_4075 Depth=3
	v_bfe_u32 v10, v8, 16, 1
	v_add3_u32 v60, v8, v10, s46
                                        ; implicit-def: $vgpr8
; %bb.4094:                             ;   in Loop: Header=BB12_4075 Depth=3
	s_andn2_saveexec_b64 s[92:93], s[92:93]
	s_cbranch_execz .LBB12_4096
; %bb.4095:                             ;   in Loop: Header=BB12_4075 Depth=3
	buffer_load_dword v29, off, s[0:3], s33 offset:128 ; 4-byte Folded Reload
	buffer_load_dword v30, off, s[0:3], s33 offset:132 ; 4-byte Folded Reload
	v_or_b32_e32 v10, 0x10000, v8
	s_waitcnt vmcnt(1)
	v_cmp_eq_u32_sdwa vcc, v8, v29 src0_sel:WORD_0 src1_sel:DWORD
	v_cndmask_b32_e32 v60, v10, v8, vcc
.LBB12_4096:                            ;   in Loop: Header=BB12_4075 Depth=3
	s_or_b64 exec, exec, s[92:93]
	v_lshlrev_b32_e32 v8, 16, v59
	v_mul_f32_e32 v8, v8, v28
	v_and_b32_e32 v10, 0x7f800000, v8
	v_cmp_ne_u32_e32 vcc, s97, v10
                                        ; implicit-def: $vgpr59
	s_and_saveexec_b64 s[92:93], vcc
	s_xor_b64 s[92:93], exec, s[92:93]
; %bb.4097:                             ;   in Loop: Header=BB12_4075 Depth=3
	v_bfe_u32 v10, v8, 16, 1
	v_add3_u32 v59, v8, v10, s46
                                        ; implicit-def: $vgpr8
; %bb.4098:                             ;   in Loop: Header=BB12_4075 Depth=3
	s_andn2_saveexec_b64 s[92:93], s[92:93]
	s_cbranch_execz .LBB12_4100
; %bb.4099:                             ;   in Loop: Header=BB12_4075 Depth=3
	buffer_load_dword v29, off, s[0:3], s33 offset:128 ; 4-byte Folded Reload
	buffer_load_dword v30, off, s[0:3], s33 offset:132 ; 4-byte Folded Reload
	v_or_b32_e32 v10, 0x10000, v8
	s_waitcnt vmcnt(1)
	v_cmp_eq_u32_sdwa vcc, v8, v29 src0_sel:WORD_0 src1_sel:DWORD
	v_cndmask_b32_e32 v59, v10, v8, vcc
.LBB12_4100:                            ;   in Loop: Header=BB12_4075 Depth=3
	s_or_b64 exec, exec, s[92:93]
	v_lshlrev_b32_e32 v8, 16, v57
	v_mul_f32_e32 v8, v8, v28
	v_and_b32_e32 v10, 0x7f800000, v8
	v_cmp_ne_u32_e32 vcc, s97, v10
                                        ; implicit-def: $vgpr57
	s_and_saveexec_b64 s[92:93], vcc
	s_xor_b64 s[92:93], exec, s[92:93]
; %bb.4101:                             ;   in Loop: Header=BB12_4075 Depth=3
	v_bfe_u32 v10, v8, 16, 1
	v_add3_u32 v57, v8, v10, s46
                                        ; implicit-def: $vgpr8
; %bb.4102:                             ;   in Loop: Header=BB12_4075 Depth=3
	s_andn2_saveexec_b64 s[92:93], s[92:93]
	s_cbranch_execz .LBB12_4104
; %bb.4103:                             ;   in Loop: Header=BB12_4075 Depth=3
	buffer_load_dword v29, off, s[0:3], s33 offset:128 ; 4-byte Folded Reload
	buffer_load_dword v30, off, s[0:3], s33 offset:132 ; 4-byte Folded Reload
	v_or_b32_e32 v10, 0x10000, v8
	s_waitcnt vmcnt(1)
	v_cmp_eq_u32_sdwa vcc, v8, v29 src0_sel:WORD_0 src1_sel:DWORD
	v_cndmask_b32_e32 v57, v10, v8, vcc
.LBB12_4104:                            ;   in Loop: Header=BB12_4075 Depth=3
	s_or_b64 exec, exec, s[92:93]
	v_lshlrev_b32_e32 v8, 16, v47
	v_mul_f32_e32 v8, v8, v28
	v_and_b32_e32 v10, 0x7f800000, v8
	v_cmp_ne_u32_e32 vcc, s97, v10
                                        ; implicit-def: $vgpr47
	s_and_saveexec_b64 s[92:93], vcc
	s_xor_b64 s[92:93], exec, s[92:93]
; %bb.4105:                             ;   in Loop: Header=BB12_4075 Depth=3
	v_bfe_u32 v10, v8, 16, 1
	v_add3_u32 v47, v8, v10, s46
                                        ; implicit-def: $vgpr8
; %bb.4106:                             ;   in Loop: Header=BB12_4075 Depth=3
	s_andn2_saveexec_b64 s[92:93], s[92:93]
	s_cbranch_execz .LBB12_4108
; %bb.4107:                             ;   in Loop: Header=BB12_4075 Depth=3
	buffer_load_dword v29, off, s[0:3], s33 offset:128 ; 4-byte Folded Reload
	buffer_load_dword v30, off, s[0:3], s33 offset:132 ; 4-byte Folded Reload
	v_or_b32_e32 v10, 0x10000, v8
	s_waitcnt vmcnt(1)
	v_cmp_eq_u32_sdwa vcc, v8, v29 src0_sel:WORD_0 src1_sel:DWORD
	v_cndmask_b32_e32 v47, v10, v8, vcc
.LBB12_4108:                            ;   in Loop: Header=BB12_4075 Depth=3
	s_or_b64 exec, exec, s[92:93]
	v_lshlrev_b32_e32 v8, 16, v45
	v_mul_f32_e32 v8, v8, v28
	v_and_b32_e32 v10, 0x7f800000, v8
	v_cmp_ne_u32_e32 vcc, s97, v10
                                        ; implicit-def: $vgpr45
	s_and_saveexec_b64 s[92:93], vcc
	s_xor_b64 s[92:93], exec, s[92:93]
; %bb.4109:                             ;   in Loop: Header=BB12_4075 Depth=3
	v_bfe_u32 v10, v8, 16, 1
	v_add3_u32 v45, v8, v10, s46
                                        ; implicit-def: $vgpr8
; %bb.4110:                             ;   in Loop: Header=BB12_4075 Depth=3
	s_andn2_saveexec_b64 s[92:93], s[92:93]
	s_cbranch_execz .LBB12_4112
; %bb.4111:                             ;   in Loop: Header=BB12_4075 Depth=3
	buffer_load_dword v29, off, s[0:3], s33 offset:128 ; 4-byte Folded Reload
	buffer_load_dword v30, off, s[0:3], s33 offset:132 ; 4-byte Folded Reload
	v_or_b32_e32 v10, 0x10000, v8
	s_waitcnt vmcnt(1)
	v_cmp_eq_u32_sdwa vcc, v8, v29 src0_sel:WORD_0 src1_sel:DWORD
	v_cndmask_b32_e32 v45, v10, v8, vcc
.LBB12_4112:                            ;   in Loop: Header=BB12_4075 Depth=3
	s_or_b64 exec, exec, s[92:93]
	v_lshlrev_b32_e32 v8, 16, v43
	v_mul_f32_e32 v8, v8, v28
	v_and_b32_e32 v10, 0x7f800000, v8
	v_cmp_ne_u32_e32 vcc, s97, v10
                                        ; implicit-def: $vgpr43
	s_and_saveexec_b64 s[92:93], vcc
	s_xor_b64 s[92:93], exec, s[92:93]
; %bb.4113:                             ;   in Loop: Header=BB12_4075 Depth=3
	v_bfe_u32 v10, v8, 16, 1
	v_add3_u32 v43, v8, v10, s46
                                        ; implicit-def: $vgpr8
; %bb.4114:                             ;   in Loop: Header=BB12_4075 Depth=3
	s_andn2_saveexec_b64 s[92:93], s[92:93]
	s_cbranch_execz .LBB12_4116
; %bb.4115:                             ;   in Loop: Header=BB12_4075 Depth=3
	buffer_load_dword v29, off, s[0:3], s33 offset:128 ; 4-byte Folded Reload
	buffer_load_dword v30, off, s[0:3], s33 offset:132 ; 4-byte Folded Reload
	v_or_b32_e32 v10, 0x10000, v8
	s_waitcnt vmcnt(1)
	v_cmp_eq_u32_sdwa vcc, v8, v29 src0_sel:WORD_0 src1_sel:DWORD
	v_cndmask_b32_e32 v43, v10, v8, vcc
.LBB12_4116:                            ;   in Loop: Header=BB12_4075 Depth=3
	s_or_b64 exec, exec, s[92:93]
	v_lshlrev_b32_e32 v8, 16, v41
	v_mul_f32_e32 v8, v8, v28
	v_and_b32_e32 v10, 0x7f800000, v8
	v_cmp_ne_u32_e32 vcc, s97, v10
                                        ; implicit-def: $vgpr41
	s_and_saveexec_b64 s[92:93], vcc
	s_xor_b64 s[92:93], exec, s[92:93]
; %bb.4117:                             ;   in Loop: Header=BB12_4075 Depth=3
	v_bfe_u32 v10, v8, 16, 1
	v_add3_u32 v41, v8, v10, s46
                                        ; implicit-def: $vgpr8
; %bb.4118:                             ;   in Loop: Header=BB12_4075 Depth=3
	s_andn2_saveexec_b64 s[92:93], s[92:93]
	s_cbranch_execz .LBB12_4120
; %bb.4119:                             ;   in Loop: Header=BB12_4075 Depth=3
	buffer_load_dword v29, off, s[0:3], s33 offset:128 ; 4-byte Folded Reload
	buffer_load_dword v30, off, s[0:3], s33 offset:132 ; 4-byte Folded Reload
	v_or_b32_e32 v10, 0x10000, v8
	s_waitcnt vmcnt(1)
	v_cmp_eq_u32_sdwa vcc, v8, v29 src0_sel:WORD_0 src1_sel:DWORD
	v_cndmask_b32_e32 v41, v10, v8, vcc
.LBB12_4120:                            ;   in Loop: Header=BB12_4075 Depth=3
	s_or_b64 exec, exec, s[92:93]
	v_lshlrev_b32_e32 v8, 16, v55
	v_mul_f32_e32 v8, v8, v28
	v_and_b32_e32 v10, 0x7f800000, v8
	v_cmp_ne_u32_e32 vcc, s97, v10
                                        ; implicit-def: $vgpr55
	s_and_saveexec_b64 s[92:93], vcc
	s_xor_b64 s[92:93], exec, s[92:93]
; %bb.4121:                             ;   in Loop: Header=BB12_4075 Depth=3
	v_bfe_u32 v10, v8, 16, 1
	v_add3_u32 v55, v8, v10, s46
                                        ; implicit-def: $vgpr8
; %bb.4122:                             ;   in Loop: Header=BB12_4075 Depth=3
	s_andn2_saveexec_b64 s[92:93], s[92:93]
	s_cbranch_execz .LBB12_4124
; %bb.4123:                             ;   in Loop: Header=BB12_4075 Depth=3
	buffer_load_dword v29, off, s[0:3], s33 offset:128 ; 4-byte Folded Reload
	buffer_load_dword v30, off, s[0:3], s33 offset:132 ; 4-byte Folded Reload
	v_or_b32_e32 v10, 0x10000, v8
	s_waitcnt vmcnt(1)
	v_cmp_eq_u32_sdwa vcc, v8, v29 src0_sel:WORD_0 src1_sel:DWORD
	v_cndmask_b32_e32 v55, v10, v8, vcc
.LBB12_4124:                            ;   in Loop: Header=BB12_4075 Depth=3
	s_or_b64 exec, exec, s[92:93]
	v_lshlrev_b32_e32 v8, 16, v53
	v_mul_f32_e32 v8, v8, v28
	v_and_b32_e32 v10, 0x7f800000, v8
	v_cmp_ne_u32_e32 vcc, s97, v10
                                        ; implicit-def: $vgpr16
	s_and_saveexec_b64 s[92:93], vcc
	s_xor_b64 s[92:93], exec, s[92:93]
; %bb.4125:                             ;   in Loop: Header=BB12_4075 Depth=3
	v_bfe_u32 v10, v8, 16, 1
	v_add3_u32 v16, v8, v10, s46
                                        ; implicit-def: $vgpr8
; %bb.4126:                             ;   in Loop: Header=BB12_4075 Depth=3
	s_andn2_saveexec_b64 s[92:93], s[92:93]
	s_cbranch_execz .LBB12_4128
; %bb.4127:                             ;   in Loop: Header=BB12_4075 Depth=3
	buffer_load_dword v29, off, s[0:3], s33 offset:128 ; 4-byte Folded Reload
	buffer_load_dword v30, off, s[0:3], s33 offset:132 ; 4-byte Folded Reload
	v_or_b32_e32 v10, 0x10000, v8
	s_waitcnt vmcnt(1)
	v_cmp_eq_u32_sdwa vcc, v8, v29 src0_sel:WORD_0 src1_sel:DWORD
	v_cndmask_b32_e32 v16, v10, v8, vcc
.LBB12_4128:                            ;   in Loop: Header=BB12_4075 Depth=3
	s_or_b64 exec, exec, s[92:93]
	v_lshlrev_b32_e32 v8, 16, v51
	v_mul_f32_e32 v8, v8, v28
	v_and_b32_e32 v10, 0x7f800000, v8
	v_cmp_ne_u32_e32 vcc, s97, v10
                                        ; implicit-def: $vgpr14
	s_and_saveexec_b64 s[92:93], vcc
	s_xor_b64 s[92:93], exec, s[92:93]
; %bb.4129:                             ;   in Loop: Header=BB12_4075 Depth=3
	v_bfe_u32 v10, v8, 16, 1
	v_add3_u32 v14, v8, v10, s46
                                        ; implicit-def: $vgpr8
; %bb.4130:                             ;   in Loop: Header=BB12_4075 Depth=3
	s_andn2_saveexec_b64 s[92:93], s[92:93]
	s_cbranch_execz .LBB12_4132
; %bb.4131:                             ;   in Loop: Header=BB12_4075 Depth=3
	buffer_load_dword v29, off, s[0:3], s33 offset:128 ; 4-byte Folded Reload
	buffer_load_dword v30, off, s[0:3], s33 offset:132 ; 4-byte Folded Reload
	v_or_b32_e32 v10, 0x10000, v8
	s_waitcnt vmcnt(1)
	v_cmp_eq_u32_sdwa vcc, v8, v29 src0_sel:WORD_0 src1_sel:DWORD
	v_cndmask_b32_e32 v14, v10, v8, vcc
.LBB12_4132:                            ;   in Loop: Header=BB12_4075 Depth=3
	s_or_b64 exec, exec, s[92:93]
	v_lshlrev_b32_e32 v8, 16, v49
	v_mul_f32_e32 v8, v8, v28
	v_and_b32_e32 v10, 0x7f800000, v8
	v_cmp_ne_u32_e32 vcc, s97, v10
                                        ; implicit-def: $vgpr10
	s_and_saveexec_b64 s[92:93], vcc
	s_xor_b64 s[92:93], exec, s[92:93]
; %bb.4133:                             ;   in Loop: Header=BB12_4075 Depth=3
	v_bfe_u32 v10, v8, 16, 1
	v_add3_u32 v10, v8, v10, s46
                                        ; implicit-def: $vgpr8
; %bb.4134:                             ;   in Loop: Header=BB12_4075 Depth=3
	s_andn2_saveexec_b64 s[92:93], s[92:93]
	s_cbranch_execz .LBB12_4136
; %bb.4135:                             ;   in Loop: Header=BB12_4075 Depth=3
	buffer_load_dword v29, off, s[0:3], s33 offset:128 ; 4-byte Folded Reload
	buffer_load_dword v30, off, s[0:3], s33 offset:132 ; 4-byte Folded Reload
	v_or_b32_e32 v10, 0x10000, v8
	s_waitcnt vmcnt(1)
	v_cmp_eq_u32_sdwa vcc, v8, v29 src0_sel:WORD_0 src1_sel:DWORD
	v_cndmask_b32_e32 v10, v10, v8, vcc
.LBB12_4136:                            ;   in Loop: Header=BB12_4075 Depth=3
	s_or_b64 exec, exec, s[92:93]
	v_lshlrev_b32_e32 v8, 16, v48
	v_mul_f32_e32 v28, v8, v28
	v_and_b32_e32 v8, 0x7f800000, v28
	v_cmp_ne_u32_e32 vcc, s97, v8
                                        ; implicit-def: $vgpr8
	s_and_saveexec_b64 s[92:93], vcc
	s_xor_b64 s[92:93], exec, s[92:93]
; %bb.4137:                             ;   in Loop: Header=BB12_4075 Depth=3
	v_bfe_u32 v8, v28, 16, 1
	v_add3_u32 v8, v28, v8, s46
                                        ; implicit-def: $vgpr28
; %bb.4138:                             ;   in Loop: Header=BB12_4075 Depth=3
	s_andn2_saveexec_b64 s[92:93], s[92:93]
	s_cbranch_execz .LBB12_4140
; %bb.4139:                             ;   in Loop: Header=BB12_4075 Depth=3
	buffer_load_dword v29, off, s[0:3], s33 offset:128 ; 4-byte Folded Reload
	buffer_load_dword v30, off, s[0:3], s33 offset:132 ; 4-byte Folded Reload
	v_or_b32_e32 v8, 0x10000, v28
	s_waitcnt vmcnt(1)
	v_cmp_eq_u32_sdwa vcc, v28, v29 src0_sel:WORD_0 src1_sel:DWORD
	v_cndmask_b32_e32 v8, v8, v28, vcc
.LBB12_4140:                            ;   in Loop: Header=BB12_4075 Depth=3
	s_or_b64 exec, exec, s[92:93]
	buffer_load_dword v28, off, s[0:3], s33 offset:240 ; 4-byte Folded Reload
	v_and_b32_e32 v18, 0xffff0000, v18
	s_waitcnt vmcnt(0)
	v_lshlrev_b32_e32 v28, 16, v28
	v_add_f32_e32 v28, v28, v18
	v_and_b32_e32 v18, 0x7f800000, v28
	v_cmp_ne_u32_e32 vcc, s97, v18
                                        ; implicit-def: $vgpr18
	s_and_saveexec_b64 s[92:93], vcc
	s_xor_b64 s[92:93], exec, s[92:93]
; %bb.4141:                             ;   in Loop: Header=BB12_4075 Depth=3
	v_bfe_u32 v18, v28, 16, 1
	v_add3_u32 v18, v28, v18, s46
                                        ; implicit-def: $vgpr28
; %bb.4142:                             ;   in Loop: Header=BB12_4075 Depth=3
	s_andn2_saveexec_b64 s[92:93], s[92:93]
	s_cbranch_execz .LBB12_4144
; %bb.4143:                             ;   in Loop: Header=BB12_4075 Depth=3
	buffer_load_dword v29, off, s[0:3], s33 offset:128 ; 4-byte Folded Reload
	buffer_load_dword v30, off, s[0:3], s33 offset:132 ; 4-byte Folded Reload
	v_or_b32_e32 v18, 0x10000, v28
	s_waitcnt vmcnt(1)
	v_cmp_eq_u32_sdwa vcc, v28, v29 src0_sel:WORD_0 src1_sel:DWORD
	v_cndmask_b32_e32 v18, v18, v28, vcc
.LBB12_4144:                            ;   in Loop: Header=BB12_4075 Depth=3
	s_or_b64 exec, exec, s[92:93]
	buffer_load_dword v28, off, s[0:3], s33 offset:284 ; 4-byte Folded Reload
	v_and_b32_e32 v27, 0xffff0000, v27
                                        ; implicit-def: $vgpr48
	s_waitcnt vmcnt(0)
	v_lshlrev_b32_e32 v28, 16, v28
	v_add_f32_e32 v27, v28, v27
	v_and_b32_e32 v28, 0x7f800000, v27
	v_cmp_ne_u32_e32 vcc, s97, v28
	s_and_saveexec_b64 s[92:93], vcc
	s_xor_b64 s[92:93], exec, s[92:93]
; %bb.4145:                             ;   in Loop: Header=BB12_4075 Depth=3
	v_bfe_u32 v28, v27, 16, 1
	v_add3_u32 v48, v27, v28, s46
                                        ; implicit-def: $vgpr27
; %bb.4146:                             ;   in Loop: Header=BB12_4075 Depth=3
	s_andn2_saveexec_b64 s[92:93], s[92:93]
	s_cbranch_execz .LBB12_4148
; %bb.4147:                             ;   in Loop: Header=BB12_4075 Depth=3
	buffer_load_dword v29, off, s[0:3], s33 offset:128 ; 4-byte Folded Reload
	buffer_load_dword v30, off, s[0:3], s33 offset:132 ; 4-byte Folded Reload
	v_or_b32_e32 v28, 0x10000, v27
	s_waitcnt vmcnt(1)
	v_cmp_eq_u32_sdwa vcc, v27, v29 src0_sel:WORD_0 src1_sel:DWORD
	v_cndmask_b32_e32 v48, v28, v27, vcc
.LBB12_4148:                            ;   in Loop: Header=BB12_4075 Depth=3
	s_or_b64 exec, exec, s[92:93]
	buffer_load_dword v27, off, s[0:3], s33 offset:300 ; 4-byte Folded Reload
	v_and_b32_e32 v26, 0xffff0000, v26
	s_waitcnt vmcnt(0)
	v_lshlrev_b32_e32 v27, 16, v27
	v_add_f32_e32 v27, v27, v26
	v_and_b32_e32 v26, 0x7f800000, v27
	v_cmp_ne_u32_e32 vcc, s97, v26
                                        ; implicit-def: $vgpr26
	s_and_saveexec_b64 s[92:93], vcc
	s_xor_b64 s[92:93], exec, s[92:93]
; %bb.4149:                             ;   in Loop: Header=BB12_4075 Depth=3
	v_bfe_u32 v26, v27, 16, 1
	v_add3_u32 v26, v27, v26, s46
                                        ; implicit-def: $vgpr27
; %bb.4150:                             ;   in Loop: Header=BB12_4075 Depth=3
	s_andn2_saveexec_b64 s[92:93], s[92:93]
	s_cbranch_execz .LBB12_4152
; %bb.4151:                             ;   in Loop: Header=BB12_4075 Depth=3
	buffer_load_dword v28, off, s[0:3], s33 offset:128 ; 4-byte Folded Reload
	buffer_load_dword v29, off, s[0:3], s33 offset:132 ; 4-byte Folded Reload
	v_or_b32_e32 v26, 0x10000, v27
	s_waitcnt vmcnt(1)
	v_cmp_eq_u32_sdwa vcc, v27, v28 src0_sel:WORD_0 src1_sel:DWORD
	v_cndmask_b32_e32 v26, v26, v27, vcc
.LBB12_4152:                            ;   in Loop: Header=BB12_4075 Depth=3
	s_or_b64 exec, exec, s[92:93]
	buffer_load_dword v27, off, s[0:3], s33 offset:332 ; 4-byte Folded Reload
	v_and_b32_e32 v25, 0xffff0000, v25
	s_waitcnt vmcnt(0)
	v_lshlrev_b32_e32 v27, 16, v27
	v_add_f32_e32 v27, v27, v25
	v_and_b32_e32 v25, 0x7f800000, v27
	v_cmp_ne_u32_e32 vcc, s97, v25
                                        ; implicit-def: $vgpr25
	s_and_saveexec_b64 s[92:93], vcc
	s_xor_b64 s[92:93], exec, s[92:93]
; %bb.4153:                             ;   in Loop: Header=BB12_4075 Depth=3
	v_bfe_u32 v25, v27, 16, 1
	v_add3_u32 v25, v27, v25, s46
                                        ; implicit-def: $vgpr27
; %bb.4154:                             ;   in Loop: Header=BB12_4075 Depth=3
	s_andn2_saveexec_b64 s[92:93], s[92:93]
	s_cbranch_execz .LBB12_4156
; %bb.4155:                             ;   in Loop: Header=BB12_4075 Depth=3
	buffer_load_dword v28, off, s[0:3], s33 offset:128 ; 4-byte Folded Reload
	buffer_load_dword v29, off, s[0:3], s33 offset:132 ; 4-byte Folded Reload
	v_or_b32_e32 v25, 0x10000, v27
	s_waitcnt vmcnt(1)
	v_cmp_eq_u32_sdwa vcc, v27, v28 src0_sel:WORD_0 src1_sel:DWORD
	v_cndmask_b32_e32 v25, v25, v27, vcc
.LBB12_4156:                            ;   in Loop: Header=BB12_4075 Depth=3
	s_or_b64 exec, exec, s[92:93]
	buffer_load_dword v28, off, s[0:3], s33 offset:340 ; 4-byte Folded Reload
	v_and_b32_e32 v27, 0xffff0000, v60
	s_waitcnt vmcnt(0)
	v_lshlrev_b32_e32 v28, 16, v28
	v_add_f32_e32 v28, v28, v27
	v_and_b32_e32 v27, 0x7f800000, v28
	v_cmp_ne_u32_e32 vcc, s97, v27
                                        ; implicit-def: $vgpr27
	s_and_saveexec_b64 s[92:93], vcc
	s_xor_b64 s[92:93], exec, s[92:93]
; %bb.4157:                             ;   in Loop: Header=BB12_4075 Depth=3
	v_bfe_u32 v27, v28, 16, 1
	v_add3_u32 v27, v28, v27, s46
                                        ; implicit-def: $vgpr28
; %bb.4158:                             ;   in Loop: Header=BB12_4075 Depth=3
	s_andn2_saveexec_b64 s[92:93], s[92:93]
	s_cbranch_execz .LBB12_4160
; %bb.4159:                             ;   in Loop: Header=BB12_4075 Depth=3
	buffer_load_dword v29, off, s[0:3], s33 offset:128 ; 4-byte Folded Reload
	buffer_load_dword v30, off, s[0:3], s33 offset:132 ; 4-byte Folded Reload
	v_or_b32_e32 v27, 0x10000, v28
	s_waitcnt vmcnt(1)
	v_cmp_eq_u32_sdwa vcc, v28, v29 src0_sel:WORD_0 src1_sel:DWORD
	v_cndmask_b32_e32 v27, v27, v28, vcc
.LBB12_4160:                            ;   in Loop: Header=BB12_4075 Depth=3
	s_or_b64 exec, exec, s[92:93]
	buffer_load_dword v29, off, s[0:3], s33 offset:344 ; 4-byte Folded Reload
	v_and_b32_e32 v28, 0xffff0000, v59
	s_waitcnt vmcnt(0)
	v_lshlrev_b32_e32 v29, 16, v29
	v_add_f32_e32 v29, v29, v28
	v_and_b32_e32 v28, 0x7f800000, v29
	v_cmp_ne_u32_e32 vcc, s97, v28
                                        ; implicit-def: $vgpr28
	s_and_saveexec_b64 s[92:93], vcc
	s_xor_b64 s[92:93], exec, s[92:93]
; %bb.4161:                             ;   in Loop: Header=BB12_4075 Depth=3
	v_bfe_u32 v28, v29, 16, 1
	v_add3_u32 v28, v29, v28, s46
                                        ; implicit-def: $vgpr29
; %bb.4162:                             ;   in Loop: Header=BB12_4075 Depth=3
	s_andn2_saveexec_b64 s[92:93], s[92:93]
	s_cbranch_execz .LBB12_4164
; %bb.4163:                             ;   in Loop: Header=BB12_4075 Depth=3
	buffer_load_dword v59, off, s[0:3], s33 offset:128 ; 4-byte Folded Reload
	buffer_load_dword v60, off, s[0:3], s33 offset:132 ; 4-byte Folded Reload
	v_or_b32_e32 v28, 0x10000, v29
	s_waitcnt vmcnt(1)
	v_cmp_eq_u32_sdwa vcc, v29, v59 src0_sel:WORD_0 src1_sel:DWORD
	v_cndmask_b32_e32 v28, v28, v29, vcc
.LBB12_4164:                            ;   in Loop: Header=BB12_4075 Depth=3
	s_or_b64 exec, exec, s[92:93]
	buffer_load_dword v30, off, s[0:3], s33 offset:352 ; 4-byte Folded Reload
	v_and_b32_e32 v29, 0xffff0000, v57
	s_waitcnt vmcnt(0)
	v_lshlrev_b32_e32 v30, 16, v30
	v_add_f32_e32 v30, v30, v29
	v_and_b32_e32 v29, 0x7f800000, v30
	v_cmp_ne_u32_e32 vcc, s97, v29
                                        ; implicit-def: $vgpr29
	s_and_saveexec_b64 s[92:93], vcc
	s_xor_b64 s[92:93], exec, s[92:93]
; %bb.4165:                             ;   in Loop: Header=BB12_4075 Depth=3
	v_bfe_u32 v29, v30, 16, 1
	v_add3_u32 v29, v30, v29, s46
                                        ; implicit-def: $vgpr30
; %bb.4166:                             ;   in Loop: Header=BB12_4075 Depth=3
	s_andn2_saveexec_b64 s[92:93], s[92:93]
	s_cbranch_execz .LBB12_4168
; %bb.4167:                             ;   in Loop: Header=BB12_4075 Depth=3
	buffer_load_dword v59, off, s[0:3], s33 offset:128 ; 4-byte Folded Reload
	buffer_load_dword v60, off, s[0:3], s33 offset:132 ; 4-byte Folded Reload
	v_or_b32_e32 v29, 0x10000, v30
	s_waitcnt vmcnt(1)
	v_cmp_eq_u32_sdwa vcc, v30, v59 src0_sel:WORD_0 src1_sel:DWORD
	v_cndmask_b32_e32 v29, v29, v30, vcc
.LBB12_4168:                            ;   in Loop: Header=BB12_4075 Depth=3
	s_or_b64 exec, exec, s[92:93]
	buffer_load_dword v31, off, s[0:3], s33 offset:356 ; 4-byte Folded Reload
	v_and_b32_e32 v30, 0xffff0000, v47
	s_waitcnt vmcnt(0)
	v_lshlrev_b32_e32 v49, 16, v31
	v_add_f32_e32 v49, v49, v30
	v_and_b32_e32 v30, 0x7f800000, v49
	v_cmp_ne_u32_e32 vcc, s97, v30
                                        ; implicit-def: $vgpr30
	s_and_saveexec_b64 s[92:93], vcc
	s_xor_b64 s[92:93], exec, s[92:93]
; %bb.4169:                             ;   in Loop: Header=BB12_4075 Depth=3
	v_bfe_u32 v30, v49, 16, 1
	v_add3_u32 v30, v49, v30, s46
                                        ; implicit-def: $vgpr49
; %bb.4170:                             ;   in Loop: Header=BB12_4075 Depth=3
	s_andn2_saveexec_b64 s[92:93], s[92:93]
	s_cbranch_execz .LBB12_4172
; %bb.4171:                             ;   in Loop: Header=BB12_4075 Depth=3
	buffer_load_dword v59, off, s[0:3], s33 offset:128 ; 4-byte Folded Reload
	buffer_load_dword v60, off, s[0:3], s33 offset:132 ; 4-byte Folded Reload
	v_or_b32_e32 v30, 0x10000, v49
	s_waitcnt vmcnt(1)
	v_cmp_eq_u32_sdwa vcc, v49, v59 src0_sel:WORD_0 src1_sel:DWORD
	v_cndmask_b32_e32 v30, v30, v49, vcc
.LBB12_4172:                            ;   in Loop: Header=BB12_4075 Depth=3
	s_or_b64 exec, exec, s[92:93]
	buffer_load_dword v31, off, s[0:3], s33 offset:360 ; 4-byte Folded Reload
	v_and_b32_e32 v49, 0xffff0000, v45
                                        ; implicit-def: $vgpr45
	s_waitcnt vmcnt(0)
	v_lshlrev_b32_e32 v51, 16, v31
	v_add_f32_e32 v49, v51, v49
	v_and_b32_e32 v51, 0x7f800000, v49
	v_cmp_ne_u32_e32 vcc, s97, v51
	s_and_saveexec_b64 s[92:93], vcc
	s_xor_b64 s[92:93], exec, s[92:93]
; %bb.4173:                             ;   in Loop: Header=BB12_4075 Depth=3
	v_bfe_u32 v51, v49, 16, 1
	v_add3_u32 v45, v49, v51, s46
                                        ; implicit-def: $vgpr49
; %bb.4174:                             ;   in Loop: Header=BB12_4075 Depth=3
	s_andn2_saveexec_b64 s[92:93], s[92:93]
	s_cbranch_execz .LBB12_4176
; %bb.4175:                             ;   in Loop: Header=BB12_4075 Depth=3
	buffer_load_dword v59, off, s[0:3], s33 offset:128 ; 4-byte Folded Reload
	buffer_load_dword v60, off, s[0:3], s33 offset:132 ; 4-byte Folded Reload
	v_or_b32_e32 v51, 0x10000, v49
	s_waitcnt vmcnt(1)
	v_cmp_eq_u32_sdwa vcc, v49, v59 src0_sel:WORD_0 src1_sel:DWORD
	v_cndmask_b32_e32 v45, v51, v49, vcc
.LBB12_4176:                            ;   in Loop: Header=BB12_4075 Depth=3
	s_or_b64 exec, exec, s[92:93]
	buffer_load_dword v31, off, s[0:3], s33 offset:364 ; 4-byte Folded Reload
	v_and_b32_e32 v49, 0xffff0000, v43
                                        ; implicit-def: $vgpr43
	s_waitcnt vmcnt(0)
	v_lshlrev_b32_e32 v51, 16, v31
	v_add_f32_e32 v49, v51, v49
	v_and_b32_e32 v51, 0x7f800000, v49
	v_cmp_ne_u32_e32 vcc, s97, v51
	s_and_saveexec_b64 s[92:93], vcc
	s_xor_b64 s[92:93], exec, s[92:93]
; %bb.4177:                             ;   in Loop: Header=BB12_4075 Depth=3
	v_bfe_u32 v51, v49, 16, 1
	v_add3_u32 v43, v49, v51, s46
                                        ; implicit-def: $vgpr49
; %bb.4178:                             ;   in Loop: Header=BB12_4075 Depth=3
	s_andn2_saveexec_b64 s[92:93], s[92:93]
	s_cbranch_execz .LBB12_4180
; %bb.4179:                             ;   in Loop: Header=BB12_4075 Depth=3
	buffer_load_dword v59, off, s[0:3], s33 offset:128 ; 4-byte Folded Reload
	buffer_load_dword v60, off, s[0:3], s33 offset:132 ; 4-byte Folded Reload
	v_or_b32_e32 v51, 0x10000, v49
	s_waitcnt vmcnt(1)
	v_cmp_eq_u32_sdwa vcc, v49, v59 src0_sel:WORD_0 src1_sel:DWORD
	v_cndmask_b32_e32 v43, v51, v49, vcc
.LBB12_4180:                            ;   in Loop: Header=BB12_4075 Depth=3
	s_or_b64 exec, exec, s[92:93]
	buffer_load_dword v31, off, s[0:3], s33 offset:368 ; 4-byte Folded Reload
	v_and_b32_e32 v49, 0xffff0000, v41
                                        ; implicit-def: $vgpr41
	s_waitcnt vmcnt(0)
	v_lshlrev_b32_e32 v51, 16, v31
	v_add_f32_e32 v49, v51, v49
	v_and_b32_e32 v51, 0x7f800000, v49
	v_cmp_ne_u32_e32 vcc, s97, v51
	s_and_saveexec_b64 s[92:93], vcc
	s_xor_b64 s[92:93], exec, s[92:93]
; %bb.4181:                             ;   in Loop: Header=BB12_4075 Depth=3
	v_bfe_u32 v51, v49, 16, 1
	v_add3_u32 v41, v49, v51, s46
                                        ; implicit-def: $vgpr49
; %bb.4182:                             ;   in Loop: Header=BB12_4075 Depth=3
	s_andn2_saveexec_b64 s[92:93], s[92:93]
	s_cbranch_execz .LBB12_4184
; %bb.4183:                             ;   in Loop: Header=BB12_4075 Depth=3
	buffer_load_dword v59, off, s[0:3], s33 offset:128 ; 4-byte Folded Reload
	buffer_load_dword v60, off, s[0:3], s33 offset:132 ; 4-byte Folded Reload
	v_or_b32_e32 v51, 0x10000, v49
	s_waitcnt vmcnt(1)
	v_cmp_eq_u32_sdwa vcc, v49, v59 src0_sel:WORD_0 src1_sel:DWORD
	v_cndmask_b32_e32 v41, v51, v49, vcc
.LBB12_4184:                            ;   in Loop: Header=BB12_4075 Depth=3
	s_or_b64 exec, exec, s[92:93]
	buffer_load_dword v31, off, s[0:3], s33 offset:372 ; 4-byte Folded Reload
	v_and_b32_e32 v49, 0xffff0000, v55
                                        ; implicit-def: $vgpr55
	s_waitcnt vmcnt(0)
	v_lshlrev_b32_e32 v51, 16, v31
	v_add_f32_e32 v49, v51, v49
	v_and_b32_e32 v51, 0x7f800000, v49
	v_cmp_ne_u32_e32 vcc, s97, v51
	s_and_saveexec_b64 s[92:93], vcc
	s_xor_b64 s[92:93], exec, s[92:93]
; %bb.4185:                             ;   in Loop: Header=BB12_4075 Depth=3
	v_bfe_u32 v51, v49, 16, 1
	v_add3_u32 v55, v49, v51, s46
                                        ; implicit-def: $vgpr49
; %bb.4186:                             ;   in Loop: Header=BB12_4075 Depth=3
	s_andn2_saveexec_b64 s[92:93], s[92:93]
	s_cbranch_execz .LBB12_4188
; %bb.4187:                             ;   in Loop: Header=BB12_4075 Depth=3
	buffer_load_dword v59, off, s[0:3], s33 offset:128 ; 4-byte Folded Reload
	buffer_load_dword v60, off, s[0:3], s33 offset:132 ; 4-byte Folded Reload
	v_or_b32_e32 v51, 0x10000, v49
	s_waitcnt vmcnt(1)
	v_cmp_eq_u32_sdwa vcc, v49, v59 src0_sel:WORD_0 src1_sel:DWORD
	v_cndmask_b32_e32 v55, v51, v49, vcc
.LBB12_4188:                            ;   in Loop: Header=BB12_4075 Depth=3
	s_or_b64 exec, exec, s[92:93]
	buffer_load_dword v31, off, s[0:3], s33 offset:376 ; 4-byte Folded Reload
	v_and_b32_e32 v16, 0xffff0000, v16
	s_waitcnt vmcnt(0)
	v_lshlrev_b32_e32 v49, 16, v31
	v_add_f32_e32 v49, v49, v16
	v_and_b32_e32 v16, 0x7f800000, v49
	v_cmp_ne_u32_e32 vcc, s97, v16
                                        ; implicit-def: $vgpr16
	s_and_saveexec_b64 s[92:93], vcc
	s_xor_b64 s[92:93], exec, s[92:93]
; %bb.4189:                             ;   in Loop: Header=BB12_4075 Depth=3
	v_bfe_u32 v16, v49, 16, 1
	v_add3_u32 v16, v49, v16, s46
                                        ; implicit-def: $vgpr49
; %bb.4190:                             ;   in Loop: Header=BB12_4075 Depth=3
	s_andn2_saveexec_b64 s[92:93], s[92:93]
	s_cbranch_execz .LBB12_4192
; %bb.4191:                             ;   in Loop: Header=BB12_4075 Depth=3
	buffer_load_dword v59, off, s[0:3], s33 offset:128 ; 4-byte Folded Reload
	buffer_load_dword v60, off, s[0:3], s33 offset:132 ; 4-byte Folded Reload
	v_or_b32_e32 v16, 0x10000, v49
	s_waitcnt vmcnt(1)
	v_cmp_eq_u32_sdwa vcc, v49, v59 src0_sel:WORD_0 src1_sel:DWORD
	v_cndmask_b32_e32 v16, v16, v49, vcc
.LBB12_4192:                            ;   in Loop: Header=BB12_4075 Depth=3
	s_or_b64 exec, exec, s[92:93]
	buffer_load_dword v31, off, s[0:3], s33 offset:380 ; 4-byte Folded Reload
	v_and_b32_e32 v14, 0xffff0000, v14
	s_waitcnt vmcnt(0)
	v_lshlrev_b32_e32 v49, 16, v31
	v_add_f32_e32 v49, v49, v14
	v_and_b32_e32 v14, 0x7f800000, v49
	v_cmp_ne_u32_e32 vcc, s97, v14
                                        ; implicit-def: $vgpr14
	s_and_saveexec_b64 s[92:93], vcc
	s_xor_b64 s[92:93], exec, s[92:93]
; %bb.4193:                             ;   in Loop: Header=BB12_4075 Depth=3
	v_bfe_u32 v14, v49, 16, 1
	v_add3_u32 v14, v49, v14, s46
                                        ; implicit-def: $vgpr49
; %bb.4194:                             ;   in Loop: Header=BB12_4075 Depth=3
	s_andn2_saveexec_b64 s[92:93], s[92:93]
	s_cbranch_execz .LBB12_4196
; %bb.4195:                             ;   in Loop: Header=BB12_4075 Depth=3
	buffer_load_dword v59, off, s[0:3], s33 offset:128 ; 4-byte Folded Reload
	buffer_load_dword v60, off, s[0:3], s33 offset:132 ; 4-byte Folded Reload
	v_or_b32_e32 v14, 0x10000, v49
	s_waitcnt vmcnt(1)
	v_cmp_eq_u32_sdwa vcc, v49, v59 src0_sel:WORD_0 src1_sel:DWORD
	v_cndmask_b32_e32 v14, v14, v49, vcc
.LBB12_4196:                            ;   in Loop: Header=BB12_4075 Depth=3
	s_or_b64 exec, exec, s[92:93]
	buffer_load_dword v31, off, s[0:3], s33 offset:440 ; 4-byte Folded Reload
	v_and_b32_e32 v10, 0xffff0000, v10
	s_waitcnt vmcnt(0)
	v_lshlrev_b32_e32 v49, 16, v31
	v_add_f32_e32 v49, v49, v10
	v_and_b32_e32 v10, 0x7f800000, v49
	v_cmp_ne_u32_e32 vcc, s97, v10
                                        ; implicit-def: $vgpr10
	s_and_saveexec_b64 s[92:93], vcc
	s_xor_b64 s[92:93], exec, s[92:93]
; %bb.4197:                             ;   in Loop: Header=BB12_4075 Depth=3
	v_bfe_u32 v10, v49, 16, 1
	v_add3_u32 v10, v49, v10, s46
                                        ; implicit-def: $vgpr49
; %bb.4198:                             ;   in Loop: Header=BB12_4075 Depth=3
	s_andn2_saveexec_b64 s[92:93], s[92:93]
	s_cbranch_execz .LBB12_4200
; %bb.4199:                             ;   in Loop: Header=BB12_4075 Depth=3
	buffer_load_dword v59, off, s[0:3], s33 offset:128 ; 4-byte Folded Reload
	buffer_load_dword v60, off, s[0:3], s33 offset:132 ; 4-byte Folded Reload
	v_or_b32_e32 v10, 0x10000, v49
	s_waitcnt vmcnt(1)
	v_cmp_eq_u32_sdwa vcc, v49, v59 src0_sel:WORD_0 src1_sel:DWORD
	v_cndmask_b32_e32 v10, v10, v49, vcc
.LBB12_4200:                            ;   in Loop: Header=BB12_4075 Depth=3
	s_or_b64 exec, exec, s[92:93]
	buffer_load_dword v31, off, s[0:3], s33 offset:444 ; 4-byte Folded Reload
	v_and_b32_e32 v8, 0xffff0000, v8
                                        ; implicit-def: $vgpr60
	s_waitcnt vmcnt(0)
	v_lshlrev_b32_e32 v49, 16, v31
	v_add_f32_e32 v8, v49, v8
	v_and_b32_e32 v49, 0x7f800000, v8
	v_cmp_ne_u32_e32 vcc, s97, v49
	s_and_saveexec_b64 s[92:93], vcc
	s_xor_b64 s[92:93], exec, s[92:93]
; %bb.4201:                             ;   in Loop: Header=BB12_4075 Depth=3
	v_bfe_u32 v49, v8, 16, 1
	v_add3_u32 v60, v8, v49, s46
                                        ; implicit-def: $vgpr8
; %bb.4202:                             ;   in Loop: Header=BB12_4075 Depth=3
	s_andn2_saveexec_b64 s[92:93], s[92:93]
	s_cbranch_execz .LBB12_4204
; %bb.4203:                             ;   in Loop: Header=BB12_4075 Depth=3
	buffer_load_dword v59, off, s[0:3], s33 offset:128 ; 4-byte Folded Reload
	buffer_load_dword v60, off, s[0:3], s33 offset:132 ; 4-byte Folded Reload
	v_or_b32_e32 v49, 0x10000, v8
	s_waitcnt vmcnt(1)
	v_cmp_eq_u32_sdwa vcc, v8, v59 src0_sel:WORD_0 src1_sel:DWORD
	s_waitcnt vmcnt(0)
	v_cndmask_b32_e32 v60, v49, v8, vcc
.LBB12_4204:                            ;   in Loop: Header=BB12_4075 Depth=3
	s_or_b64 exec, exec, s[92:93]
	v_lshrrev_b32_e32 v18, 16, v18
	v_lshrrev_b32_e32 v49, 16, v10
	;; [unrolled: 1-line block ×16, first 2 shown]
	flat_store_short v[2:3], v18 glc slc
	flat_store_short v[2:3], v16 offset:128 glc slc
	flat_store_short v[2:3], v14 offset:256 glc slc
	;; [unrolled: 1-line block ×15, first 2 shown]
	flat_store_short v[0:1], v18 glc slc
	flat_store_short v[0:1], v16 offset:128 glc slc
	flat_store_short v[0:1], v14 offset:256 glc slc
	;; [unrolled: 1-line block ×15, first 2 shown]
	buffer_load_dword v25, off, s[0:3], s33 offset:232 ; 4-byte Folded Reload
	buffer_load_dword v26, off, s[0:3], s33 offset:236 ; 4-byte Folded Reload
	s_waitcnt vmcnt(0)
	v_add_co_u32_e32 v2, vcc, v2, v25
	v_addc_co_u32_e32 v3, vcc, v3, v26, vcc
	v_add_co_u32_e32 v0, vcc, v0, v25
	v_addc_co_u32_e32 v1, vcc, v1, v26, vcc
.LBB12_4205:                            ;   in Loop: Header=BB12_4075 Depth=3
	s_or_b64 exec, exec, s[94:95]
	buffer_load_dword v25, off, s[0:3], s33 offset:232 ; 4-byte Folded Reload
	buffer_load_dword v26, off, s[0:3], s33 offset:236 ; 4-byte Folded Reload
	s_waitcnt vmcnt(0)
	v_add_co_u32_e32 v4, vcc, v4, v25
	v_addc_co_u32_e32 v5, vcc, v5, v26, vcc
	v_add_co_u32_e32 v6, vcc, v6, v25
	buffer_load_dword v25, off, s[0:3], s33 offset:152 ; 4-byte Folded Reload
	v_addc_co_u32_e32 v7, vcc, v7, v26, vcc
	s_waitcnt vmcnt(0)
	v_sub_u32_e32 v12, v12, v25
	v_cmp_lt_i32_e64 s[92:93], 0, v12
	s_and_saveexec_b64 s[94:95], s[92:93]
	s_cbranch_execz .LBB12_4207
; %bb.4206:                             ;   in Loop: Header=BB12_4075 Depth=3
	flat_load_ushort v18, v[4:5] glc slc
	flat_load_ushort v16, v[4:5] offset:128 glc slc
	flat_load_ushort v14, v[4:5] offset:256 glc slc
	;; [unrolled: 1-line block ×15, first 2 shown]
	flat_load_ushort v25, v[6:7] glc slc
	v_add_co_u32_e32 v4, vcc, s64, v4
	v_addc_co_u32_e32 v5, vcc, 0, v5, vcc
	s_waitcnt vmcnt(0) lgkmcnt(0)
	buffer_store_dword v25, off, s[0:3], s33 offset:240 ; 4-byte Folded Spill
	flat_load_ushort v25, v[6:7] offset:128 glc slc
	s_waitcnt vmcnt(0) lgkmcnt(0)
	buffer_store_dword v25, off, s[0:3], s33 offset:284 ; 4-byte Folded Spill
	flat_load_ushort v25, v[6:7] offset:256 glc slc
	;; [unrolled: 3-line block ×15, first 2 shown]
	v_add_co_u32_e32 v6, vcc, 0x800, v6
	v_addc_co_u32_e32 v7, vcc, 0, v7, vcc
	s_waitcnt vmcnt(0) lgkmcnt(0)
	buffer_store_dword v25, off, s[0:3], s33 offset:444 ; 4-byte Folded Spill
.LBB12_4207:                            ;   in Loop: Header=BB12_4075 Depth=3
	s_or_b64 exec, exec, s[94:95]
	s_trap 2
	ds_read_b32 v25, v0
	v_lshlrev_b32_e32 v24, 16, v24
                                        ; implicit-def: $vgpr29
	s_waitcnt lgkmcnt(0)
	v_lshlrev_b32_e32 v30, 16, v25
	v_mul_f32_e32 v24, v24, v30
	v_and_b32_e32 v25, 0x7f800000, v24
	v_cmp_ne_u32_e32 vcc, s97, v25
	s_and_saveexec_b64 s[94:95], vcc
	s_xor_b64 s[94:95], exec, s[94:95]
; %bb.4208:                             ;   in Loop: Header=BB12_4075 Depth=3
	v_bfe_u32 v25, v24, 16, 1
	v_add3_u32 v29, v24, v25, s46
                                        ; implicit-def: $vgpr24
; %bb.4209:                             ;   in Loop: Header=BB12_4075 Depth=3
	s_andn2_saveexec_b64 s[94:95], s[94:95]
	s_cbranch_execz .LBB12_4211
; %bb.4210:                             ;   in Loop: Header=BB12_4075 Depth=3
	buffer_load_dword v26, off, s[0:3], s33 offset:128 ; 4-byte Folded Reload
	buffer_load_dword v27, off, s[0:3], s33 offset:132 ; 4-byte Folded Reload
	v_or_b32_e32 v25, 0x10000, v24
	s_waitcnt vmcnt(1)
	v_cmp_eq_u32_sdwa vcc, v24, v26 src0_sel:WORD_0 src1_sel:DWORD
	v_cndmask_b32_e32 v29, v25, v24, vcc
.LBB12_4211:                            ;   in Loop: Header=BB12_4075 Depth=3
	s_or_b64 exec, exec, s[94:95]
	v_lshlrev_b32_e32 v23, 16, v23
	v_mul_f32_e32 v23, v23, v30
	v_and_b32_e32 v24, 0x7f800000, v23
	v_cmp_ne_u32_e32 vcc, s97, v24
                                        ; implicit-def: $vgpr28
	s_and_saveexec_b64 s[94:95], vcc
	s_xor_b64 s[94:95], exec, s[94:95]
; %bb.4212:                             ;   in Loop: Header=BB12_4075 Depth=3
	v_bfe_u32 v24, v23, 16, 1
	v_add3_u32 v28, v23, v24, s46
                                        ; implicit-def: $vgpr23
; %bb.4213:                             ;   in Loop: Header=BB12_4075 Depth=3
	s_andn2_saveexec_b64 s[94:95], s[94:95]
	s_cbranch_execz .LBB12_4215
; %bb.4214:                             ;   in Loop: Header=BB12_4075 Depth=3
	buffer_load_dword v25, off, s[0:3], s33 offset:128 ; 4-byte Folded Reload
	buffer_load_dword v26, off, s[0:3], s33 offset:132 ; 4-byte Folded Reload
	v_or_b32_e32 v24, 0x10000, v23
	s_waitcnt vmcnt(1)
	v_cmp_eq_u32_sdwa vcc, v23, v25 src0_sel:WORD_0 src1_sel:DWORD
	v_cndmask_b32_e32 v28, v24, v23, vcc
.LBB12_4215:                            ;   in Loop: Header=BB12_4075 Depth=3
	s_or_b64 exec, exec, s[94:95]
	v_lshlrev_b32_e32 v22, 16, v22
	v_mul_f32_e32 v22, v22, v30
	v_and_b32_e32 v23, 0x7f800000, v22
	v_cmp_ne_u32_e32 vcc, s97, v23
                                        ; implicit-def: $vgpr27
	s_and_saveexec_b64 s[94:95], vcc
	s_xor_b64 s[94:95], exec, s[94:95]
	s_cbranch_execz .LBB12_4217
; %bb.4216:                             ;   in Loop: Header=BB12_4075 Depth=3
	v_bfe_u32 v23, v22, 16, 1
	s_waitcnt vmcnt(0)
	v_add3_u32 v27, v22, v23, s46
                                        ; implicit-def: $vgpr22
.LBB12_4217:                            ;   in Loop: Header=BB12_4075 Depth=3
	s_andn2_saveexec_b64 s[94:95], s[94:95]
	s_cbranch_execz .LBB12_4219
; %bb.4218:                             ;   in Loop: Header=BB12_4075 Depth=3
	buffer_load_dword v24, off, s[0:3], s33 offset:128 ; 4-byte Folded Reload
	buffer_load_dword v25, off, s[0:3], s33 offset:132 ; 4-byte Folded Reload
	v_or_b32_e32 v23, 0x10000, v22
	s_waitcnt vmcnt(1)
	v_cmp_eq_u32_sdwa vcc, v22, v24 src0_sel:WORD_0 src1_sel:DWORD
	v_cndmask_b32_e32 v27, v23, v22, vcc
.LBB12_4219:                            ;   in Loop: Header=BB12_4075 Depth=3
	s_or_b64 exec, exec, s[94:95]
	v_lshlrev_b32_e32 v21, 16, v21
	v_mul_f32_e32 v21, v21, v30
	v_and_b32_e32 v22, 0x7f800000, v21
	v_cmp_ne_u32_e32 vcc, s97, v22
                                        ; implicit-def: $vgpr26
	s_and_saveexec_b64 s[94:95], vcc
	s_xor_b64 s[94:95], exec, s[94:95]
	s_cbranch_execz .LBB12_4221
; %bb.4220:                             ;   in Loop: Header=BB12_4075 Depth=3
	v_bfe_u32 v22, v21, 16, 1
	s_waitcnt vmcnt(0)
	v_add3_u32 v26, v21, v22, s46
                                        ; implicit-def: $vgpr21
.LBB12_4221:                            ;   in Loop: Header=BB12_4075 Depth=3
	s_andn2_saveexec_b64 s[94:95], s[94:95]
	s_cbranch_execz .LBB12_4223
; %bb.4222:                             ;   in Loop: Header=BB12_4075 Depth=3
	buffer_load_dword v23, off, s[0:3], s33 offset:128 ; 4-byte Folded Reload
	buffer_load_dword v24, off, s[0:3], s33 offset:132 ; 4-byte Folded Reload
	v_or_b32_e32 v22, 0x10000, v21
	s_waitcnt vmcnt(1)
	v_cmp_eq_u32_sdwa vcc, v21, v23 src0_sel:WORD_0 src1_sel:DWORD
	v_cndmask_b32_e32 v26, v22, v21, vcc
.LBB12_4223:                            ;   in Loop: Header=BB12_4075 Depth=3
	s_or_b64 exec, exec, s[94:95]
	v_lshlrev_b32_e32 v20, 16, v20
	v_mul_f32_e32 v20, v20, v30
	v_and_b32_e32 v21, 0x7f800000, v20
	v_cmp_ne_u32_e32 vcc, s97, v21
                                        ; implicit-def: $vgpr25
	s_and_saveexec_b64 s[94:95], vcc
	s_xor_b64 s[94:95], exec, s[94:95]
	s_cbranch_execz .LBB12_4225
; %bb.4224:                             ;   in Loop: Header=BB12_4075 Depth=3
	v_bfe_u32 v21, v20, 16, 1
	s_waitcnt vmcnt(0)
	v_add3_u32 v25, v20, v21, s46
                                        ; implicit-def: $vgpr20
.LBB12_4225:                            ;   in Loop: Header=BB12_4075 Depth=3
	s_andn2_saveexec_b64 s[94:95], s[94:95]
	s_cbranch_execz .LBB12_4227
; %bb.4226:                             ;   in Loop: Header=BB12_4075 Depth=3
	buffer_load_dword v22, off, s[0:3], s33 offset:128 ; 4-byte Folded Reload
	buffer_load_dword v23, off, s[0:3], s33 offset:132 ; 4-byte Folded Reload
	v_or_b32_e32 v21, 0x10000, v20
	s_waitcnt vmcnt(1)
	v_cmp_eq_u32_sdwa vcc, v20, v22 src0_sel:WORD_0 src1_sel:DWORD
	v_cndmask_b32_e32 v25, v21, v20, vcc
.LBB12_4227:                            ;   in Loop: Header=BB12_4075 Depth=3
	s_or_b64 exec, exec, s[94:95]
	v_lshlrev_b32_e32 v19, 16, v19
	v_mul_f32_e32 v19, v19, v30
	v_and_b32_e32 v20, 0x7f800000, v19
	v_cmp_ne_u32_e32 vcc, s97, v20
                                        ; implicit-def: $vgpr60
	s_and_saveexec_b64 s[94:95], vcc
	s_xor_b64 s[94:95], exec, s[94:95]
; %bb.4228:                             ;   in Loop: Header=BB12_4075 Depth=3
	v_bfe_u32 v20, v19, 16, 1
	v_add3_u32 v60, v19, v20, s46
                                        ; implicit-def: $vgpr19
; %bb.4229:                             ;   in Loop: Header=BB12_4075 Depth=3
	s_andn2_saveexec_b64 s[94:95], s[94:95]
	s_cbranch_execz .LBB12_4231
; %bb.4230:                             ;   in Loop: Header=BB12_4075 Depth=3
	buffer_load_dword v21, off, s[0:3], s33 offset:128 ; 4-byte Folded Reload
	buffer_load_dword v22, off, s[0:3], s33 offset:132 ; 4-byte Folded Reload
	v_or_b32_e32 v20, 0x10000, v19
	s_waitcnt vmcnt(1)
	v_cmp_eq_u32_sdwa vcc, v19, v21 src0_sel:WORD_0 src1_sel:DWORD
	v_cndmask_b32_e32 v60, v20, v19, vcc
.LBB12_4231:                            ;   in Loop: Header=BB12_4075 Depth=3
	s_or_b64 exec, exec, s[94:95]
	v_lshlrev_b32_e32 v17, 16, v17
	v_mul_f32_e32 v17, v17, v30
	v_and_b32_e32 v19, 0x7f800000, v17
	v_cmp_ne_u32_e32 vcc, s97, v19
                                        ; implicit-def: $vgpr24
	s_and_saveexec_b64 s[94:95], vcc
	s_xor_b64 s[94:95], exec, s[94:95]
	s_cbranch_execz .LBB12_4233
; %bb.4232:                             ;   in Loop: Header=BB12_4075 Depth=3
	v_bfe_u32 v19, v17, 16, 1
	s_waitcnt vmcnt(0)
	v_add3_u32 v24, v17, v19, s46
                                        ; implicit-def: $vgpr17
.LBB12_4233:                            ;   in Loop: Header=BB12_4075 Depth=3
	s_andn2_saveexec_b64 s[94:95], s[94:95]
	s_cbranch_execz .LBB12_4235
; %bb.4234:                             ;   in Loop: Header=BB12_4075 Depth=3
	buffer_load_dword v20, off, s[0:3], s33 offset:128 ; 4-byte Folded Reload
	buffer_load_dword v21, off, s[0:3], s33 offset:132 ; 4-byte Folded Reload
	v_or_b32_e32 v19, 0x10000, v17
	s_waitcnt vmcnt(1)
	v_cmp_eq_u32_sdwa vcc, v17, v20 src0_sel:WORD_0 src1_sel:DWORD
	v_cndmask_b32_e32 v24, v19, v17, vcc
.LBB12_4235:                            ;   in Loop: Header=BB12_4075 Depth=3
	s_or_b64 exec, exec, s[94:95]
	v_lshlrev_b32_e32 v15, 16, v15
	v_mul_f32_e32 v15, v15, v30
	v_and_b32_e32 v17, 0x7f800000, v15
	v_cmp_ne_u32_e32 vcc, s97, v17
                                        ; implicit-def: $vgpr23
	s_and_saveexec_b64 s[94:95], vcc
	s_xor_b64 s[94:95], exec, s[94:95]
	s_cbranch_execz .LBB12_4237
; %bb.4236:                             ;   in Loop: Header=BB12_4075 Depth=3
	v_bfe_u32 v17, v15, 16, 1
	s_waitcnt vmcnt(0)
	v_add3_u32 v23, v15, v17, s46
                                        ; implicit-def: $vgpr15
.LBB12_4237:                            ;   in Loop: Header=BB12_4075 Depth=3
	s_andn2_saveexec_b64 s[94:95], s[94:95]
	s_cbranch_execz .LBB12_4239
; %bb.4238:                             ;   in Loop: Header=BB12_4075 Depth=3
	buffer_load_dword v19, off, s[0:3], s33 offset:128 ; 4-byte Folded Reload
	buffer_load_dword v20, off, s[0:3], s33 offset:132 ; 4-byte Folded Reload
	v_or_b32_e32 v17, 0x10000, v15
	s_waitcnt vmcnt(1)
	v_cmp_eq_u32_sdwa vcc, v15, v19 src0_sel:WORD_0 src1_sel:DWORD
	v_cndmask_b32_e32 v23, v17, v15, vcc
.LBB12_4239:                            ;   in Loop: Header=BB12_4075 Depth=3
	s_or_b64 exec, exec, s[94:95]
	v_lshlrev_b32_e32 v13, 16, v13
	v_mul_f32_e32 v13, v13, v30
	v_and_b32_e32 v15, 0x7f800000, v13
	v_cmp_ne_u32_e32 vcc, s97, v15
                                        ; implicit-def: $vgpr22
	s_and_saveexec_b64 s[94:95], vcc
	s_xor_b64 s[94:95], exec, s[94:95]
	s_cbranch_execz .LBB12_4241
; %bb.4240:                             ;   in Loop: Header=BB12_4075 Depth=3
	v_bfe_u32 v15, v13, 16, 1
	s_waitcnt vmcnt(0)
	v_add3_u32 v22, v13, v15, s46
                                        ; implicit-def: $vgpr13
.LBB12_4241:                            ;   in Loop: Header=BB12_4075 Depth=3
	s_andn2_saveexec_b64 s[94:95], s[94:95]
	s_cbranch_execz .LBB12_4243
; %bb.4242:                             ;   in Loop: Header=BB12_4075 Depth=3
	buffer_load_dword v19, off, s[0:3], s33 offset:128 ; 4-byte Folded Reload
	buffer_load_dword v20, off, s[0:3], s33 offset:132 ; 4-byte Folded Reload
	v_or_b32_e32 v15, 0x10000, v13
	s_waitcnt vmcnt(1)
	v_cmp_eq_u32_sdwa vcc, v13, v19 src0_sel:WORD_0 src1_sel:DWORD
	v_cndmask_b32_e32 v22, v15, v13, vcc
.LBB12_4243:                            ;   in Loop: Header=BB12_4075 Depth=3
	s_or_b64 exec, exec, s[94:95]
	v_lshlrev_b32_e32 v9, 16, v9
	v_mul_f32_e32 v9, v9, v30
	v_and_b32_e32 v13, 0x7f800000, v9
	v_cmp_ne_u32_e32 vcc, s97, v13
                                        ; implicit-def: $vgpr21
	s_and_saveexec_b64 s[94:95], vcc
	s_xor_b64 s[94:95], exec, s[94:95]
	s_cbranch_execz .LBB12_4245
; %bb.4244:                             ;   in Loop: Header=BB12_4075 Depth=3
	v_bfe_u32 v13, v9, 16, 1
	s_waitcnt vmcnt(0)
	v_add3_u32 v21, v9, v13, s46
                                        ; implicit-def: $vgpr9
.LBB12_4245:                            ;   in Loop: Header=BB12_4075 Depth=3
	s_andn2_saveexec_b64 s[94:95], s[94:95]
	s_cbranch_execz .LBB12_4247
; %bb.4246:                             ;   in Loop: Header=BB12_4075 Depth=3
	buffer_load_dword v19, off, s[0:3], s33 offset:128 ; 4-byte Folded Reload
	buffer_load_dword v20, off, s[0:3], s33 offset:132 ; 4-byte Folded Reload
	v_or_b32_e32 v13, 0x10000, v9
	s_waitcnt vmcnt(1)
	v_cmp_eq_u32_sdwa vcc, v9, v19 src0_sel:WORD_0 src1_sel:DWORD
	v_cndmask_b32_e32 v21, v13, v9, vcc
.LBB12_4247:                            ;   in Loop: Header=BB12_4075 Depth=3
	s_or_b64 exec, exec, s[94:95]
	v_lshlrev_b32_e32 v9, 16, v11
	v_mul_f32_e32 v9, v9, v30
	v_and_b32_e32 v11, 0x7f800000, v9
	v_cmp_ne_u32_e32 vcc, s97, v11
                                        ; implicit-def: $vgpr20
	s_and_saveexec_b64 s[94:95], vcc
	s_xor_b64 s[94:95], exec, s[94:95]
	s_cbranch_execz .LBB12_4249
; %bb.4248:                             ;   in Loop: Header=BB12_4075 Depth=3
	v_bfe_u32 v11, v9, 16, 1
	s_waitcnt vmcnt(0)
	v_add3_u32 v20, v9, v11, s46
                                        ; implicit-def: $vgpr9
.LBB12_4249:                            ;   in Loop: Header=BB12_4075 Depth=3
	s_andn2_saveexec_b64 s[94:95], s[94:95]
	s_cbranch_execz .LBB12_4251
; %bb.4250:                             ;   in Loop: Header=BB12_4075 Depth=3
	buffer_load_dword v19, off, s[0:3], s33 offset:128 ; 4-byte Folded Reload
	buffer_load_dword v20, off, s[0:3], s33 offset:132 ; 4-byte Folded Reload
	v_or_b32_e32 v11, 0x10000, v9
	s_waitcnt vmcnt(1)
	v_cmp_eq_u32_sdwa vcc, v9, v19 src0_sel:WORD_0 src1_sel:DWORD
	s_waitcnt vmcnt(0)
	v_cndmask_b32_e32 v20, v11, v9, vcc
.LBB12_4251:                            ;   in Loop: Header=BB12_4075 Depth=3
	s_or_b64 exec, exec, s[94:95]
	v_lshlrev_b32_e32 v9, 16, v61
	v_mul_f32_e32 v9, v9, v30
	v_and_b32_e32 v11, 0x7f800000, v9
	v_cmp_ne_u32_e32 vcc, s97, v11
                                        ; implicit-def: $vgpr19
	s_and_saveexec_b64 s[94:95], vcc
	s_xor_b64 s[94:95], exec, s[94:95]
; %bb.4252:                             ;   in Loop: Header=BB12_4075 Depth=3
	v_bfe_u32 v11, v9, 16, 1
	v_add3_u32 v19, v9, v11, s46
                                        ; implicit-def: $vgpr9
; %bb.4253:                             ;   in Loop: Header=BB12_4075 Depth=3
	s_andn2_saveexec_b64 s[94:95], s[94:95]
	s_cbranch_execz .LBB12_4255
; %bb.4254:                             ;   in Loop: Header=BB12_4075 Depth=3
	buffer_load_dword v31, off, s[0:3], s33 offset:128 ; 4-byte Folded Reload
	buffer_load_dword v32, off, s[0:3], s33 offset:132 ; 4-byte Folded Reload
	v_or_b32_e32 v11, 0x10000, v9
	s_waitcnt vmcnt(1)
	v_cmp_eq_u32_sdwa vcc, v9, v31 src0_sel:WORD_0 src1_sel:DWORD
	v_cndmask_b32_e32 v19, v11, v9, vcc
.LBB12_4255:                            ;   in Loop: Header=BB12_4075 Depth=3
	s_or_b64 exec, exec, s[94:95]
	v_lshlrev_b32_e32 v9, 16, v58
	v_mul_f32_e32 v9, v9, v30
	v_and_b32_e32 v11, 0x7f800000, v9
	v_cmp_ne_u32_e32 vcc, s97, v11
                                        ; implicit-def: $vgpr17
	s_and_saveexec_b64 s[94:95], vcc
	s_xor_b64 s[94:95], exec, s[94:95]
; %bb.4256:                             ;   in Loop: Header=BB12_4075 Depth=3
	v_bfe_u32 v11, v9, 16, 1
	v_add3_u32 v17, v9, v11, s46
                                        ; implicit-def: $vgpr9
; %bb.4257:                             ;   in Loop: Header=BB12_4075 Depth=3
	s_andn2_saveexec_b64 s[94:95], s[94:95]
	s_cbranch_execz .LBB12_4259
; %bb.4258:                             ;   in Loop: Header=BB12_4075 Depth=3
	buffer_load_dword v31, off, s[0:3], s33 offset:128 ; 4-byte Folded Reload
	buffer_load_dword v32, off, s[0:3], s33 offset:132 ; 4-byte Folded Reload
	v_or_b32_e32 v11, 0x10000, v9
	s_waitcnt vmcnt(1)
	v_cmp_eq_u32_sdwa vcc, v9, v31 src0_sel:WORD_0 src1_sel:DWORD
	v_cndmask_b32_e32 v17, v11, v9, vcc
.LBB12_4259:                            ;   in Loop: Header=BB12_4075 Depth=3
	s_or_b64 exec, exec, s[94:95]
	v_lshlrev_b32_e32 v9, 16, v56
	v_mul_f32_e32 v9, v9, v30
	v_and_b32_e32 v11, 0x7f800000, v9
	v_cmp_ne_u32_e32 vcc, s97, v11
                                        ; implicit-def: $vgpr15
	s_and_saveexec_b64 s[94:95], vcc
	s_xor_b64 s[94:95], exec, s[94:95]
; %bb.4260:                             ;   in Loop: Header=BB12_4075 Depth=3
	v_bfe_u32 v11, v9, 16, 1
	v_add3_u32 v15, v9, v11, s46
                                        ; implicit-def: $vgpr9
; %bb.4261:                             ;   in Loop: Header=BB12_4075 Depth=3
	s_andn2_saveexec_b64 s[94:95], s[94:95]
	s_cbranch_execz .LBB12_4263
; %bb.4262:                             ;   in Loop: Header=BB12_4075 Depth=3
	buffer_load_dword v31, off, s[0:3], s33 offset:128 ; 4-byte Folded Reload
	buffer_load_dword v32, off, s[0:3], s33 offset:132 ; 4-byte Folded Reload
	v_or_b32_e32 v11, 0x10000, v9
	s_waitcnt vmcnt(1)
	v_cmp_eq_u32_sdwa vcc, v9, v31 src0_sel:WORD_0 src1_sel:DWORD
	v_cndmask_b32_e32 v15, v11, v9, vcc
.LBB12_4263:                            ;   in Loop: Header=BB12_4075 Depth=3
	s_or_b64 exec, exec, s[94:95]
	v_lshlrev_b32_e32 v9, 16, v46
	v_mul_f32_e32 v9, v9, v30
	v_and_b32_e32 v11, 0x7f800000, v9
	v_cmp_ne_u32_e32 vcc, s97, v11
                                        ; implicit-def: $vgpr13
	s_and_saveexec_b64 s[94:95], vcc
	s_xor_b64 s[94:95], exec, s[94:95]
; %bb.4264:                             ;   in Loop: Header=BB12_4075 Depth=3
	v_bfe_u32 v11, v9, 16, 1
	v_add3_u32 v13, v9, v11, s46
                                        ; implicit-def: $vgpr9
; %bb.4265:                             ;   in Loop: Header=BB12_4075 Depth=3
	s_andn2_saveexec_b64 s[94:95], s[94:95]
	s_cbranch_execz .LBB12_4267
; %bb.4266:                             ;   in Loop: Header=BB12_4075 Depth=3
	buffer_load_dword v31, off, s[0:3], s33 offset:128 ; 4-byte Folded Reload
	buffer_load_dword v32, off, s[0:3], s33 offset:132 ; 4-byte Folded Reload
	v_or_b32_e32 v11, 0x10000, v9
	s_waitcnt vmcnt(1)
	v_cmp_eq_u32_sdwa vcc, v9, v31 src0_sel:WORD_0 src1_sel:DWORD
	v_cndmask_b32_e32 v13, v11, v9, vcc
.LBB12_4267:                            ;   in Loop: Header=BB12_4075 Depth=3
	s_or_b64 exec, exec, s[94:95]
	v_lshlrev_b32_e32 v9, 16, v44
	v_mul_f32_e32 v9, v9, v30
	v_and_b32_e32 v11, 0x7f800000, v9
	v_cmp_ne_u32_e32 vcc, s97, v11
                                        ; implicit-def: $vgpr11
	s_and_saveexec_b64 s[94:95], vcc
	s_xor_b64 s[94:95], exec, s[94:95]
; %bb.4268:                             ;   in Loop: Header=BB12_4075 Depth=3
	v_bfe_u32 v11, v9, 16, 1
	v_add3_u32 v11, v9, v11, s46
                                        ; implicit-def: $vgpr9
; %bb.4269:                             ;   in Loop: Header=BB12_4075 Depth=3
	s_andn2_saveexec_b64 s[94:95], s[94:95]
	s_cbranch_execz .LBB12_4271
; %bb.4270:                             ;   in Loop: Header=BB12_4075 Depth=3
	buffer_load_dword v30, off, s[0:3], s33 offset:128 ; 4-byte Folded Reload
	buffer_load_dword v31, off, s[0:3], s33 offset:132 ; 4-byte Folded Reload
	v_or_b32_e32 v11, 0x10000, v9
	s_waitcnt vmcnt(1)
	v_cmp_eq_u32_sdwa vcc, v9, v30 src0_sel:WORD_0 src1_sel:DWORD
	v_cndmask_b32_e32 v11, v11, v9, vcc
.LBB12_4271:                            ;   in Loop: Header=BB12_4075 Depth=3
	s_or_b64 exec, exec, s[94:95]
	v_and_b32_e32 v9, 0xffff0000, v29
	v_lshlrev_b32_e32 v29, 16, v42
	v_add_f32_e32 v29, v29, v9
	v_and_b32_e32 v9, 0x7f800000, v29
	v_cmp_ne_u32_e32 vcc, s97, v9
                                        ; implicit-def: $vgpr9
	s_and_saveexec_b64 s[94:95], vcc
	s_xor_b64 s[94:95], exec, s[94:95]
; %bb.4272:                             ;   in Loop: Header=BB12_4075 Depth=3
	v_bfe_u32 v9, v29, 16, 1
	v_add3_u32 v9, v29, v9, s46
                                        ; implicit-def: $vgpr29
; %bb.4273:                             ;   in Loop: Header=BB12_4075 Depth=3
	s_andn2_saveexec_b64 s[94:95], s[94:95]
	s_cbranch_execz .LBB12_4275
; %bb.4274:                             ;   in Loop: Header=BB12_4075 Depth=3
	buffer_load_dword v30, off, s[0:3], s33 offset:128 ; 4-byte Folded Reload
	buffer_load_dword v31, off, s[0:3], s33 offset:132 ; 4-byte Folded Reload
	v_or_b32_e32 v9, 0x10000, v29
	s_waitcnt vmcnt(1)
	v_cmp_eq_u32_sdwa vcc, v29, v30 src0_sel:WORD_0 src1_sel:DWORD
	v_cndmask_b32_e32 v9, v9, v29, vcc
.LBB12_4275:                            ;   in Loop: Header=BB12_4075 Depth=3
	s_or_b64 exec, exec, s[94:95]
	v_and_b32_e32 v28, 0xffff0000, v28
	v_lshlrev_b32_e32 v29, 16, v40
	v_add_f32_e32 v29, v29, v28
	v_and_b32_e32 v28, 0x7f800000, v29
	v_cmp_ne_u32_e32 vcc, s97, v28
                                        ; implicit-def: $vgpr28
	s_and_saveexec_b64 s[94:95], vcc
	s_xor_b64 s[94:95], exec, s[94:95]
; %bb.4276:                             ;   in Loop: Header=BB12_4075 Depth=3
	v_bfe_u32 v28, v29, 16, 1
	v_add3_u32 v28, v29, v28, s46
                                        ; implicit-def: $vgpr29
; %bb.4277:                             ;   in Loop: Header=BB12_4075 Depth=3
	s_andn2_saveexec_b64 s[94:95], s[94:95]
	s_cbranch_execz .LBB12_4279
; %bb.4278:                             ;   in Loop: Header=BB12_4075 Depth=3
	buffer_load_dword v30, off, s[0:3], s33 offset:128 ; 4-byte Folded Reload
	buffer_load_dword v31, off, s[0:3], s33 offset:132 ; 4-byte Folded Reload
	v_or_b32_e32 v28, 0x10000, v29
	s_waitcnt vmcnt(1)
	v_cmp_eq_u32_sdwa vcc, v29, v30 src0_sel:WORD_0 src1_sel:DWORD
	v_cndmask_b32_e32 v28, v28, v29, vcc
.LBB12_4279:                            ;   in Loop: Header=BB12_4075 Depth=3
	s_or_b64 exec, exec, s[94:95]
	s_waitcnt vmcnt(0)
	v_and_b32_e32 v27, 0xffff0000, v27
	v_lshlrev_b32_e32 v29, 16, v54
	v_add_f32_e32 v29, v29, v27
	v_and_b32_e32 v27, 0x7f800000, v29
	v_cmp_ne_u32_e32 vcc, s97, v27
                                        ; implicit-def: $vgpr27
	s_and_saveexec_b64 s[94:95], vcc
	s_xor_b64 s[94:95], exec, s[94:95]
; %bb.4280:                             ;   in Loop: Header=BB12_4075 Depth=3
	v_bfe_u32 v27, v29, 16, 1
	v_add3_u32 v27, v29, v27, s46
                                        ; implicit-def: $vgpr29
; %bb.4281:                             ;   in Loop: Header=BB12_4075 Depth=3
	s_andn2_saveexec_b64 s[94:95], s[94:95]
	s_cbranch_execz .LBB12_4283
; %bb.4282:                             ;   in Loop: Header=BB12_4075 Depth=3
	buffer_load_dword v30, off, s[0:3], s33 offset:128 ; 4-byte Folded Reload
	buffer_load_dword v31, off, s[0:3], s33 offset:132 ; 4-byte Folded Reload
	v_or_b32_e32 v27, 0x10000, v29
	s_waitcnt vmcnt(1)
	v_cmp_eq_u32_sdwa vcc, v29, v30 src0_sel:WORD_0 src1_sel:DWORD
	v_cndmask_b32_e32 v27, v27, v29, vcc
.LBB12_4283:                            ;   in Loop: Header=BB12_4075 Depth=3
	s_or_b64 exec, exec, s[94:95]
	v_and_b32_e32 v26, 0xffff0000, v26
	v_lshlrev_b32_e32 v29, 16, v52
	v_add_f32_e32 v29, v29, v26
	v_and_b32_e32 v26, 0x7f800000, v29
	v_cmp_ne_u32_e32 vcc, s97, v26
                                        ; implicit-def: $vgpr26
	s_and_saveexec_b64 s[94:95], vcc
	s_xor_b64 s[94:95], exec, s[94:95]
; %bb.4284:                             ;   in Loop: Header=BB12_4075 Depth=3
	v_bfe_u32 v26, v29, 16, 1
	v_add3_u32 v26, v29, v26, s46
                                        ; implicit-def: $vgpr29
; %bb.4285:                             ;   in Loop: Header=BB12_4075 Depth=3
	s_andn2_saveexec_b64 s[94:95], s[94:95]
	s_cbranch_execz .LBB12_4287
; %bb.4286:                             ;   in Loop: Header=BB12_4075 Depth=3
	buffer_load_dword v30, off, s[0:3], s33 offset:128 ; 4-byte Folded Reload
	buffer_load_dword v31, off, s[0:3], s33 offset:132 ; 4-byte Folded Reload
	v_or_b32_e32 v26, 0x10000, v29
	s_waitcnt vmcnt(1)
	v_cmp_eq_u32_sdwa vcc, v29, v30 src0_sel:WORD_0 src1_sel:DWORD
	v_cndmask_b32_e32 v26, v26, v29, vcc
.LBB12_4287:                            ;   in Loop: Header=BB12_4075 Depth=3
	s_or_b64 exec, exec, s[94:95]
	v_and_b32_e32 v25, 0xffff0000, v25
	v_lshlrev_b32_e32 v29, 16, v50
	v_add_f32_e32 v29, v29, v25
	v_and_b32_e32 v25, 0x7f800000, v29
	v_cmp_ne_u32_e32 vcc, s97, v25
                                        ; implicit-def: $vgpr25
	s_and_saveexec_b64 s[94:95], vcc
	s_xor_b64 s[94:95], exec, s[94:95]
; %bb.4288:                             ;   in Loop: Header=BB12_4075 Depth=3
	v_bfe_u32 v25, v29, 16, 1
	v_add3_u32 v25, v29, v25, s46
                                        ; implicit-def: $vgpr29
; %bb.4289:                             ;   in Loop: Header=BB12_4075 Depth=3
	s_andn2_saveexec_b64 s[94:95], s[94:95]
	s_cbranch_execz .LBB12_4291
; %bb.4290:                             ;   in Loop: Header=BB12_4075 Depth=3
	buffer_load_dword v30, off, s[0:3], s33 offset:128 ; 4-byte Folded Reload
	buffer_load_dword v31, off, s[0:3], s33 offset:132 ; 4-byte Folded Reload
	v_or_b32_e32 v25, 0x10000, v29
	s_waitcnt vmcnt(1)
	v_cmp_eq_u32_sdwa vcc, v29, v30 src0_sel:WORD_0 src1_sel:DWORD
	v_cndmask_b32_e32 v25, v25, v29, vcc
.LBB12_4291:                            ;   in Loop: Header=BB12_4075 Depth=3
	s_or_b64 exec, exec, s[94:95]
	v_and_b32_e32 v29, 0xffff0000, v60
	v_lshlrev_b32_e32 v30, 16, v39
	v_add_f32_e32 v30, v30, v29
	v_and_b32_e32 v29, 0x7f800000, v30
	v_cmp_ne_u32_e32 vcc, s97, v29
                                        ; implicit-def: $vgpr29
	s_and_saveexec_b64 s[94:95], vcc
	s_xor_b64 s[94:95], exec, s[94:95]
; %bb.4292:                             ;   in Loop: Header=BB12_4075 Depth=3
	v_bfe_u32 v29, v30, 16, 1
	v_add3_u32 v29, v30, v29, s46
                                        ; implicit-def: $vgpr30
; %bb.4293:                             ;   in Loop: Header=BB12_4075 Depth=3
	s_andn2_saveexec_b64 s[94:95], s[94:95]
	s_cbranch_execz .LBB12_4295
; %bb.4294:                             ;   in Loop: Header=BB12_4075 Depth=3
	buffer_load_dword v31, off, s[0:3], s33 offset:128 ; 4-byte Folded Reload
	buffer_load_dword v32, off, s[0:3], s33 offset:132 ; 4-byte Folded Reload
	v_or_b32_e32 v29, 0x10000, v30
	s_waitcnt vmcnt(1)
	v_cmp_eq_u32_sdwa vcc, v30, v31 src0_sel:WORD_0 src1_sel:DWORD
	v_cndmask_b32_e32 v29, v29, v30, vcc
.LBB12_4295:                            ;   in Loop: Header=BB12_4075 Depth=3
	s_or_b64 exec, exec, s[94:95]
	v_and_b32_e32 v24, 0xffff0000, v24
	v_lshlrev_b32_e32 v30, 16, v38
	v_add_f32_e32 v30, v30, v24
	v_and_b32_e32 v24, 0x7f800000, v30
	v_cmp_ne_u32_e32 vcc, s97, v24
                                        ; implicit-def: $vgpr24
	s_and_saveexec_b64 s[94:95], vcc
	s_xor_b64 s[94:95], exec, s[94:95]
; %bb.4296:                             ;   in Loop: Header=BB12_4075 Depth=3
	v_bfe_u32 v24, v30, 16, 1
	v_add3_u32 v24, v30, v24, s46
                                        ; implicit-def: $vgpr30
; %bb.4297:                             ;   in Loop: Header=BB12_4075 Depth=3
	s_andn2_saveexec_b64 s[94:95], s[94:95]
	s_cbranch_execz .LBB12_4299
; %bb.4298:                             ;   in Loop: Header=BB12_4075 Depth=3
	buffer_load_dword v31, off, s[0:3], s33 offset:128 ; 4-byte Folded Reload
	buffer_load_dword v32, off, s[0:3], s33 offset:132 ; 4-byte Folded Reload
	v_or_b32_e32 v24, 0x10000, v30
	s_waitcnt vmcnt(1)
	v_cmp_eq_u32_sdwa vcc, v30, v31 src0_sel:WORD_0 src1_sel:DWORD
	v_cndmask_b32_e32 v24, v24, v30, vcc
.LBB12_4299:                            ;   in Loop: Header=BB12_4075 Depth=3
	s_or_b64 exec, exec, s[94:95]
	v_and_b32_e32 v23, 0xffff0000, v23
	v_lshlrev_b32_e32 v30, 16, v37
	v_add_f32_e32 v30, v30, v23
	v_and_b32_e32 v23, 0x7f800000, v30
	v_cmp_ne_u32_e32 vcc, s97, v23
                                        ; implicit-def: $vgpr23
	s_and_saveexec_b64 s[94:95], vcc
	s_xor_b64 s[94:95], exec, s[94:95]
; %bb.4300:                             ;   in Loop: Header=BB12_4075 Depth=3
	v_bfe_u32 v23, v30, 16, 1
	v_add3_u32 v23, v30, v23, s46
                                        ; implicit-def: $vgpr30
; %bb.4301:                             ;   in Loop: Header=BB12_4075 Depth=3
	s_andn2_saveexec_b64 s[94:95], s[94:95]
	s_cbranch_execz .LBB12_4303
; %bb.4302:                             ;   in Loop: Header=BB12_4075 Depth=3
	buffer_load_dword v31, off, s[0:3], s33 offset:128 ; 4-byte Folded Reload
	buffer_load_dword v32, off, s[0:3], s33 offset:132 ; 4-byte Folded Reload
	v_or_b32_e32 v23, 0x10000, v30
	s_waitcnt vmcnt(1)
	v_cmp_eq_u32_sdwa vcc, v30, v31 src0_sel:WORD_0 src1_sel:DWORD
	v_cndmask_b32_e32 v23, v23, v30, vcc
.LBB12_4303:                            ;   in Loop: Header=BB12_4075 Depth=3
	s_or_b64 exec, exec, s[94:95]
	v_and_b32_e32 v22, 0xffff0000, v22
	v_lshlrev_b32_e32 v30, 16, v36
	v_add_f32_e32 v30, v30, v22
	v_and_b32_e32 v22, 0x7f800000, v30
	v_cmp_ne_u32_e32 vcc, s97, v22
                                        ; implicit-def: $vgpr22
	s_and_saveexec_b64 s[94:95], vcc
	s_xor_b64 s[94:95], exec, s[94:95]
; %bb.4304:                             ;   in Loop: Header=BB12_4075 Depth=3
	v_bfe_u32 v22, v30, 16, 1
	v_add3_u32 v22, v30, v22, s46
                                        ; implicit-def: $vgpr30
; %bb.4305:                             ;   in Loop: Header=BB12_4075 Depth=3
	s_andn2_saveexec_b64 s[94:95], s[94:95]
	s_cbranch_execz .LBB12_4307
; %bb.4306:                             ;   in Loop: Header=BB12_4075 Depth=3
	buffer_load_dword v31, off, s[0:3], s33 offset:128 ; 4-byte Folded Reload
	buffer_load_dword v32, off, s[0:3], s33 offset:132 ; 4-byte Folded Reload
	v_or_b32_e32 v22, 0x10000, v30
	s_waitcnt vmcnt(1)
	v_cmp_eq_u32_sdwa vcc, v30, v31 src0_sel:WORD_0 src1_sel:DWORD
	v_cndmask_b32_e32 v22, v22, v30, vcc
.LBB12_4307:                            ;   in Loop: Header=BB12_4075 Depth=3
	s_or_b64 exec, exec, s[94:95]
	v_and_b32_e32 v21, 0xffff0000, v21
	v_lshlrev_b32_e32 v30, 16, v35
	v_add_f32_e32 v30, v30, v21
	v_and_b32_e32 v21, 0x7f800000, v30
	v_cmp_ne_u32_e32 vcc, s97, v21
                                        ; implicit-def: $vgpr21
	s_and_saveexec_b64 s[94:95], vcc
	s_xor_b64 s[94:95], exec, s[94:95]
; %bb.4308:                             ;   in Loop: Header=BB12_4075 Depth=3
	v_bfe_u32 v21, v30, 16, 1
	v_add3_u32 v21, v30, v21, s46
                                        ; implicit-def: $vgpr30
; %bb.4309:                             ;   in Loop: Header=BB12_4075 Depth=3
	s_andn2_saveexec_b64 s[94:95], s[94:95]
	s_cbranch_execz .LBB12_4311
; %bb.4310:                             ;   in Loop: Header=BB12_4075 Depth=3
	buffer_load_dword v31, off, s[0:3], s33 offset:128 ; 4-byte Folded Reload
	buffer_load_dword v32, off, s[0:3], s33 offset:132 ; 4-byte Folded Reload
	v_or_b32_e32 v21, 0x10000, v30
	s_waitcnt vmcnt(1)
	v_cmp_eq_u32_sdwa vcc, v30, v31 src0_sel:WORD_0 src1_sel:DWORD
	v_cndmask_b32_e32 v21, v21, v30, vcc
.LBB12_4311:                            ;   in Loop: Header=BB12_4075 Depth=3
	s_or_b64 exec, exec, s[94:95]
	v_and_b32_e32 v20, 0xffff0000, v20
	v_lshlrev_b32_e32 v30, 16, v34
	v_add_f32_e32 v30, v30, v20
	v_and_b32_e32 v20, 0x7f800000, v30
	v_cmp_ne_u32_e32 vcc, s97, v20
                                        ; implicit-def: $vgpr20
	s_and_saveexec_b64 s[94:95], vcc
	s_xor_b64 s[94:95], exec, s[94:95]
; %bb.4312:                             ;   in Loop: Header=BB12_4075 Depth=3
	v_bfe_u32 v20, v30, 16, 1
	v_add3_u32 v20, v30, v20, s46
                                        ; implicit-def: $vgpr30
; %bb.4313:                             ;   in Loop: Header=BB12_4075 Depth=3
	s_andn2_saveexec_b64 s[94:95], s[94:95]
	s_cbranch_execz .LBB12_4315
; %bb.4314:                             ;   in Loop: Header=BB12_4075 Depth=3
	buffer_load_dword v31, off, s[0:3], s33 offset:128 ; 4-byte Folded Reload
	buffer_load_dword v32, off, s[0:3], s33 offset:132 ; 4-byte Folded Reload
	v_or_b32_e32 v20, 0x10000, v30
	s_waitcnt vmcnt(1)
	v_cmp_eq_u32_sdwa vcc, v30, v31 src0_sel:WORD_0 src1_sel:DWORD
	v_cndmask_b32_e32 v20, v20, v30, vcc
.LBB12_4315:                            ;   in Loop: Header=BB12_4075 Depth=3
	s_or_b64 exec, exec, s[94:95]
	v_and_b32_e32 v19, 0xffff0000, v19
	v_lshlrev_b32_e32 v30, 16, v33
	v_add_f32_e32 v30, v30, v19
	v_and_b32_e32 v19, 0x7f800000, v30
	v_cmp_ne_u32_e32 vcc, s97, v19
                                        ; implicit-def: $vgpr19
	s_and_saveexec_b64 s[94:95], vcc
	s_xor_b64 s[94:95], exec, s[94:95]
; %bb.4316:                             ;   in Loop: Header=BB12_4075 Depth=3
	v_bfe_u32 v19, v30, 16, 1
	v_add3_u32 v19, v30, v19, s46
                                        ; implicit-def: $vgpr30
; %bb.4317:                             ;   in Loop: Header=BB12_4075 Depth=3
	s_andn2_saveexec_b64 s[94:95], s[94:95]
	s_cbranch_execz .LBB12_4319
; %bb.4318:                             ;   in Loop: Header=BB12_4075 Depth=3
	buffer_load_dword v31, off, s[0:3], s33 offset:128 ; 4-byte Folded Reload
	buffer_load_dword v32, off, s[0:3], s33 offset:132 ; 4-byte Folded Reload
	v_or_b32_e32 v19, 0x10000, v30
	s_waitcnt vmcnt(1)
	v_cmp_eq_u32_sdwa vcc, v30, v31 src0_sel:WORD_0 src1_sel:DWORD
	v_cndmask_b32_e32 v19, v19, v30, vcc
.LBB12_4319:                            ;   in Loop: Header=BB12_4075 Depth=3
	s_or_b64 exec, exec, s[94:95]
	buffer_load_dword v30, off, s[0:3], s33 offset:216 ; 4-byte Folded Reload
	v_and_b32_e32 v17, 0xffff0000, v17
	s_waitcnt vmcnt(0)
	v_lshlrev_b32_e32 v30, 16, v30
	v_add_f32_e32 v30, v30, v17
	v_and_b32_e32 v17, 0x7f800000, v30
	v_cmp_ne_u32_e32 vcc, s97, v17
                                        ; implicit-def: $vgpr17
	s_and_saveexec_b64 s[94:95], vcc
	s_xor_b64 s[94:95], exec, s[94:95]
; %bb.4320:                             ;   in Loop: Header=BB12_4075 Depth=3
	v_bfe_u32 v17, v30, 16, 1
	v_add3_u32 v17, v30, v17, s46
                                        ; implicit-def: $vgpr30
; %bb.4321:                             ;   in Loop: Header=BB12_4075 Depth=3
	s_andn2_saveexec_b64 s[94:95], s[94:95]
	s_cbranch_execz .LBB12_4323
; %bb.4322:                             ;   in Loop: Header=BB12_4075 Depth=3
	buffer_load_dword v31, off, s[0:3], s33 offset:128 ; 4-byte Folded Reload
	buffer_load_dword v32, off, s[0:3], s33 offset:132 ; 4-byte Folded Reload
	v_or_b32_e32 v17, 0x10000, v30
	s_waitcnt vmcnt(1)
	v_cmp_eq_u32_sdwa vcc, v30, v31 src0_sel:WORD_0 src1_sel:DWORD
	v_cndmask_b32_e32 v17, v17, v30, vcc
.LBB12_4323:                            ;   in Loop: Header=BB12_4075 Depth=3
	s_or_b64 exec, exec, s[94:95]
	buffer_load_dword v30, off, s[0:3], s33 offset:200 ; 4-byte Folded Reload
	v_and_b32_e32 v15, 0xffff0000, v15
	s_waitcnt vmcnt(0)
	v_lshlrev_b32_e32 v30, 16, v30
	v_add_f32_e32 v30, v30, v15
	v_and_b32_e32 v15, 0x7f800000, v30
	v_cmp_ne_u32_e32 vcc, s97, v15
                                        ; implicit-def: $vgpr15
	s_and_saveexec_b64 s[94:95], vcc
	s_xor_b64 s[94:95], exec, s[94:95]
; %bb.4324:                             ;   in Loop: Header=BB12_4075 Depth=3
	v_bfe_u32 v15, v30, 16, 1
	v_add3_u32 v15, v30, v15, s46
                                        ; implicit-def: $vgpr30
; %bb.4325:                             ;   in Loop: Header=BB12_4075 Depth=3
	s_andn2_saveexec_b64 s[94:95], s[94:95]
	s_cbranch_execz .LBB12_4327
; %bb.4326:                             ;   in Loop: Header=BB12_4075 Depth=3
	buffer_load_dword v31, off, s[0:3], s33 offset:128 ; 4-byte Folded Reload
	buffer_load_dword v32, off, s[0:3], s33 offset:132 ; 4-byte Folded Reload
	v_or_b32_e32 v15, 0x10000, v30
	s_waitcnt vmcnt(1)
	v_cmp_eq_u32_sdwa vcc, v30, v31 src0_sel:WORD_0 src1_sel:DWORD
	v_cndmask_b32_e32 v15, v15, v30, vcc
.LBB12_4327:                            ;   in Loop: Header=BB12_4075 Depth=3
	s_or_b64 exec, exec, s[94:95]
	buffer_load_dword v30, off, s[0:3], s33 offset:184 ; 4-byte Folded Reload
	v_and_b32_e32 v13, 0xffff0000, v13
	s_waitcnt vmcnt(0)
	v_lshlrev_b32_e32 v30, 16, v30
	v_add_f32_e32 v30, v30, v13
	v_and_b32_e32 v13, 0x7f800000, v30
	v_cmp_ne_u32_e32 vcc, s97, v13
                                        ; implicit-def: $vgpr13
	s_and_saveexec_b64 s[94:95], vcc
	s_xor_b64 s[94:95], exec, s[94:95]
; %bb.4328:                             ;   in Loop: Header=BB12_4075 Depth=3
	v_bfe_u32 v13, v30, 16, 1
	v_add3_u32 v13, v30, v13, s46
                                        ; implicit-def: $vgpr30
; %bb.4329:                             ;   in Loop: Header=BB12_4075 Depth=3
	s_andn2_saveexec_b64 s[94:95], s[94:95]
	s_cbranch_execz .LBB12_4331
; %bb.4330:                             ;   in Loop: Header=BB12_4075 Depth=3
	buffer_load_dword v31, off, s[0:3], s33 offset:128 ; 4-byte Folded Reload
	buffer_load_dword v32, off, s[0:3], s33 offset:132 ; 4-byte Folded Reload
	v_or_b32_e32 v13, 0x10000, v30
	s_waitcnt vmcnt(1)
	v_cmp_eq_u32_sdwa vcc, v30, v31 src0_sel:WORD_0 src1_sel:DWORD
	v_cndmask_b32_e32 v13, v13, v30, vcc
.LBB12_4331:                            ;   in Loop: Header=BB12_4075 Depth=3
	s_or_b64 exec, exec, s[94:95]
	buffer_load_dword v30, off, s[0:3], s33 offset:168 ; 4-byte Folded Reload
	v_and_b32_e32 v11, 0xffff0000, v11
	s_waitcnt vmcnt(0)
	v_lshlrev_b32_e32 v30, 16, v30
	v_add_f32_e32 v30, v30, v11
	v_and_b32_e32 v11, 0x7f800000, v30
	v_cmp_ne_u32_e32 vcc, s97, v11
                                        ; implicit-def: $vgpr11
	s_and_saveexec_b64 s[94:95], vcc
	s_xor_b64 s[94:95], exec, s[94:95]
; %bb.4332:                             ;   in Loop: Header=BB12_4075 Depth=3
	v_bfe_u32 v11, v30, 16, 1
	v_add3_u32 v11, v30, v11, s46
                                        ; implicit-def: $vgpr30
; %bb.4333:                             ;   in Loop: Header=BB12_4075 Depth=3
	s_andn2_saveexec_b64 s[94:95], s[94:95]
	s_cbranch_execz .LBB12_4335
; %bb.4334:                             ;   in Loop: Header=BB12_4075 Depth=3
	buffer_load_dword v31, off, s[0:3], s33 offset:128 ; 4-byte Folded Reload
	buffer_load_dword v32, off, s[0:3], s33 offset:132 ; 4-byte Folded Reload
	v_or_b32_e32 v11, 0x10000, v30
	s_waitcnt vmcnt(1)
	v_cmp_eq_u32_sdwa vcc, v30, v31 src0_sel:WORD_0 src1_sel:DWORD
	v_cndmask_b32_e32 v11, v11, v30, vcc
.LBB12_4335:                            ;   in Loop: Header=BB12_4075 Depth=3
	s_or_b64 exec, exec, s[94:95]
	v_lshrrev_b32_e32 v9, 16, v9
	v_lshrrev_b32_e32 v13, 16, v13
	;; [unrolled: 1-line block ×16, first 2 shown]
	flat_store_short v[2:3], v9 glc slc
	flat_store_short v[2:3], v28 offset:128 glc slc
	flat_store_short v[2:3], v27 offset:256 glc slc
	;; [unrolled: 1-line block ×15, first 2 shown]
	v_add_co_u32_e32 v2, vcc, s64, v2
	v_addc_co_u32_e32 v3, vcc, 0, v3, vcc
	flat_store_short v[0:1], v9 glc slc
	flat_store_short v[0:1], v28 offset:128 glc slc
	flat_store_short v[0:1], v27 offset:256 glc slc
	;; [unrolled: 1-line block ×15, first 2 shown]
	v_add_co_u32_e32 v0, vcc, 0x800, v0
	v_addc_co_u32_e32 v1, vcc, 0, v1, vcc
	s_and_saveexec_b64 s[94:95], s[92:93]
	s_cbranch_execz .LBB12_4074
; %bb.4336:                             ;   in Loop: Header=BB12_4075 Depth=3
	buffer_load_dword v19, off, s[0:3], s33 offset:272 ; 4-byte Folded Reload
	buffer_load_dword v20, off, s[0:3], s33 offset:276 ; 4-byte Folded Reload
	;; [unrolled: 1-line block ×3, first 2 shown]
	s_waitcnt vmcnt(0)
	v_add_co_u32_e32 v2, vcc, v2, v19
	v_addc_co_u32_e32 v3, vcc, v3, v20, vcc
	v_add_co_u32_e32 v0, vcc, v0, v19
	v_addc_co_u32_e32 v1, vcc, v1, v20, vcc
	;; [unrolled: 2-line block ×4, first 2 shown]
	v_sub_u32_e32 v12, v12, v9
	s_branch .LBB12_4074
.LBB12_4337:                            ;   in Loop: Header=BB12_2997 Depth=2
	s_or_b64 exec, exec, s[90:91]
	buffer_load_dword v4, off, s[0:3], s33 offset:240 ; 4-byte Folded Reload
	v_lshlrev_b32_e32 v35, 16, v18
	v_lshlrev_b32_e32 v36, 16, v16
	;; [unrolled: 1-line block ×3, first 2 shown]
	s_waitcnt vmcnt(0)
	v_lshlrev_b32_e32 v32, 16, v10
	v_lshlrev_b32_e32 v33, 16, v8
	;; [unrolled: 1-line block ×13, first 2 shown]
	s_and_b64 s[40:41], s[40:41], exec
	v_lshlrev_b32_e32 v20, 16, v4
	buffer_load_dword v4, off, s[0:3], s33 offset:284 ; 4-byte Folded Reload
	s_waitcnt vmcnt(0)
	v_lshlrev_b32_e32 v19, 16, v4
	buffer_load_dword v4, off, s[0:3], s33 offset:300 ; 4-byte Folded Reload
	s_waitcnt vmcnt(0)
	;; [unrolled: 3-line block ×14, first 2 shown]
	v_lshlrev_b32_e32 v5, 16, v4
	buffer_load_dword v4, off, s[0:3], s33 offset:444 ; 4-byte Folded Reload
	buffer_load_dword v52, off, s[0:3], s33 offset:480 ; 4-byte Folded Reload
	;; [unrolled: 1-line block ×3, first 2 shown]
	s_waitcnt vmcnt(0)
	v_lshlrev_b32_e32 v4, 16, v4
.LBB12_4338:                            ;   in Loop: Header=BB12_2997 Depth=2
	s_or_b64 exec, exec, s[28:29]
	s_and_saveexec_b64 s[28:29], s[40:41]
	s_cbranch_execz .LBB12_4468
; %bb.4339:                             ;   in Loop: Header=BB12_2997 Depth=2
	s_trap 2
	ds_read_b32 v37, v0
	s_waitcnt lgkmcnt(0)
	v_lshlrev_b32_e32 v37, 16, v37
	v_mul_f32_e32 v38, v35, v37
	v_and_b32_e32 v35, 0x7f800000, v38
	v_cmp_ne_u32_e32 vcc, s97, v35
                                        ; implicit-def: $vgpr35
	s_and_saveexec_b64 s[40:41], vcc
	s_xor_b64 s[40:41], exec, s[40:41]
; %bb.4340:                             ;   in Loop: Header=BB12_2997 Depth=2
	v_bfe_u32 v35, v38, 16, 1
	v_add3_u32 v35, v38, v35, s46
                                        ; implicit-def: $vgpr38
; %bb.4341:                             ;   in Loop: Header=BB12_2997 Depth=2
	s_andn2_saveexec_b64 s[40:41], s[40:41]
	s_cbranch_execz .LBB12_4343
; %bb.4342:                             ;   in Loop: Header=BB12_2997 Depth=2
	buffer_load_dword v48, off, s[0:3], s33 offset:128 ; 4-byte Folded Reload
	buffer_load_dword v49, off, s[0:3], s33 offset:132 ; 4-byte Folded Reload
	v_or_b32_e32 v35, 0x10000, v38
	s_waitcnt vmcnt(1)
	v_cmp_eq_u32_sdwa vcc, v38, v48 src0_sel:WORD_0 src1_sel:DWORD
	v_cndmask_b32_e32 v35, v35, v38, vcc
.LBB12_4343:                            ;   in Loop: Header=BB12_2997 Depth=2
	s_or_b64 exec, exec, s[40:41]
	v_mul_f32_e32 v38, v36, v37
	v_and_b32_e32 v36, 0x7f800000, v38
	v_cmp_ne_u32_e32 vcc, s97, v36
                                        ; implicit-def: $vgpr36
	s_and_saveexec_b64 s[40:41], vcc
	s_xor_b64 s[40:41], exec, s[40:41]
; %bb.4344:                             ;   in Loop: Header=BB12_2997 Depth=2
	v_bfe_u32 v36, v38, 16, 1
	v_add3_u32 v36, v38, v36, s46
                                        ; implicit-def: $vgpr38
; %bb.4345:                             ;   in Loop: Header=BB12_2997 Depth=2
	s_andn2_saveexec_b64 s[40:41], s[40:41]
	s_cbranch_execz .LBB12_4347
; %bb.4346:                             ;   in Loop: Header=BB12_2997 Depth=2
	buffer_load_dword v48, off, s[0:3], s33 offset:128 ; 4-byte Folded Reload
	buffer_load_dword v49, off, s[0:3], s33 offset:132 ; 4-byte Folded Reload
	v_or_b32_e32 v36, 0x10000, v38
	s_waitcnt vmcnt(1)
	v_cmp_eq_u32_sdwa vcc, v38, v48 src0_sel:WORD_0 src1_sel:DWORD
	v_cndmask_b32_e32 v36, v36, v38, vcc
.LBB12_4347:                            ;   in Loop: Header=BB12_2997 Depth=2
	s_or_b64 exec, exec, s[40:41]
	v_mul_f32_e32 v38, v34, v37
	v_and_b32_e32 v34, 0x7f800000, v38
	v_cmp_ne_u32_e32 vcc, s97, v34
                                        ; implicit-def: $vgpr34
	s_and_saveexec_b64 s[40:41], vcc
	s_xor_b64 s[40:41], exec, s[40:41]
; %bb.4348:                             ;   in Loop: Header=BB12_2997 Depth=2
	v_bfe_u32 v34, v38, 16, 1
	v_add3_u32 v34, v38, v34, s46
                                        ; implicit-def: $vgpr38
; %bb.4349:                             ;   in Loop: Header=BB12_2997 Depth=2
	s_andn2_saveexec_b64 s[40:41], s[40:41]
	s_cbranch_execz .LBB12_4351
; %bb.4350:                             ;   in Loop: Header=BB12_2997 Depth=2
	buffer_load_dword v48, off, s[0:3], s33 offset:128 ; 4-byte Folded Reload
	buffer_load_dword v49, off, s[0:3], s33 offset:132 ; 4-byte Folded Reload
	v_or_b32_e32 v34, 0x10000, v38
	s_waitcnt vmcnt(1)
	v_cmp_eq_u32_sdwa vcc, v38, v48 src0_sel:WORD_0 src1_sel:DWORD
	v_cndmask_b32_e32 v34, v34, v38, vcc
.LBB12_4351:                            ;   in Loop: Header=BB12_2997 Depth=2
	s_or_b64 exec, exec, s[40:41]
	v_mul_f32_e32 v38, v33, v37
	v_and_b32_e32 v33, 0x7f800000, v38
	v_cmp_ne_u32_e32 vcc, s97, v33
                                        ; implicit-def: $vgpr33
	s_and_saveexec_b64 s[40:41], vcc
	s_xor_b64 s[40:41], exec, s[40:41]
; %bb.4352:                             ;   in Loop: Header=BB12_2997 Depth=2
	v_bfe_u32 v33, v38, 16, 1
	v_add3_u32 v33, v38, v33, s46
                                        ; implicit-def: $vgpr38
; %bb.4353:                             ;   in Loop: Header=BB12_2997 Depth=2
	s_andn2_saveexec_b64 s[40:41], s[40:41]
	s_cbranch_execz .LBB12_4355
; %bb.4354:                             ;   in Loop: Header=BB12_2997 Depth=2
	buffer_load_dword v48, off, s[0:3], s33 offset:128 ; 4-byte Folded Reload
	buffer_load_dword v49, off, s[0:3], s33 offset:132 ; 4-byte Folded Reload
	v_or_b32_e32 v33, 0x10000, v38
	s_waitcnt vmcnt(1)
	v_cmp_eq_u32_sdwa vcc, v38, v48 src0_sel:WORD_0 src1_sel:DWORD
	v_cndmask_b32_e32 v33, v33, v38, vcc
.LBB12_4355:                            ;   in Loop: Header=BB12_2997 Depth=2
	s_or_b64 exec, exec, s[40:41]
	v_mul_f32_e32 v38, v32, v37
	v_and_b32_e32 v32, 0x7f800000, v38
	v_cmp_ne_u32_e32 vcc, s97, v32
                                        ; implicit-def: $vgpr32
	s_and_saveexec_b64 s[40:41], vcc
	s_xor_b64 s[40:41], exec, s[40:41]
; %bb.4356:                             ;   in Loop: Header=BB12_2997 Depth=2
	v_bfe_u32 v32, v38, 16, 1
	v_add3_u32 v32, v38, v32, s46
                                        ; implicit-def: $vgpr38
; %bb.4357:                             ;   in Loop: Header=BB12_2997 Depth=2
	s_andn2_saveexec_b64 s[40:41], s[40:41]
	s_cbranch_execz .LBB12_4359
; %bb.4358:                             ;   in Loop: Header=BB12_2997 Depth=2
	buffer_load_dword v48, off, s[0:3], s33 offset:128 ; 4-byte Folded Reload
	buffer_load_dword v49, off, s[0:3], s33 offset:132 ; 4-byte Folded Reload
	v_or_b32_e32 v32, 0x10000, v38
	s_waitcnt vmcnt(1)
	v_cmp_eq_u32_sdwa vcc, v38, v48 src0_sel:WORD_0 src1_sel:DWORD
	v_cndmask_b32_e32 v32, v32, v38, vcc
.LBB12_4359:                            ;   in Loop: Header=BB12_2997 Depth=2
	s_or_b64 exec, exec, s[40:41]
	v_mul_f32_e32 v38, v31, v37
	v_and_b32_e32 v31, 0x7f800000, v38
	v_cmp_ne_u32_e32 vcc, s97, v31
                                        ; implicit-def: $vgpr31
	s_and_saveexec_b64 s[40:41], vcc
	s_xor_b64 s[40:41], exec, s[40:41]
; %bb.4360:                             ;   in Loop: Header=BB12_2997 Depth=2
	v_bfe_u32 v31, v38, 16, 1
	v_add3_u32 v31, v38, v31, s46
                                        ; implicit-def: $vgpr38
; %bb.4361:                             ;   in Loop: Header=BB12_2997 Depth=2
	s_andn2_saveexec_b64 s[40:41], s[40:41]
	s_cbranch_execz .LBB12_4363
; %bb.4362:                             ;   in Loop: Header=BB12_2997 Depth=2
	buffer_load_dword v48, off, s[0:3], s33 offset:128 ; 4-byte Folded Reload
	buffer_load_dword v49, off, s[0:3], s33 offset:132 ; 4-byte Folded Reload
	v_or_b32_e32 v31, 0x10000, v38
	s_waitcnt vmcnt(1)
	v_cmp_eq_u32_sdwa vcc, v38, v48 src0_sel:WORD_0 src1_sel:DWORD
	v_cndmask_b32_e32 v31, v31, v38, vcc
.LBB12_4363:                            ;   in Loop: Header=BB12_2997 Depth=2
	s_or_b64 exec, exec, s[40:41]
	v_mul_f32_e32 v38, v30, v37
	v_and_b32_e32 v30, 0x7f800000, v38
	v_cmp_ne_u32_e32 vcc, s97, v30
                                        ; implicit-def: $vgpr30
	s_and_saveexec_b64 s[40:41], vcc
	s_xor_b64 s[40:41], exec, s[40:41]
; %bb.4364:                             ;   in Loop: Header=BB12_2997 Depth=2
	v_bfe_u32 v30, v38, 16, 1
	v_add3_u32 v30, v38, v30, s46
                                        ; implicit-def: $vgpr38
; %bb.4365:                             ;   in Loop: Header=BB12_2997 Depth=2
	s_andn2_saveexec_b64 s[40:41], s[40:41]
	s_cbranch_execz .LBB12_4367
; %bb.4366:                             ;   in Loop: Header=BB12_2997 Depth=2
	buffer_load_dword v48, off, s[0:3], s33 offset:128 ; 4-byte Folded Reload
	buffer_load_dword v49, off, s[0:3], s33 offset:132 ; 4-byte Folded Reload
	v_or_b32_e32 v30, 0x10000, v38
	s_waitcnt vmcnt(1)
	v_cmp_eq_u32_sdwa vcc, v38, v48 src0_sel:WORD_0 src1_sel:DWORD
	v_cndmask_b32_e32 v30, v30, v38, vcc
.LBB12_4367:                            ;   in Loop: Header=BB12_2997 Depth=2
	s_or_b64 exec, exec, s[40:41]
	v_mul_f32_e32 v38, v29, v37
	v_and_b32_e32 v29, 0x7f800000, v38
	v_cmp_ne_u32_e32 vcc, s97, v29
                                        ; implicit-def: $vgpr29
	s_and_saveexec_b64 s[40:41], vcc
	s_xor_b64 s[40:41], exec, s[40:41]
; %bb.4368:                             ;   in Loop: Header=BB12_2997 Depth=2
	v_bfe_u32 v29, v38, 16, 1
	v_add3_u32 v29, v38, v29, s46
                                        ; implicit-def: $vgpr38
; %bb.4369:                             ;   in Loop: Header=BB12_2997 Depth=2
	s_andn2_saveexec_b64 s[40:41], s[40:41]
	s_cbranch_execz .LBB12_4371
; %bb.4370:                             ;   in Loop: Header=BB12_2997 Depth=2
	buffer_load_dword v48, off, s[0:3], s33 offset:128 ; 4-byte Folded Reload
	buffer_load_dword v49, off, s[0:3], s33 offset:132 ; 4-byte Folded Reload
	v_or_b32_e32 v29, 0x10000, v38
	s_waitcnt vmcnt(1)
	v_cmp_eq_u32_sdwa vcc, v38, v48 src0_sel:WORD_0 src1_sel:DWORD
	v_cndmask_b32_e32 v29, v29, v38, vcc
.LBB12_4371:                            ;   in Loop: Header=BB12_2997 Depth=2
	s_or_b64 exec, exec, s[40:41]
	v_mul_f32_e32 v38, v28, v37
	v_and_b32_e32 v28, 0x7f800000, v38
	v_cmp_ne_u32_e32 vcc, s97, v28
                                        ; implicit-def: $vgpr28
	s_and_saveexec_b64 s[40:41], vcc
	s_xor_b64 s[40:41], exec, s[40:41]
; %bb.4372:                             ;   in Loop: Header=BB12_2997 Depth=2
	v_bfe_u32 v28, v38, 16, 1
	v_add3_u32 v28, v38, v28, s46
                                        ; implicit-def: $vgpr38
; %bb.4373:                             ;   in Loop: Header=BB12_2997 Depth=2
	s_andn2_saveexec_b64 s[40:41], s[40:41]
	s_cbranch_execz .LBB12_4375
; %bb.4374:                             ;   in Loop: Header=BB12_2997 Depth=2
	buffer_load_dword v48, off, s[0:3], s33 offset:128 ; 4-byte Folded Reload
	buffer_load_dword v49, off, s[0:3], s33 offset:132 ; 4-byte Folded Reload
	v_or_b32_e32 v28, 0x10000, v38
	s_waitcnt vmcnt(1)
	v_cmp_eq_u32_sdwa vcc, v38, v48 src0_sel:WORD_0 src1_sel:DWORD
	v_cndmask_b32_e32 v28, v28, v38, vcc
.LBB12_4375:                            ;   in Loop: Header=BB12_2997 Depth=2
	s_or_b64 exec, exec, s[40:41]
	v_mul_f32_e32 v38, v27, v37
	v_and_b32_e32 v27, 0x7f800000, v38
	v_cmp_ne_u32_e32 vcc, s97, v27
                                        ; implicit-def: $vgpr27
	s_and_saveexec_b64 s[40:41], vcc
	s_xor_b64 s[40:41], exec, s[40:41]
; %bb.4376:                             ;   in Loop: Header=BB12_2997 Depth=2
	v_bfe_u32 v27, v38, 16, 1
	v_add3_u32 v27, v38, v27, s46
                                        ; implicit-def: $vgpr38
; %bb.4377:                             ;   in Loop: Header=BB12_2997 Depth=2
	s_andn2_saveexec_b64 s[40:41], s[40:41]
	s_cbranch_execz .LBB12_4379
; %bb.4378:                             ;   in Loop: Header=BB12_2997 Depth=2
	buffer_load_dword v48, off, s[0:3], s33 offset:128 ; 4-byte Folded Reload
	buffer_load_dword v49, off, s[0:3], s33 offset:132 ; 4-byte Folded Reload
	v_or_b32_e32 v27, 0x10000, v38
	s_waitcnt vmcnt(1)
	v_cmp_eq_u32_sdwa vcc, v38, v48 src0_sel:WORD_0 src1_sel:DWORD
	v_cndmask_b32_e32 v27, v27, v38, vcc
.LBB12_4379:                            ;   in Loop: Header=BB12_2997 Depth=2
	s_or_b64 exec, exec, s[40:41]
	v_mul_f32_e32 v38, v26, v37
	v_and_b32_e32 v26, 0x7f800000, v38
	v_cmp_ne_u32_e32 vcc, s97, v26
                                        ; implicit-def: $vgpr26
	s_and_saveexec_b64 s[40:41], vcc
	s_xor_b64 s[40:41], exec, s[40:41]
; %bb.4380:                             ;   in Loop: Header=BB12_2997 Depth=2
	v_bfe_u32 v26, v38, 16, 1
	v_add3_u32 v26, v38, v26, s46
                                        ; implicit-def: $vgpr38
; %bb.4381:                             ;   in Loop: Header=BB12_2997 Depth=2
	s_andn2_saveexec_b64 s[40:41], s[40:41]
	s_cbranch_execz .LBB12_4383
; %bb.4382:                             ;   in Loop: Header=BB12_2997 Depth=2
	buffer_load_dword v48, off, s[0:3], s33 offset:128 ; 4-byte Folded Reload
	buffer_load_dword v49, off, s[0:3], s33 offset:132 ; 4-byte Folded Reload
	v_or_b32_e32 v26, 0x10000, v38
	s_waitcnt vmcnt(1)
	v_cmp_eq_u32_sdwa vcc, v38, v48 src0_sel:WORD_0 src1_sel:DWORD
	v_cndmask_b32_e32 v26, v26, v38, vcc
.LBB12_4383:                            ;   in Loop: Header=BB12_2997 Depth=2
	s_or_b64 exec, exec, s[40:41]
	v_mul_f32_e32 v38, v25, v37
	v_and_b32_e32 v25, 0x7f800000, v38
	v_cmp_ne_u32_e32 vcc, s97, v25
                                        ; implicit-def: $vgpr25
	s_and_saveexec_b64 s[40:41], vcc
	s_xor_b64 s[40:41], exec, s[40:41]
; %bb.4384:                             ;   in Loop: Header=BB12_2997 Depth=2
	v_bfe_u32 v25, v38, 16, 1
	v_add3_u32 v25, v38, v25, s46
                                        ; implicit-def: $vgpr38
; %bb.4385:                             ;   in Loop: Header=BB12_2997 Depth=2
	s_andn2_saveexec_b64 s[40:41], s[40:41]
	s_cbranch_execz .LBB12_4387
; %bb.4386:                             ;   in Loop: Header=BB12_2997 Depth=2
	buffer_load_dword v48, off, s[0:3], s33 offset:128 ; 4-byte Folded Reload
	buffer_load_dword v49, off, s[0:3], s33 offset:132 ; 4-byte Folded Reload
	v_or_b32_e32 v25, 0x10000, v38
	s_waitcnt vmcnt(1)
	v_cmp_eq_u32_sdwa vcc, v38, v48 src0_sel:WORD_0 src1_sel:DWORD
	v_cndmask_b32_e32 v25, v25, v38, vcc
.LBB12_4387:                            ;   in Loop: Header=BB12_2997 Depth=2
	s_or_b64 exec, exec, s[40:41]
	v_mul_f32_e32 v38, v24, v37
	v_and_b32_e32 v24, 0x7f800000, v38
	v_cmp_ne_u32_e32 vcc, s97, v24
                                        ; implicit-def: $vgpr24
	s_and_saveexec_b64 s[40:41], vcc
	s_xor_b64 s[40:41], exec, s[40:41]
; %bb.4388:                             ;   in Loop: Header=BB12_2997 Depth=2
	v_bfe_u32 v24, v38, 16, 1
	v_add3_u32 v24, v38, v24, s46
                                        ; implicit-def: $vgpr38
; %bb.4389:                             ;   in Loop: Header=BB12_2997 Depth=2
	s_andn2_saveexec_b64 s[40:41], s[40:41]
	s_cbranch_execz .LBB12_4391
; %bb.4390:                             ;   in Loop: Header=BB12_2997 Depth=2
	buffer_load_dword v48, off, s[0:3], s33 offset:128 ; 4-byte Folded Reload
	buffer_load_dword v49, off, s[0:3], s33 offset:132 ; 4-byte Folded Reload
	v_or_b32_e32 v24, 0x10000, v38
	s_waitcnt vmcnt(1)
	v_cmp_eq_u32_sdwa vcc, v38, v48 src0_sel:WORD_0 src1_sel:DWORD
	v_cndmask_b32_e32 v24, v24, v38, vcc
.LBB12_4391:                            ;   in Loop: Header=BB12_2997 Depth=2
	s_or_b64 exec, exec, s[40:41]
	v_mul_f32_e32 v38, v23, v37
	v_and_b32_e32 v23, 0x7f800000, v38
	v_cmp_ne_u32_e32 vcc, s97, v23
                                        ; implicit-def: $vgpr23
	s_and_saveexec_b64 s[40:41], vcc
	s_xor_b64 s[40:41], exec, s[40:41]
; %bb.4392:                             ;   in Loop: Header=BB12_2997 Depth=2
	v_bfe_u32 v23, v38, 16, 1
	v_add3_u32 v23, v38, v23, s46
                                        ; implicit-def: $vgpr38
; %bb.4393:                             ;   in Loop: Header=BB12_2997 Depth=2
	s_andn2_saveexec_b64 s[40:41], s[40:41]
	s_cbranch_execz .LBB12_4395
; %bb.4394:                             ;   in Loop: Header=BB12_2997 Depth=2
	buffer_load_dword v48, off, s[0:3], s33 offset:128 ; 4-byte Folded Reload
	buffer_load_dword v49, off, s[0:3], s33 offset:132 ; 4-byte Folded Reload
	v_or_b32_e32 v23, 0x10000, v38
	s_waitcnt vmcnt(1)
	v_cmp_eq_u32_sdwa vcc, v38, v48 src0_sel:WORD_0 src1_sel:DWORD
	v_cndmask_b32_e32 v23, v23, v38, vcc
.LBB12_4395:                            ;   in Loop: Header=BB12_2997 Depth=2
	s_or_b64 exec, exec, s[40:41]
	v_mul_f32_e32 v38, v22, v37
	v_and_b32_e32 v22, 0x7f800000, v38
	v_cmp_ne_u32_e32 vcc, s97, v22
                                        ; implicit-def: $vgpr22
	s_and_saveexec_b64 s[40:41], vcc
	s_xor_b64 s[40:41], exec, s[40:41]
; %bb.4396:                             ;   in Loop: Header=BB12_2997 Depth=2
	v_bfe_u32 v22, v38, 16, 1
	v_add3_u32 v22, v38, v22, s46
                                        ; implicit-def: $vgpr38
; %bb.4397:                             ;   in Loop: Header=BB12_2997 Depth=2
	s_andn2_saveexec_b64 s[40:41], s[40:41]
	s_cbranch_execz .LBB12_4399
; %bb.4398:                             ;   in Loop: Header=BB12_2997 Depth=2
	buffer_load_dword v48, off, s[0:3], s33 offset:128 ; 4-byte Folded Reload
	buffer_load_dword v49, off, s[0:3], s33 offset:132 ; 4-byte Folded Reload
	v_or_b32_e32 v22, 0x10000, v38
	s_waitcnt vmcnt(1)
	v_cmp_eq_u32_sdwa vcc, v38, v48 src0_sel:WORD_0 src1_sel:DWORD
	v_cndmask_b32_e32 v22, v22, v38, vcc
.LBB12_4399:                            ;   in Loop: Header=BB12_2997 Depth=2
	s_or_b64 exec, exec, s[40:41]
	v_mul_f32_e32 v37, v21, v37
	v_and_b32_e32 v21, 0x7f800000, v37
	v_cmp_ne_u32_e32 vcc, s97, v21
                                        ; implicit-def: $vgpr21
	s_and_saveexec_b64 s[40:41], vcc
	s_xor_b64 s[40:41], exec, s[40:41]
; %bb.4400:                             ;   in Loop: Header=BB12_2997 Depth=2
	v_bfe_u32 v21, v37, 16, 1
	v_add3_u32 v21, v37, v21, s46
                                        ; implicit-def: $vgpr37
; %bb.4401:                             ;   in Loop: Header=BB12_2997 Depth=2
	s_andn2_saveexec_b64 s[40:41], s[40:41]
	s_cbranch_execz .LBB12_4403
; %bb.4402:                             ;   in Loop: Header=BB12_2997 Depth=2
	buffer_load_dword v38, off, s[0:3], s33 offset:128 ; 4-byte Folded Reload
	buffer_load_dword v39, off, s[0:3], s33 offset:132 ; 4-byte Folded Reload
	v_or_b32_e32 v21, 0x10000, v37
	s_waitcnt vmcnt(1)
	v_cmp_eq_u32_sdwa vcc, v37, v38 src0_sel:WORD_0 src1_sel:DWORD
	v_cndmask_b32_e32 v21, v21, v37, vcc
.LBB12_4403:                            ;   in Loop: Header=BB12_2997 Depth=2
	s_or_b64 exec, exec, s[40:41]
	v_and_b32_e32 v35, 0xffff0000, v35
	v_add_f32_e32 v35, v20, v35
	v_and_b32_e32 v20, 0x7f800000, v35
	v_cmp_ne_u32_e32 vcc, s97, v20
                                        ; implicit-def: $vgpr20
	s_and_saveexec_b64 s[40:41], vcc
	s_xor_b64 s[40:41], exec, s[40:41]
; %bb.4404:                             ;   in Loop: Header=BB12_2997 Depth=2
	v_bfe_u32 v20, v35, 16, 1
	v_add3_u32 v20, v35, v20, s46
                                        ; implicit-def: $vgpr35
; %bb.4405:                             ;   in Loop: Header=BB12_2997 Depth=2
	s_andn2_saveexec_b64 s[40:41], s[40:41]
	s_cbranch_execz .LBB12_4407
; %bb.4406:                             ;   in Loop: Header=BB12_2997 Depth=2
	buffer_load_dword v37, off, s[0:3], s33 offset:128 ; 4-byte Folded Reload
	buffer_load_dword v38, off, s[0:3], s33 offset:132 ; 4-byte Folded Reload
	v_or_b32_e32 v20, 0x10000, v35
	s_waitcnt vmcnt(1)
	v_cmp_eq_u32_sdwa vcc, v35, v37 src0_sel:WORD_0 src1_sel:DWORD
	v_cndmask_b32_e32 v20, v20, v35, vcc
.LBB12_4407:                            ;   in Loop: Header=BB12_2997 Depth=2
	s_or_b64 exec, exec, s[40:41]
	v_and_b32_e32 v35, 0xffff0000, v36
	v_add_f32_e32 v35, v19, v35
	v_and_b32_e32 v19, 0x7f800000, v35
	v_cmp_ne_u32_e32 vcc, s97, v19
                                        ; implicit-def: $vgpr19
	s_and_saveexec_b64 s[40:41], vcc
	s_xor_b64 s[40:41], exec, s[40:41]
; %bb.4408:                             ;   in Loop: Header=BB12_2997 Depth=2
	v_bfe_u32 v19, v35, 16, 1
	v_add3_u32 v19, v35, v19, s46
                                        ; implicit-def: $vgpr35
; %bb.4409:                             ;   in Loop: Header=BB12_2997 Depth=2
	s_andn2_saveexec_b64 s[40:41], s[40:41]
	s_cbranch_execz .LBB12_4411
; %bb.4410:                             ;   in Loop: Header=BB12_2997 Depth=2
	buffer_load_dword v36, off, s[0:3], s33 offset:128 ; 4-byte Folded Reload
	buffer_load_dword v37, off, s[0:3], s33 offset:132 ; 4-byte Folded Reload
	v_or_b32_e32 v19, 0x10000, v35
	s_waitcnt vmcnt(1)
	v_cmp_eq_u32_sdwa vcc, v35, v36 src0_sel:WORD_0 src1_sel:DWORD
	v_cndmask_b32_e32 v19, v19, v35, vcc
.LBB12_4411:                            ;   in Loop: Header=BB12_2997 Depth=2
	s_or_b64 exec, exec, s[40:41]
	v_and_b32_e32 v34, 0xffff0000, v34
	v_add_f32_e32 v34, v18, v34
	v_and_b32_e32 v18, 0x7f800000, v34
	v_cmp_ne_u32_e32 vcc, s97, v18
                                        ; implicit-def: $vgpr18
	s_and_saveexec_b64 s[40:41], vcc
	s_xor_b64 s[40:41], exec, s[40:41]
; %bb.4412:                             ;   in Loop: Header=BB12_2997 Depth=2
	v_bfe_u32 v18, v34, 16, 1
	v_add3_u32 v18, v34, v18, s46
                                        ; implicit-def: $vgpr34
; %bb.4413:                             ;   in Loop: Header=BB12_2997 Depth=2
	s_andn2_saveexec_b64 s[40:41], s[40:41]
	s_cbranch_execz .LBB12_4415
; %bb.4414:                             ;   in Loop: Header=BB12_2997 Depth=2
	buffer_load_dword v35, off, s[0:3], s33 offset:128 ; 4-byte Folded Reload
	buffer_load_dword v36, off, s[0:3], s33 offset:132 ; 4-byte Folded Reload
	v_or_b32_e32 v18, 0x10000, v34
	s_waitcnt vmcnt(1)
	v_cmp_eq_u32_sdwa vcc, v34, v35 src0_sel:WORD_0 src1_sel:DWORD
	v_cndmask_b32_e32 v18, v18, v34, vcc
.LBB12_4415:                            ;   in Loop: Header=BB12_2997 Depth=2
	s_or_b64 exec, exec, s[40:41]
	v_and_b32_e32 v33, 0xffff0000, v33
	v_add_f32_e32 v33, v17, v33
	v_and_b32_e32 v17, 0x7f800000, v33
	v_cmp_ne_u32_e32 vcc, s97, v17
                                        ; implicit-def: $vgpr17
	s_and_saveexec_b64 s[40:41], vcc
	s_xor_b64 s[40:41], exec, s[40:41]
; %bb.4416:                             ;   in Loop: Header=BB12_2997 Depth=2
	v_bfe_u32 v17, v33, 16, 1
	v_add3_u32 v17, v33, v17, s46
                                        ; implicit-def: $vgpr33
; %bb.4417:                             ;   in Loop: Header=BB12_2997 Depth=2
	s_andn2_saveexec_b64 s[40:41], s[40:41]
	s_cbranch_execz .LBB12_4419
; %bb.4418:                             ;   in Loop: Header=BB12_2997 Depth=2
	buffer_load_dword v34, off, s[0:3], s33 offset:128 ; 4-byte Folded Reload
	buffer_load_dword v35, off, s[0:3], s33 offset:132 ; 4-byte Folded Reload
	v_or_b32_e32 v17, 0x10000, v33
	s_waitcnt vmcnt(1)
	v_cmp_eq_u32_sdwa vcc, v33, v34 src0_sel:WORD_0 src1_sel:DWORD
	v_cndmask_b32_e32 v17, v17, v33, vcc
.LBB12_4419:                            ;   in Loop: Header=BB12_2997 Depth=2
	s_or_b64 exec, exec, s[40:41]
	v_and_b32_e32 v32, 0xffff0000, v32
	v_add_f32_e32 v32, v16, v32
	v_and_b32_e32 v16, 0x7f800000, v32
	v_cmp_ne_u32_e32 vcc, s97, v16
                                        ; implicit-def: $vgpr16
	s_and_saveexec_b64 s[40:41], vcc
	s_xor_b64 s[40:41], exec, s[40:41]
; %bb.4420:                             ;   in Loop: Header=BB12_2997 Depth=2
	v_bfe_u32 v16, v32, 16, 1
	v_add3_u32 v16, v32, v16, s46
                                        ; implicit-def: $vgpr32
; %bb.4421:                             ;   in Loop: Header=BB12_2997 Depth=2
	s_andn2_saveexec_b64 s[40:41], s[40:41]
	s_cbranch_execz .LBB12_4423
; %bb.4422:                             ;   in Loop: Header=BB12_2997 Depth=2
	buffer_load_dword v33, off, s[0:3], s33 offset:128 ; 4-byte Folded Reload
	buffer_load_dword v34, off, s[0:3], s33 offset:132 ; 4-byte Folded Reload
	v_or_b32_e32 v16, 0x10000, v32
	s_waitcnt vmcnt(1)
	v_cmp_eq_u32_sdwa vcc, v32, v33 src0_sel:WORD_0 src1_sel:DWORD
	v_cndmask_b32_e32 v16, v16, v32, vcc
.LBB12_4423:                            ;   in Loop: Header=BB12_2997 Depth=2
	s_or_b64 exec, exec, s[40:41]
	v_and_b32_e32 v31, 0xffff0000, v31
	v_add_f32_e32 v31, v15, v31
	v_and_b32_e32 v15, 0x7f800000, v31
	v_cmp_ne_u32_e32 vcc, s97, v15
                                        ; implicit-def: $vgpr15
	s_and_saveexec_b64 s[40:41], vcc
	s_xor_b64 s[40:41], exec, s[40:41]
; %bb.4424:                             ;   in Loop: Header=BB12_2997 Depth=2
	v_bfe_u32 v15, v31, 16, 1
	v_add3_u32 v15, v31, v15, s46
                                        ; implicit-def: $vgpr31
; %bb.4425:                             ;   in Loop: Header=BB12_2997 Depth=2
	s_andn2_saveexec_b64 s[40:41], s[40:41]
	s_cbranch_execz .LBB12_4427
; %bb.4426:                             ;   in Loop: Header=BB12_2997 Depth=2
	buffer_load_dword v32, off, s[0:3], s33 offset:128 ; 4-byte Folded Reload
	buffer_load_dword v33, off, s[0:3], s33 offset:132 ; 4-byte Folded Reload
	v_or_b32_e32 v15, 0x10000, v31
	s_waitcnt vmcnt(1)
	v_cmp_eq_u32_sdwa vcc, v31, v32 src0_sel:WORD_0 src1_sel:DWORD
	v_cndmask_b32_e32 v15, v15, v31, vcc
.LBB12_4427:                            ;   in Loop: Header=BB12_2997 Depth=2
	s_or_b64 exec, exec, s[40:41]
	v_and_b32_e32 v30, 0xffff0000, v30
	v_add_f32_e32 v30, v14, v30
	v_and_b32_e32 v14, 0x7f800000, v30
	v_cmp_ne_u32_e32 vcc, s97, v14
                                        ; implicit-def: $vgpr14
	s_and_saveexec_b64 s[40:41], vcc
	s_xor_b64 s[40:41], exec, s[40:41]
; %bb.4428:                             ;   in Loop: Header=BB12_2997 Depth=2
	v_bfe_u32 v14, v30, 16, 1
	v_add3_u32 v14, v30, v14, s46
                                        ; implicit-def: $vgpr30
; %bb.4429:                             ;   in Loop: Header=BB12_2997 Depth=2
	s_andn2_saveexec_b64 s[40:41], s[40:41]
	s_cbranch_execz .LBB12_4431
; %bb.4430:                             ;   in Loop: Header=BB12_2997 Depth=2
	buffer_load_dword v31, off, s[0:3], s33 offset:128 ; 4-byte Folded Reload
	buffer_load_dword v32, off, s[0:3], s33 offset:132 ; 4-byte Folded Reload
	v_or_b32_e32 v14, 0x10000, v30
	s_waitcnt vmcnt(1)
	v_cmp_eq_u32_sdwa vcc, v30, v31 src0_sel:WORD_0 src1_sel:DWORD
	v_cndmask_b32_e32 v14, v14, v30, vcc
.LBB12_4431:                            ;   in Loop: Header=BB12_2997 Depth=2
	s_or_b64 exec, exec, s[40:41]
	v_and_b32_e32 v29, 0xffff0000, v29
	v_add_f32_e32 v29, v13, v29
	v_and_b32_e32 v13, 0x7f800000, v29
	v_cmp_ne_u32_e32 vcc, s97, v13
                                        ; implicit-def: $vgpr13
	s_and_saveexec_b64 s[40:41], vcc
	s_xor_b64 s[40:41], exec, s[40:41]
; %bb.4432:                             ;   in Loop: Header=BB12_2997 Depth=2
	v_bfe_u32 v13, v29, 16, 1
	v_add3_u32 v13, v29, v13, s46
                                        ; implicit-def: $vgpr29
; %bb.4433:                             ;   in Loop: Header=BB12_2997 Depth=2
	s_andn2_saveexec_b64 s[40:41], s[40:41]
	s_cbranch_execz .LBB12_4435
; %bb.4434:                             ;   in Loop: Header=BB12_2997 Depth=2
	buffer_load_dword v30, off, s[0:3], s33 offset:128 ; 4-byte Folded Reload
	buffer_load_dword v31, off, s[0:3], s33 offset:132 ; 4-byte Folded Reload
	v_or_b32_e32 v13, 0x10000, v29
	s_waitcnt vmcnt(1)
	v_cmp_eq_u32_sdwa vcc, v29, v30 src0_sel:WORD_0 src1_sel:DWORD
	v_cndmask_b32_e32 v13, v13, v29, vcc
.LBB12_4435:                            ;   in Loop: Header=BB12_2997 Depth=2
	s_or_b64 exec, exec, s[40:41]
	v_and_b32_e32 v28, 0xffff0000, v28
	v_add_f32_e32 v28, v11, v28
	v_and_b32_e32 v11, 0x7f800000, v28
	v_cmp_ne_u32_e32 vcc, s97, v11
                                        ; implicit-def: $vgpr11
	s_and_saveexec_b64 s[40:41], vcc
	s_xor_b64 s[40:41], exec, s[40:41]
; %bb.4436:                             ;   in Loop: Header=BB12_2997 Depth=2
	v_bfe_u32 v11, v28, 16, 1
	v_add3_u32 v11, v28, v11, s46
                                        ; implicit-def: $vgpr28
; %bb.4437:                             ;   in Loop: Header=BB12_2997 Depth=2
	s_andn2_saveexec_b64 s[40:41], s[40:41]
	s_cbranch_execz .LBB12_4439
; %bb.4438:                             ;   in Loop: Header=BB12_2997 Depth=2
	buffer_load_dword v29, off, s[0:3], s33 offset:128 ; 4-byte Folded Reload
	buffer_load_dword v30, off, s[0:3], s33 offset:132 ; 4-byte Folded Reload
	v_or_b32_e32 v11, 0x10000, v28
	s_waitcnt vmcnt(1)
	v_cmp_eq_u32_sdwa vcc, v28, v29 src0_sel:WORD_0 src1_sel:DWORD
	v_cndmask_b32_e32 v11, v11, v28, vcc
.LBB12_4439:                            ;   in Loop: Header=BB12_2997 Depth=2
	s_or_b64 exec, exec, s[40:41]
	v_and_b32_e32 v27, 0xffff0000, v27
	v_add_f32_e32 v27, v10, v27
	v_and_b32_e32 v10, 0x7f800000, v27
	v_cmp_ne_u32_e32 vcc, s97, v10
                                        ; implicit-def: $vgpr10
	s_and_saveexec_b64 s[40:41], vcc
	s_xor_b64 s[40:41], exec, s[40:41]
; %bb.4440:                             ;   in Loop: Header=BB12_2997 Depth=2
	v_bfe_u32 v10, v27, 16, 1
	v_add3_u32 v10, v27, v10, s46
                                        ; implicit-def: $vgpr27
; %bb.4441:                             ;   in Loop: Header=BB12_2997 Depth=2
	s_andn2_saveexec_b64 s[40:41], s[40:41]
	s_cbranch_execz .LBB12_4443
; %bb.4442:                             ;   in Loop: Header=BB12_2997 Depth=2
	buffer_load_dword v28, off, s[0:3], s33 offset:128 ; 4-byte Folded Reload
	buffer_load_dword v29, off, s[0:3], s33 offset:132 ; 4-byte Folded Reload
	v_or_b32_e32 v10, 0x10000, v27
	s_waitcnt vmcnt(1)
	v_cmp_eq_u32_sdwa vcc, v27, v28 src0_sel:WORD_0 src1_sel:DWORD
	v_cndmask_b32_e32 v10, v10, v27, vcc
.LBB12_4443:                            ;   in Loop: Header=BB12_2997 Depth=2
	s_or_b64 exec, exec, s[40:41]
	v_and_b32_e32 v26, 0xffff0000, v26
	v_add_f32_e32 v26, v9, v26
	v_and_b32_e32 v9, 0x7f800000, v26
	v_cmp_ne_u32_e32 vcc, s97, v9
                                        ; implicit-def: $vgpr9
	s_and_saveexec_b64 s[40:41], vcc
	s_xor_b64 s[40:41], exec, s[40:41]
; %bb.4444:                             ;   in Loop: Header=BB12_2997 Depth=2
	v_bfe_u32 v9, v26, 16, 1
	v_add3_u32 v9, v26, v9, s46
                                        ; implicit-def: $vgpr26
; %bb.4445:                             ;   in Loop: Header=BB12_2997 Depth=2
	s_andn2_saveexec_b64 s[40:41], s[40:41]
	s_cbranch_execz .LBB12_4447
; %bb.4446:                             ;   in Loop: Header=BB12_2997 Depth=2
	buffer_load_dword v27, off, s[0:3], s33 offset:128 ; 4-byte Folded Reload
	buffer_load_dword v28, off, s[0:3], s33 offset:132 ; 4-byte Folded Reload
	v_or_b32_e32 v9, 0x10000, v26
	s_waitcnt vmcnt(1)
	v_cmp_eq_u32_sdwa vcc, v26, v27 src0_sel:WORD_0 src1_sel:DWORD
	v_cndmask_b32_e32 v9, v9, v26, vcc
.LBB12_4447:                            ;   in Loop: Header=BB12_2997 Depth=2
	s_or_b64 exec, exec, s[40:41]
	v_and_b32_e32 v25, 0xffff0000, v25
	v_add_f32_e32 v25, v8, v25
	v_and_b32_e32 v8, 0x7f800000, v25
	v_cmp_ne_u32_e32 vcc, s97, v8
                                        ; implicit-def: $vgpr8
	s_and_saveexec_b64 s[40:41], vcc
	s_xor_b64 s[40:41], exec, s[40:41]
; %bb.4448:                             ;   in Loop: Header=BB12_2997 Depth=2
	v_bfe_u32 v8, v25, 16, 1
	v_add3_u32 v8, v25, v8, s46
                                        ; implicit-def: $vgpr25
; %bb.4449:                             ;   in Loop: Header=BB12_2997 Depth=2
	s_andn2_saveexec_b64 s[40:41], s[40:41]
	s_cbranch_execz .LBB12_4451
; %bb.4450:                             ;   in Loop: Header=BB12_2997 Depth=2
	buffer_load_dword v26, off, s[0:3], s33 offset:128 ; 4-byte Folded Reload
	buffer_load_dword v27, off, s[0:3], s33 offset:132 ; 4-byte Folded Reload
	v_or_b32_e32 v8, 0x10000, v25
	s_waitcnt vmcnt(1)
	v_cmp_eq_u32_sdwa vcc, v25, v26 src0_sel:WORD_0 src1_sel:DWORD
	v_cndmask_b32_e32 v8, v8, v25, vcc
.LBB12_4451:                            ;   in Loop: Header=BB12_2997 Depth=2
	s_or_b64 exec, exec, s[40:41]
	v_and_b32_e32 v24, 0xffff0000, v24
	v_add_f32_e32 v24, v7, v24
	v_and_b32_e32 v7, 0x7f800000, v24
	v_cmp_ne_u32_e32 vcc, s97, v7
                                        ; implicit-def: $vgpr7
	s_and_saveexec_b64 s[40:41], vcc
	s_xor_b64 s[40:41], exec, s[40:41]
; %bb.4452:                             ;   in Loop: Header=BB12_2997 Depth=2
	v_bfe_u32 v7, v24, 16, 1
	v_add3_u32 v7, v24, v7, s46
                                        ; implicit-def: $vgpr24
; %bb.4453:                             ;   in Loop: Header=BB12_2997 Depth=2
	s_andn2_saveexec_b64 s[40:41], s[40:41]
	s_cbranch_execz .LBB12_4455
; %bb.4454:                             ;   in Loop: Header=BB12_2997 Depth=2
	buffer_load_dword v25, off, s[0:3], s33 offset:128 ; 4-byte Folded Reload
	buffer_load_dword v26, off, s[0:3], s33 offset:132 ; 4-byte Folded Reload
	v_or_b32_e32 v7, 0x10000, v24
	s_waitcnt vmcnt(1)
	v_cmp_eq_u32_sdwa vcc, v24, v25 src0_sel:WORD_0 src1_sel:DWORD
	v_cndmask_b32_e32 v7, v7, v24, vcc
.LBB12_4455:                            ;   in Loop: Header=BB12_2997 Depth=2
	s_or_b64 exec, exec, s[40:41]
	v_and_b32_e32 v23, 0xffff0000, v23
	v_add_f32_e32 v23, v6, v23
	v_and_b32_e32 v6, 0x7f800000, v23
	v_cmp_ne_u32_e32 vcc, s97, v6
                                        ; implicit-def: $vgpr6
	s_and_saveexec_b64 s[40:41], vcc
	s_xor_b64 s[40:41], exec, s[40:41]
; %bb.4456:                             ;   in Loop: Header=BB12_2997 Depth=2
	v_bfe_u32 v6, v23, 16, 1
	v_add3_u32 v6, v23, v6, s46
                                        ; implicit-def: $vgpr23
; %bb.4457:                             ;   in Loop: Header=BB12_2997 Depth=2
	s_andn2_saveexec_b64 s[40:41], s[40:41]
	s_cbranch_execz .LBB12_4459
; %bb.4458:                             ;   in Loop: Header=BB12_2997 Depth=2
	buffer_load_dword v24, off, s[0:3], s33 offset:128 ; 4-byte Folded Reload
	buffer_load_dword v25, off, s[0:3], s33 offset:132 ; 4-byte Folded Reload
	v_or_b32_e32 v6, 0x10000, v23
	s_waitcnt vmcnt(1)
	v_cmp_eq_u32_sdwa vcc, v23, v24 src0_sel:WORD_0 src1_sel:DWORD
	v_cndmask_b32_e32 v6, v6, v23, vcc
.LBB12_4459:                            ;   in Loop: Header=BB12_2997 Depth=2
	s_or_b64 exec, exec, s[40:41]
	v_and_b32_e32 v22, 0xffff0000, v22
	v_add_f32_e32 v22, v5, v22
	v_and_b32_e32 v5, 0x7f800000, v22
	v_cmp_ne_u32_e32 vcc, s97, v5
                                        ; implicit-def: $vgpr5
	s_and_saveexec_b64 s[40:41], vcc
	s_xor_b64 s[40:41], exec, s[40:41]
; %bb.4460:                             ;   in Loop: Header=BB12_2997 Depth=2
	v_bfe_u32 v5, v22, 16, 1
	v_add3_u32 v5, v22, v5, s46
                                        ; implicit-def: $vgpr22
; %bb.4461:                             ;   in Loop: Header=BB12_2997 Depth=2
	s_andn2_saveexec_b64 s[40:41], s[40:41]
	s_cbranch_execz .LBB12_4463
; %bb.4462:                             ;   in Loop: Header=BB12_2997 Depth=2
	buffer_load_dword v23, off, s[0:3], s33 offset:128 ; 4-byte Folded Reload
	buffer_load_dword v24, off, s[0:3], s33 offset:132 ; 4-byte Folded Reload
	v_or_b32_e32 v5, 0x10000, v22
	s_waitcnt vmcnt(1)
	v_cmp_eq_u32_sdwa vcc, v22, v23 src0_sel:WORD_0 src1_sel:DWORD
	v_cndmask_b32_e32 v5, v5, v22, vcc
.LBB12_4463:                            ;   in Loop: Header=BB12_2997 Depth=2
	s_or_b64 exec, exec, s[40:41]
	v_and_b32_e32 v21, 0xffff0000, v21
	v_add_f32_e32 v21, v4, v21
	v_and_b32_e32 v4, 0x7f800000, v21
	v_cmp_ne_u32_e32 vcc, s97, v4
                                        ; implicit-def: $vgpr4
	s_and_saveexec_b64 s[40:41], vcc
	s_xor_b64 s[40:41], exec, s[40:41]
; %bb.4464:                             ;   in Loop: Header=BB12_2997 Depth=2
	v_bfe_u32 v4, v21, 16, 1
	v_add3_u32 v4, v21, v4, s46
                                        ; implicit-def: $vgpr21
; %bb.4465:                             ;   in Loop: Header=BB12_2997 Depth=2
	s_andn2_saveexec_b64 s[40:41], s[40:41]
	s_cbranch_execz .LBB12_4467
; %bb.4466:                             ;   in Loop: Header=BB12_2997 Depth=2
	buffer_load_dword v22, off, s[0:3], s33 offset:128 ; 4-byte Folded Reload
	buffer_load_dword v23, off, s[0:3], s33 offset:132 ; 4-byte Folded Reload
	v_or_b32_e32 v4, 0x10000, v21
	s_waitcnt vmcnt(1)
	v_cmp_eq_u32_sdwa vcc, v21, v22 src0_sel:WORD_0 src1_sel:DWORD
	v_cndmask_b32_e32 v4, v4, v21, vcc
.LBB12_4467:                            ;   in Loop: Header=BB12_2997 Depth=2
	s_or_b64 exec, exec, s[40:41]
	v_lshrrev_b32_e32 v20, 16, v20
	v_lshrrev_b32_e32 v5, 16, v5
	;; [unrolled: 1-line block ×16, first 2 shown]
	flat_store_short v[2:3], v20 glc slc
	flat_store_short v[2:3], v19 offset:128 glc slc
	flat_store_short v[2:3], v18 offset:256 glc slc
	;; [unrolled: 1-line block ×15, first 2 shown]
	flat_store_short v[0:1], v20 glc slc
	flat_store_short v[0:1], v19 offset:128 glc slc
	flat_store_short v[0:1], v18 offset:256 glc slc
	;; [unrolled: 1-line block ×15, first 2 shown]
.LBB12_4468:                            ;   in Loop: Header=BB12_2997 Depth=2
	s_or_b64 exec, exec, s[28:29]
	buffer_load_dword v0, off, s[0:3], s33 offset:460 ; 4-byte Folded Reload
	buffer_load_dword v4, off, s[0:3], s33 offset:452 ; 4-byte Folded Reload
	;; [unrolled: 1-line block ×4, first 2 shown]
	s_waitcnt vmcnt(0)
	v_lshlrev_b32_e32 v0, 11, v0
	v_cmp_ne_u32_e32 vcc, v4, v0
	s_and_b64 s[28:29], exec, vcc
	s_mov_b64 exec, s[28:29]
	s_cbranch_execz .LBB12_4512
; %bb.4469:                             ;   in Loop: Header=BB12_2997 Depth=2
	v_lshlrev_b32_e32 v1, 6, v12
	v_sub_u32_e32 v1, v2, v1
	v_ashrrev_i32_e32 v2, 31, v1
	v_lshrrev_b32_e32 v2, 26, v2
	v_add_u32_e32 v2, v1, v2
	v_and_b32_e32 v3, 0x7fffffc0, v2
	v_sub_u32_e32 v1, v1, v3
	v_lshlrev_b32_e32 v2, 1, v2
	v_and_b32_e32 v2, 0xffffff80, v2
	v_lshlrev_b32_e32 v1, 1, v1
	v_add3_u32 v0, v2, v1, v0
	v_sub_u32_e32 v4, v4, v0
	v_cmp_lt_i32_e32 vcc, 1, v4
	s_and_b64 exec, exec, vcc
	s_cbranch_execz .LBB12_4512
; %bb.4470:                             ;   in Loop: Header=BB12_2997 Depth=2
	s_trap 2
	ds_read_b128 v[5:8], v0
	v_add_u32_e32 v9, v0, v9
	buffer_load_dword v0, off, s[0:3], s33 offset:620 ; 4-byte Folded Reload
	buffer_load_dword v1, off, s[0:3], s33 offset:624 ; 4-byte Folded Reload
	v_ashrrev_i32_e32 v10, 31, v9
	s_mov_b64 s[94:95], 0
	s_mov_b64 s[90:91], 0
                                        ; implicit-def: $sgpr92_sgpr93
	s_waitcnt vmcnt(0)
	v_add_co_u32_e32 v0, vcc, v0, v9
	v_addc_co_u32_e32 v1, vcc, v1, v10, vcc
	v_add_co_u32_e32 v2, vcc, v52, v9
	v_addc_co_u32_e32 v3, vcc, v53, v10, vcc
	s_waitcnt lgkmcnt(0)
	v_add_co_u32_e32 v5, vcc, v5, v9
	v_addc_co_u32_e32 v6, vcc, v6, v10, vcc
	v_add_co_u32_e32 v7, vcc, v7, v9
	v_addc_co_u32_e32 v8, vcc, v8, v10, vcc
	s_branch .LBB12_4472
.LBB12_4471:                            ;   in Loop: Header=BB12_4472 Depth=3
	s_or_b64 exec, exec, s[28:29]
	v_cmp_gt_i32_e32 vcc, 2, v4
	s_or_b64 s[90:91], vcc, s[90:91]
	s_andn2_b64 s[28:29], s[92:93], exec
	s_and_b64 s[40:41], s[94:95], exec
	s_or_b64 s[92:93], s[28:29], s[40:41]
	s_andn2_b64 exec, exec, s[90:91]
	s_cbranch_execz .LBB12_4501
.LBB12_4472:                            ;   Parent Loop BB12_47 Depth=1
                                        ;     Parent Loop BB12_2997 Depth=2
                                        ; =>    This Loop Header: Depth=3
                                        ;         Child Loop BB12_4473 Depth 4
                                        ;         Child Loop BB12_4484 Depth 4
	;; [unrolled: 1-line block ×4, first 2 shown]
	s_lshr_b32 s9, s33, 6
	s_add_i32 s9, s9, 64
	s_mov_b64 s[40:41], -1
	s_mov_b64 s[30:31], 0
.LBB12_4473:                            ;   Parent Loop BB12_47 Depth=1
                                        ;     Parent Loop BB12_2997 Depth=2
                                        ;       Parent Loop BB12_4472 Depth=3
                                        ; =>      This Inner Loop Header: Depth=4
	s_cmp_eq_u32 s30, 1
	s_cselect_b64 s[28:29], -1, 0
	v_cndmask_b32_e64 v10, v6, v8, s[28:29]
	v_cndmask_b32_e64 v9, v5, v7, s[28:29]
	flat_load_ushort v11, v[9:10] glc slc
	v_add_co_u32_e32 v9, vcc, 0x80, v9
	v_addc_co_u32_e32 v10, vcc, 0, v10, vcc
	s_cmp_eq_u32 s30, 0
	s_waitcnt vmcnt(0)
	v_mov_b32_e32 v12, s9
	s_cselect_b64 vcc, -1, 0
	s_lshr_b32 s9, s33, 6
	s_addk_i32 s9, 0x60
	v_cndmask_b32_e32 v6, v6, v10, vcc
	v_cndmask_b32_e32 v5, v5, v9, vcc
	v_cndmask_b32_e64 v8, v8, v10, s[28:29]
	v_cndmask_b32_e64 v7, v7, v9, s[28:29]
	s_mov_b64 s[30:31], 1
	s_and_b64 vcc, exec, s[40:41]
	s_mov_b64 s[40:41], 0
	s_waitcnt vmcnt(0) lgkmcnt(0)
	buffer_store_short v11, v12, s[0:3], 0 offen
	s_cbranch_vccnz .LBB12_4473
; %bb.4474:                             ;   in Loop: Header=BB12_4472 Depth=3
	s_and_saveexec_b64 s[30:31], s[94:95]
	s_cbranch_execz .LBB12_4486
; %bb.4475:                             ;   in Loop: Header=BB12_4472 Depth=3
	s_trap 2
	buffer_load_ushort v9, off, s[0:3], s33 offset:56
	ds_read_b32 v10, v0
	s_waitcnt lgkmcnt(0)
	v_lshlrev_b32_e32 v10, 16, v10
	s_waitcnt vmcnt(0)
	v_lshlrev_b32_e32 v9, 16, v9
	v_mul_f32_e32 v10, v10, v9
	v_and_b32_e32 v9, 0x7f800000, v10
	v_cmp_ne_u32_e32 vcc, s97, v9
                                        ; implicit-def: $vgpr9
	s_and_saveexec_b64 s[28:29], vcc
	s_xor_b64 s[28:29], exec, s[28:29]
; %bb.4476:                             ;   in Loop: Header=BB12_4472 Depth=3
	v_bfe_u32 v9, v10, 16, 1
	v_add3_u32 v9, v10, v9, s46
                                        ; implicit-def: $vgpr10
; %bb.4477:                             ;   in Loop: Header=BB12_4472 Depth=3
	s_andn2_saveexec_b64 s[28:29], s[28:29]
	s_cbranch_execz .LBB12_4479
; %bb.4478:                             ;   in Loop: Header=BB12_4472 Depth=3
	buffer_load_dword v11, off, s[0:3], s33 offset:128 ; 4-byte Folded Reload
	buffer_load_dword v12, off, s[0:3], s33 offset:132 ; 4-byte Folded Reload
	v_or_b32_e32 v9, 0x10000, v10
	s_waitcnt vmcnt(1)
	v_cmp_eq_u32_sdwa vcc, v10, v11 src0_sel:WORD_0 src1_sel:DWORD
	v_cndmask_b32_e32 v9, v9, v10, vcc
.LBB12_4479:                            ;   in Loop: Header=BB12_4472 Depth=3
	s_or_b64 exec, exec, s[28:29]
	buffer_load_ushort v10, off, s[0:3], s33 offset:58
	v_and_b32_e32 v9, 0xffff0000, v9
	s_waitcnt vmcnt(0)
	v_lshlrev_b32_e32 v10, 16, v10
	v_add_f32_e32 v9, v9, v10
	v_and_b32_e32 v10, 0x7f800000, v9
	v_cmp_ne_u32_e32 vcc, s97, v10
                                        ; implicit-def: $vgpr10
	s_and_saveexec_b64 s[28:29], vcc
	s_xor_b64 s[28:29], exec, s[28:29]
; %bb.4480:                             ;   in Loop: Header=BB12_4472 Depth=3
	v_bfe_u32 v10, v9, 16, 1
	v_add3_u32 v10, v9, v10, s46
                                        ; implicit-def: $vgpr9
; %bb.4481:                             ;   in Loop: Header=BB12_4472 Depth=3
	s_andn2_saveexec_b64 s[28:29], s[28:29]
	s_cbranch_execz .LBB12_4483
; %bb.4482:                             ;   in Loop: Header=BB12_4472 Depth=3
	buffer_load_dword v11, off, s[0:3], s33 offset:128 ; 4-byte Folded Reload
	buffer_load_dword v12, off, s[0:3], s33 offset:132 ; 4-byte Folded Reload
	v_or_b32_e32 v10, 0x10000, v9
	s_waitcnt vmcnt(1)
	v_cmp_eq_u32_sdwa vcc, v9, v11 src0_sel:WORD_0 src1_sel:DWORD
	v_cndmask_b32_e32 v10, v10, v9, vcc
.LBB12_4483:                            ;   in Loop: Header=BB12_4472 Depth=3
	s_or_b64 exec, exec, s[28:29]
	v_lshrrev_b32_e32 v9, 16, v10
	s_mov_b64 s[34:35], 0
	s_mov_b64 s[94:95], -1
	buffer_store_short v9, off, s[0:3], s33 offset:56
.LBB12_4484:                            ;   Parent Loop BB12_47 Depth=1
                                        ;     Parent Loop BB12_2997 Depth=2
                                        ;       Parent Loop BB12_4472 Depth=3
                                        ; =>      This Inner Loop Header: Depth=4
	s_cmp_eq_u32 s34, 1
	s_cselect_b64 s[28:29], -1, 0
	v_cndmask_b32_e64 v11, v1, v3, s[28:29]
	v_cndmask_b32_e64 v10, v0, v2, s[28:29]
	flat_store_short v[10:11], v9 glc slc
	v_add_co_u32_e32 v10, vcc, 0x80, v10
	s_cmp_eq_u32 s34, 0
	v_addc_co_u32_e32 v11, vcc, 0, v11, vcc
	s_cselect_b64 vcc, -1, 0
	s_and_b64 s[40:41], exec, s[94:95]
	s_mov_b64 s[34:35], 1
	v_cndmask_b32_e64 v2, v2, v10, s[28:29]
	s_mov_b64 s[94:95], 0
	v_cndmask_b32_e64 v3, v3, v11, s[28:29]
	v_cndmask_b32_e32 v1, v1, v11, vcc
	v_cndmask_b32_e32 v0, v0, v10, vcc
	s_mov_b64 vcc, s[40:41]
	s_cbranch_vccnz .LBB12_4484
; %bb.4485:                             ;   in Loop: Header=BB12_4472 Depth=3
	buffer_load_dword v9, off, s[0:3], s33 offset:388 ; 4-byte Folded Reload
	buffer_load_dword v10, off, s[0:3], s33 offset:392 ; 4-byte Folded Reload
	s_waitcnt vmcnt(0)
	v_add_co_u32_e32 v0, vcc, v0, v9
	v_addc_co_u32_e32 v1, vcc, v1, v10, vcc
	v_add_co_u32_e32 v2, vcc, v2, v9
	v_addc_co_u32_e32 v3, vcc, v3, v10, vcc
.LBB12_4486:                            ;   in Loop: Header=BB12_4472 Depth=3
	s_or_b64 exec, exec, s[30:31]
	buffer_load_dword v9, off, s[0:3], s33 offset:388 ; 4-byte Folded Reload
	buffer_load_dword v10, off, s[0:3], s33 offset:392 ; 4-byte Folded Reload
	s_waitcnt vmcnt(0)
	v_add_co_u32_e32 v5, vcc, v5, v9
	v_addc_co_u32_e32 v6, vcc, v6, v10, vcc
	v_add_co_u32_e32 v7, vcc, v7, v9
	buffer_load_dword v9, off, s[0:3], s33 offset:280 ; 4-byte Folded Reload
	v_addc_co_u32_e32 v8, vcc, v8, v10, vcc
	s_waitcnt vmcnt(0)
	v_sub_u32_e32 v4, v4, v9
	v_cmp_lt_i32_e64 s[94:95], 1, v4
	s_and_saveexec_b64 s[40:41], s[94:95]
	s_cbranch_execz .LBB12_4489
; %bb.4487:                             ;   in Loop: Header=BB12_4472 Depth=3
	s_lshr_b32 s9, s33, 6
	s_add_i32 s9, s9, 56
	s_mov_b64 s[34:35], 0
	s_mov_b64 s[30:31], -1
.LBB12_4488:                            ;   Parent Loop BB12_47 Depth=1
                                        ;     Parent Loop BB12_2997 Depth=2
                                        ;       Parent Loop BB12_4472 Depth=3
                                        ; =>      This Inner Loop Header: Depth=4
	s_cmp_eq_u32 s34, 1
	s_cselect_b64 s[28:29], -1, 0
	v_cndmask_b32_e64 v10, v6, v8, s[28:29]
	v_cndmask_b32_e64 v9, v5, v7, s[28:29]
	flat_load_ushort v11, v[9:10] glc slc
	v_add_co_u32_e32 v9, vcc, 0x80, v9
	v_addc_co_u32_e32 v10, vcc, 0, v10, vcc
	s_cmp_eq_u32 s34, 0
	v_mov_b32_e32 v12, s9
	s_cselect_b64 vcc, -1, 0
	s_lshr_b32 s9, s33, 6
	s_add_i32 s9, s9, 58
	v_cndmask_b32_e32 v6, v6, v10, vcc
	v_cndmask_b32_e32 v5, v5, v9, vcc
	v_cndmask_b32_e64 v8, v8, v10, s[28:29]
	v_cndmask_b32_e64 v7, v7, v9, s[28:29]
	s_mov_b64 s[34:35], 1
	s_and_b64 vcc, exec, s[30:31]
	s_mov_b64 s[30:31], 0
	s_waitcnt vmcnt(0) lgkmcnt(0)
	buffer_store_short v11, v12, s[0:3], 0 offen
	s_cbranch_vccnz .LBB12_4488
.LBB12_4489:                            ;   in Loop: Header=BB12_4472 Depth=3
	s_or_b64 exec, exec, s[40:41]
	s_trap 2
	buffer_load_ushort v9, off, s[0:3], s33 offset:64
	ds_read_b32 v10, v0
	s_waitcnt lgkmcnt(0)
	v_lshlrev_b32_e32 v10, 16, v10
	s_waitcnt vmcnt(0)
	v_lshlrev_b32_e32 v9, 16, v9
	v_mul_f32_e32 v9, v10, v9
	v_and_b32_e32 v10, 0x7f800000, v9
	v_cmp_ne_u32_e32 vcc, s97, v10
                                        ; implicit-def: $vgpr10
	s_and_saveexec_b64 s[28:29], vcc
	s_xor_b64 s[28:29], exec, s[28:29]
; %bb.4490:                             ;   in Loop: Header=BB12_4472 Depth=3
	v_bfe_u32 v10, v9, 16, 1
	v_add3_u32 v10, v9, v10, s46
                                        ; implicit-def: $vgpr9
; %bb.4491:                             ;   in Loop: Header=BB12_4472 Depth=3
	s_andn2_saveexec_b64 s[28:29], s[28:29]
	s_cbranch_execz .LBB12_4493
; %bb.4492:                             ;   in Loop: Header=BB12_4472 Depth=3
	buffer_load_dword v11, off, s[0:3], s33 offset:128 ; 4-byte Folded Reload
	buffer_load_dword v12, off, s[0:3], s33 offset:132 ; 4-byte Folded Reload
	v_or_b32_e32 v10, 0x10000, v9
	s_waitcnt vmcnt(1)
	v_cmp_eq_u32_sdwa vcc, v9, v11 src0_sel:WORD_0 src1_sel:DWORD
	v_cndmask_b32_e32 v10, v10, v9, vcc
.LBB12_4493:                            ;   in Loop: Header=BB12_4472 Depth=3
	s_or_b64 exec, exec, s[28:29]
	buffer_load_ushort v9, off, s[0:3], s33 offset:96
	v_and_b32_e32 v10, 0xffff0000, v10
	s_waitcnt vmcnt(0)
	v_lshlrev_b32_e32 v9, 16, v9
	v_add_f32_e32 v9, v10, v9
	v_and_b32_e32 v10, 0x7f800000, v9
	v_cmp_ne_u32_e32 vcc, s97, v10
                                        ; implicit-def: $vgpr10
	s_and_saveexec_b64 s[28:29], vcc
	s_xor_b64 s[28:29], exec, s[28:29]
; %bb.4494:                             ;   in Loop: Header=BB12_4472 Depth=3
	v_bfe_u32 v10, v9, 16, 1
	v_add3_u32 v10, v9, v10, s46
                                        ; implicit-def: $vgpr9
; %bb.4495:                             ;   in Loop: Header=BB12_4472 Depth=3
	s_andn2_saveexec_b64 s[28:29], s[28:29]
	s_cbranch_execz .LBB12_4497
; %bb.4496:                             ;   in Loop: Header=BB12_4472 Depth=3
	buffer_load_dword v11, off, s[0:3], s33 offset:128 ; 4-byte Folded Reload
	buffer_load_dword v12, off, s[0:3], s33 offset:132 ; 4-byte Folded Reload
	v_or_b32_e32 v10, 0x10000, v9
	s_waitcnt vmcnt(1)
	v_cmp_eq_u32_sdwa vcc, v9, v11 src0_sel:WORD_0 src1_sel:DWORD
	v_cndmask_b32_e32 v10, v10, v9, vcc
.LBB12_4497:                            ;   in Loop: Header=BB12_4472 Depth=3
	s_or_b64 exec, exec, s[28:29]
	v_lshrrev_b32_e32 v9, 16, v10
	s_mov_b64 s[34:35], 0
	s_mov_b64 s[30:31], -1
	buffer_store_short v9, off, s[0:3], s33 offset:64
.LBB12_4498:                            ;   Parent Loop BB12_47 Depth=1
                                        ;     Parent Loop BB12_2997 Depth=2
                                        ;       Parent Loop BB12_4472 Depth=3
                                        ; =>      This Inner Loop Header: Depth=4
	s_cmp_eq_u32 s34, 1
	s_cselect_b64 s[28:29], -1, 0
	v_cndmask_b32_e64 v11, v1, v3, s[28:29]
	v_cndmask_b32_e64 v10, v0, v2, s[28:29]
	flat_store_short v[10:11], v9 glc slc
	v_add_co_u32_e32 v10, vcc, 0x80, v10
	s_cmp_eq_u32 s34, 0
	v_addc_co_u32_e32 v11, vcc, 0, v11, vcc
	s_cselect_b64 vcc, -1, 0
	s_and_b64 s[40:41], exec, s[30:31]
	s_mov_b64 s[34:35], 1
	v_cndmask_b32_e64 v2, v2, v10, s[28:29]
	s_mov_b64 s[30:31], 0
	v_cndmask_b32_e64 v3, v3, v11, s[28:29]
	v_cndmask_b32_e32 v1, v1, v11, vcc
	v_cndmask_b32_e32 v0, v0, v10, vcc
	s_mov_b64 vcc, s[40:41]
	s_cbranch_vccnz .LBB12_4498
; %bb.4499:                             ;   in Loop: Header=BB12_4472 Depth=3
	s_and_saveexec_b64 s[28:29], s[94:95]
	s_cbranch_execz .LBB12_4471
; %bb.4500:                             ;   in Loop: Header=BB12_4472 Depth=3
	buffer_load_dword v9, off, s[0:3], s33 offset:388 ; 4-byte Folded Reload
	buffer_load_dword v10, off, s[0:3], s33 offset:392 ; 4-byte Folded Reload
	s_waitcnt vmcnt(0)
	v_add_co_u32_e32 v0, vcc, v0, v9
	v_addc_co_u32_e32 v1, vcc, v1, v10, vcc
	v_add_co_u32_e32 v2, vcc, v2, v9
	v_addc_co_u32_e32 v3, vcc, v3, v10, vcc
	;; [unrolled: 2-line block ×3, first 2 shown]
	v_add_co_u32_e32 v7, vcc, v7, v9
	buffer_load_dword v9, off, s[0:3], s33 offset:280 ; 4-byte Folded Reload
	v_addc_co_u32_e32 v8, vcc, v8, v10, vcc
	s_waitcnt vmcnt(0)
	v_sub_u32_e32 v4, v4, v9
	s_branch .LBB12_4471
.LBB12_4501:                            ;   in Loop: Header=BB12_2997 Depth=2
	s_or_b64 exec, exec, s[90:91]
	s_and_b64 exec, exec, s[92:93]
	s_cbranch_execz .LBB12_4512
; %bb.4502:                             ;   in Loop: Header=BB12_2997 Depth=2
	s_trap 2
	buffer_load_ushort v4, off, s[0:3], s33 offset:56
	ds_read_b32 v5, v0
	s_waitcnt lgkmcnt(0)
	v_lshlrev_b32_e32 v5, 16, v5
	s_waitcnt vmcnt(0)
	v_lshlrev_b32_e32 v4, 16, v4
	v_mul_f32_e32 v5, v5, v4
	v_and_b32_e32 v4, 0x7f800000, v5
	v_cmp_ne_u32_e32 vcc, s97, v4
                                        ; implicit-def: $vgpr4
	s_and_saveexec_b64 s[28:29], vcc
	s_xor_b64 s[28:29], exec, s[28:29]
; %bb.4503:                             ;   in Loop: Header=BB12_2997 Depth=2
	v_bfe_u32 v4, v5, 16, 1
	v_add3_u32 v4, v5, v4, s46
                                        ; implicit-def: $vgpr5
; %bb.4504:                             ;   in Loop: Header=BB12_2997 Depth=2
	s_andn2_saveexec_b64 s[28:29], s[28:29]
	s_cbranch_execz .LBB12_4506
; %bb.4505:                             ;   in Loop: Header=BB12_2997 Depth=2
	buffer_load_dword v6, off, s[0:3], s33 offset:128 ; 4-byte Folded Reload
	buffer_load_dword v7, off, s[0:3], s33 offset:132 ; 4-byte Folded Reload
	v_or_b32_e32 v4, 0x10000, v5
	s_waitcnt vmcnt(1)
	v_cmp_eq_u32_sdwa vcc, v5, v6 src0_sel:WORD_0 src1_sel:DWORD
	v_cndmask_b32_e32 v4, v4, v5, vcc
.LBB12_4506:                            ;   in Loop: Header=BB12_2997 Depth=2
	s_or_b64 exec, exec, s[28:29]
	buffer_load_ushort v5, off, s[0:3], s33 offset:58
	v_and_b32_e32 v4, 0xffff0000, v4
	s_waitcnt vmcnt(0)
	v_lshlrev_b32_e32 v5, 16, v5
	v_add_f32_e32 v4, v4, v5
	v_and_b32_e32 v5, 0x7f800000, v4
	v_cmp_ne_u32_e32 vcc, s97, v5
                                        ; implicit-def: $vgpr5
	s_and_saveexec_b64 s[28:29], vcc
	s_xor_b64 s[28:29], exec, s[28:29]
; %bb.4507:                             ;   in Loop: Header=BB12_2997 Depth=2
	v_bfe_u32 v5, v4, 16, 1
	v_add3_u32 v5, v4, v5, s46
                                        ; implicit-def: $vgpr4
; %bb.4508:                             ;   in Loop: Header=BB12_2997 Depth=2
	s_andn2_saveexec_b64 s[28:29], s[28:29]
	s_cbranch_execz .LBB12_4510
; %bb.4509:                             ;   in Loop: Header=BB12_2997 Depth=2
	buffer_load_dword v6, off, s[0:3], s33 offset:128 ; 4-byte Folded Reload
	buffer_load_dword v7, off, s[0:3], s33 offset:132 ; 4-byte Folded Reload
	v_or_b32_e32 v5, 0x10000, v4
	s_waitcnt vmcnt(1)
	v_cmp_eq_u32_sdwa vcc, v4, v6 src0_sel:WORD_0 src1_sel:DWORD
	v_cndmask_b32_e32 v5, v5, v4, vcc
.LBB12_4510:                            ;   in Loop: Header=BB12_2997 Depth=2
	s_or_b64 exec, exec, s[28:29]
	v_lshrrev_b32_e32 v4, 16, v5
	s_mov_b64 s[92:93], 0
	s_mov_b64 s[90:91], -1
.LBB12_4511:                            ;   Parent Loop BB12_47 Depth=1
                                        ;     Parent Loop BB12_2997 Depth=2
                                        ; =>    This Inner Loop Header: Depth=3
	s_cmp_eq_u32 s92, 1
	s_cselect_b64 s[28:29], -1, 0
	v_cndmask_b32_e64 v6, v1, v3, s[28:29]
	v_cndmask_b32_e64 v5, v0, v2, s[28:29]
	flat_store_short v[5:6], v4 glc slc
	v_add_co_u32_e32 v5, vcc, 0x80, v5
	s_cmp_eq_u32 s92, 0
	v_addc_co_u32_e32 v6, vcc, 0, v6, vcc
	s_cselect_b64 vcc, -1, 0
	s_and_b64 s[40:41], exec, s[90:91]
	s_mov_b64 s[92:93], 1
	v_cndmask_b32_e64 v2, v2, v5, s[28:29]
	s_mov_b64 s[90:91], 0
	v_cndmask_b32_e64 v3, v3, v6, s[28:29]
	v_cndmask_b32_e32 v1, v1, v6, vcc
	v_cndmask_b32_e32 v0, v0, v5, vcc
	s_mov_b64 vcc, s[40:41]
	s_cbranch_vccnz .LBB12_4511
.LBB12_4512:                            ;   in Loop: Header=BB12_2997 Depth=2
	s_or_b64 exec, exec, s[42:43]
	s_mov_b64 s[28:29], 0
.LBB12_4513:                            ;   in Loop: Header=BB12_2997 Depth=2
	s_and_b64 vcc, exec, s[28:29]
	s_cbranch_vccz .LBB12_5946
; %bb.4514:                             ;   in Loop: Header=BB12_2997 Depth=2
	s_mov_b64 s[28:29], -1
	s_and_saveexec_b64 s[40:41], s[22:23]
	s_cbranch_execz .LBB12_4516
; %bb.4515:                             ;   in Loop: Header=BB12_2997 Depth=2
	ds_read_b32 v0, v0 offset:720
	s_waitcnt lgkmcnt(0)
	v_and_b32_e32 v0, 15, v0
	v_cmp_eq_u32_e32 vcc, 0, v0
	s_orn2_b64 s[28:29], vcc, exec
.LBB12_4516:                            ;   in Loop: Header=BB12_2997 Depth=2
	s_or_b64 exec, exec, s[40:41]
	s_and_saveexec_b64 s[40:41], s[18:19]
	s_cbranch_execz .LBB12_4518
; %bb.4517:                             ;   in Loop: Header=BB12_2997 Depth=2
	ds_read_b32 v0, v0 offset:784
	s_waitcnt lgkmcnt(0)
	v_and_b32_e32 v0, 15, v0
	v_cmp_eq_u32_e32 vcc, 0, v0
	s_and_b64 s[42:43], s[28:29], vcc
	s_andn2_b64 s[28:29], s[28:29], exec
	s_and_b64 s[42:43], s[42:43], exec
	s_or_b64 s[28:29], s[28:29], s[42:43]
.LBB12_4518:                            ;   in Loop: Header=BB12_2997 Depth=2
	s_or_b64 exec, exec, s[40:41]
	s_xor_b64 s[28:29], s[28:29], -1
	v_cndmask_b32_e64 v0, 0, 1, s[28:29]
	s_mov_b64 s[40:41], -1
	v_cmp_ne_u32_e32 vcc, 0, v0
	s_cbranch_vccz .LBB12_5041
; %bb.4519:                             ;   in Loop: Header=BB12_2997 Depth=2
	s_mov_b64 s[42:43], -1
	v_mov_b32_e32 v6, 0
	s_cbranch_execnz .LBB12_5042
.LBB12_4520:                            ;   in Loop: Header=BB12_2997 Depth=2
	buffer_load_dword v1, off, s[0:3], s33 offset:612 ; 4-byte Folded Reload
	s_mov_b64 s[40:41], 0
                                        ; implicit-def: $vgpr28_vgpr29
                                        ; implicit-def: $vgpr44_vgpr45
                                        ; implicit-def: $vgpr48_vgpr49
	s_waitcnt vmcnt(0)
	v_ashrrev_i32_e32 v0, 31, v1
	v_lshrrev_b32_e32 v0, 20, v0
	v_add_u32_e32 v0, v1, v0
	v_ashrrev_i32_e32 v39, 12, v0
	buffer_load_dword v0, off, s[0:3], s33 offset:600 ; 4-byte Folded Reload
	s_waitcnt vmcnt(0)
	v_sub_u32_e32 v3, v39, v0
	buffer_load_dword v0, off, s[0:3], s33 offset:592 ; 4-byte Folded Reload
	buffer_load_dword v1, off, s[0:3], s33 offset:620 ; 4-byte Folded Reload
	;; [unrolled: 1-line block ×3, first 2 shown]
	s_waitcnt vmcnt(0)
	v_add_co_u32_e32 v14, vcc, v1, v0
	v_addc_co_u32_e32 v15, vcc, 0, v2, vcc
	v_cmp_lt_i32_e32 vcc, 0, v3
                                        ; implicit-def: $vgpr0_vgpr1
	buffer_store_dword v3, off, s[0:3], s33 offset:284 ; 4-byte Folded Spill
	buffer_store_dword v0, off, s[0:3], s33 offset:168 ; 4-byte Folded Spill
	s_nop 0
	buffer_store_dword v1, off, s[0:3], s33 offset:172 ; 4-byte Folded Spill
	buffer_store_dword v2, off, s[0:3], s33 offset:176 ; 4-byte Folded Spill
	buffer_store_dword v3, off, s[0:3], s33 offset:180 ; 4-byte Folded Spill
                                        ; implicit-def: $vgpr0_vgpr1
	buffer_store_dword v0, off, s[0:3], s33 offset:240 ; 4-byte Folded Spill
	s_nop 0
	buffer_store_dword v1, off, s[0:3], s33 offset:244 ; 4-byte Folded Spill
	buffer_store_dword v2, off, s[0:3], s33 offset:248 ; 4-byte Folded Spill
	buffer_store_dword v3, off, s[0:3], s33 offset:252 ; 4-byte Folded Spill
                                        ; implicit-def: $vgpr0_vgpr1
	;; [unrolled: 6-line block ×4, first 2 shown]
	buffer_store_dword v0, off, s[0:3], s33 offset:184 ; 4-byte Folded Spill
	s_nop 0
	buffer_store_dword v1, off, s[0:3], s33 offset:188 ; 4-byte Folded Spill
	buffer_store_dword v2, off, s[0:3], s33 offset:192 ; 4-byte Folded Spill
	buffer_store_dword v3, off, s[0:3], s33 offset:196 ; 4-byte Folded Spill
	s_and_saveexec_b64 s[28:29], vcc
	s_cbranch_execz .LBB12_5044
; %bb.4521:                             ;   in Loop: Header=BB12_2997 Depth=2
	buffer_store_dword v39, off, s[0:3], s33 offset:652 ; 4-byte Folded Spill
	s_trap 2
	ds_read_b64 v[0:1], v0
	buffer_load_dword v3, off, s[0:3], s33 offset:592 ; 4-byte Folded Reload
	s_mov_b64 s[92:93], 0
                                        ; implicit-def: $sgpr90_sgpr91
                                        ; implicit-def: $vgpr28_vgpr29
                                        ; implicit-def: $vgpr44_vgpr45
                                        ; implicit-def: $vgpr48_vgpr49
	s_waitcnt lgkmcnt(0)
	ds_read_b32 v2, v0
	buffer_load_dword v4, off, s[0:3], s33 offset:636 ; 4-byte Folded Reload
	buffer_load_dword v5, off, s[0:3], s33 offset:640 ; 4-byte Folded Reload
	s_waitcnt lgkmcnt(0)
	v_lshlrev_b32_e32 v61, 16, v2
	s_waitcnt vmcnt(2)
	v_add_co_u32_e32 v0, vcc, v0, v3
	v_addc_co_u32_e32 v1, vcc, 0, v1, vcc
	s_waitcnt vmcnt(1)
	v_add_co_u32_e32 v16, vcc, v4, v3
	s_waitcnt vmcnt(0)
	v_addc_co_u32_e32 v17, vcc, 0, v5, vcc
                                        ; implicit-def: $vgpr2_vgpr3
	buffer_store_dword v2, off, s[0:3], s33 offset:168 ; 4-byte Folded Spill
	s_nop 0
	buffer_store_dword v3, off, s[0:3], s33 offset:172 ; 4-byte Folded Spill
	buffer_store_dword v4, off, s[0:3], s33 offset:176 ; 4-byte Folded Spill
	buffer_store_dword v5, off, s[0:3], s33 offset:180 ; 4-byte Folded Spill
                                        ; implicit-def: $vgpr2_vgpr3
	buffer_store_dword v2, off, s[0:3], s33 offset:240 ; 4-byte Folded Spill
	s_nop 0
	buffer_store_dword v3, off, s[0:3], s33 offset:244 ; 4-byte Folded Spill
	buffer_store_dword v4, off, s[0:3], s33 offset:248 ; 4-byte Folded Spill
	buffer_store_dword v5, off, s[0:3], s33 offset:252 ; 4-byte Folded Spill
	;; [unrolled: 6-line block ×5, first 2 shown]
	s_branch .LBB12_4523
.LBB12_4522:                            ;   in Loop: Header=BB12_4523 Depth=3
	s_or_b64 exec, exec, s[94:95]
	buffer_load_dword v2, off, s[0:3], s33 offset:284 ; 4-byte Folded Reload
	s_waitcnt vmcnt(0)
	v_cmp_gt_i32_e32 vcc, 1, v2
	s_or_b64 s[40:41], vcc, s[40:41]
	s_andn2_b64 s[90:91], s[90:91], exec
	s_and_b64 s[94:95], s[92:93], exec
	s_or_b64 s[90:91], s[90:91], s[94:95]
	s_andn2_b64 exec, exec, s[40:41]
	s_cbranch_execz .LBB12_5043
.LBB12_4523:                            ;   Parent Loop BB12_47 Depth=1
                                        ;     Parent Loop BB12_2997 Depth=2
                                        ; =>    This Inner Loop Header: Depth=3
	global_load_dwordx4 v[10:13], v[16:17], off glc slc
	global_load_dwordx4 v[6:9], v[16:17], off offset:1024 glc slc
	global_load_dwordx4 v[2:5], v[16:17], off offset:2048 glc slc
	;; [unrolled: 1-line block ×3, first 2 shown]
	global_load_dwordx4 v[40:43], v[0:1], off glc slc
	global_load_dwordx4 v[52:55], v[0:1], off offset:1024 glc slc
	global_load_dwordx4 v[36:39], v[0:1], off offset:2048 glc slc
	;; [unrolled: 1-line block ×3, first 2 shown]
	s_and_saveexec_b64 s[94:95], s[92:93]
	s_cbranch_execz .LBB12_4781
; %bb.4524:                             ;   in Loop: Header=BB12_4523 Depth=3
	v_lshlrev_b32_e32 v18, 16, v28
	v_mul_f32_e32 v18, v61, v18
	v_and_b32_e32 v19, 0x7f800000, v18
	v_cmp_ne_u32_e32 vcc, s97, v19
                                        ; implicit-def: $vgpr60
	s_and_saveexec_b64 s[92:93], vcc
	s_xor_b64 s[92:93], exec, s[92:93]
; %bb.4525:                             ;   in Loop: Header=BB12_4523 Depth=3
	v_bfe_u32 v19, v18, 16, 1
	v_add3_u32 v60, v18, v19, s46
                                        ; implicit-def: $vgpr18
; %bb.4526:                             ;   in Loop: Header=BB12_4523 Depth=3
	s_andn2_saveexec_b64 s[92:93], s[92:93]
	s_cbranch_execz .LBB12_4528
; %bb.4527:                             ;   in Loop: Header=BB12_4523 Depth=3
	buffer_load_dword v20, off, s[0:3], s33 offset:128 ; 4-byte Folded Reload
	buffer_load_dword v21, off, s[0:3], s33 offset:132 ; 4-byte Folded Reload
	v_or_b32_e32 v19, 0x10000, v18
	s_waitcnt vmcnt(1)
	v_cmp_eq_u32_sdwa vcc, v18, v20 src0_sel:WORD_0 src1_sel:DWORD
	v_cndmask_b32_e32 v60, v19, v18, vcc
.LBB12_4528:                            ;   in Loop: Header=BB12_4523 Depth=3
	s_or_b64 exec, exec, s[92:93]
	v_and_b32_e32 v18, 0xffff0000, v28
	v_mul_f32_e32 v18, v61, v18
	v_and_b32_e32 v19, 0x7f800000, v18
	v_cmp_ne_u32_e32 vcc, s97, v19
                                        ; implicit-def: $vgpr23
	s_and_saveexec_b64 s[92:93], vcc
	s_xor_b64 s[92:93], exec, s[92:93]
; %bb.4529:                             ;   in Loop: Header=BB12_4523 Depth=3
	v_bfe_u32 v19, v18, 16, 1
	v_add3_u32 v23, v18, v19, s46
                                        ; implicit-def: $vgpr18
; %bb.4530:                             ;   in Loop: Header=BB12_4523 Depth=3
	s_andn2_saveexec_b64 s[92:93], s[92:93]
	s_cbranch_execz .LBB12_4532
; %bb.4531:                             ;   in Loop: Header=BB12_4523 Depth=3
	buffer_load_dword v20, off, s[0:3], s33 offset:128 ; 4-byte Folded Reload
	buffer_load_dword v21, off, s[0:3], s33 offset:132 ; 4-byte Folded Reload
	v_or_b32_e32 v19, 0x10000, v18
	s_waitcnt vmcnt(1)
	v_cmp_eq_u32_sdwa vcc, v18, v20 src0_sel:WORD_0 src1_sel:DWORD
	v_cndmask_b32_e32 v23, v19, v18, vcc
.LBB12_4532:                            ;   in Loop: Header=BB12_4523 Depth=3
	s_or_b64 exec, exec, s[92:93]
	v_lshlrev_b32_e32 v18, 16, v29
	v_mul_f32_e32 v18, v61, v18
	v_and_b32_e32 v19, 0x7f800000, v18
	v_cmp_ne_u32_e32 vcc, s97, v19
                                        ; implicit-def: $vgpr28
	s_and_saveexec_b64 s[92:93], vcc
	s_xor_b64 s[92:93], exec, s[92:93]
; %bb.4533:                             ;   in Loop: Header=BB12_4523 Depth=3
	v_bfe_u32 v19, v18, 16, 1
	v_add3_u32 v28, v18, v19, s46
                                        ; implicit-def: $vgpr18
; %bb.4534:                             ;   in Loop: Header=BB12_4523 Depth=3
	s_andn2_saveexec_b64 s[92:93], s[92:93]
	s_cbranch_execz .LBB12_4536
; %bb.4535:                             ;   in Loop: Header=BB12_4523 Depth=3
	buffer_load_dword v20, off, s[0:3], s33 offset:128 ; 4-byte Folded Reload
	buffer_load_dword v21, off, s[0:3], s33 offset:132 ; 4-byte Folded Reload
	v_or_b32_e32 v19, 0x10000, v18
	s_waitcnt vmcnt(1)
	v_cmp_eq_u32_sdwa vcc, v18, v20 src0_sel:WORD_0 src1_sel:DWORD
	v_cndmask_b32_e32 v28, v19, v18, vcc
.LBB12_4536:                            ;   in Loop: Header=BB12_4523 Depth=3
	s_or_b64 exec, exec, s[92:93]
	v_and_b32_e32 v18, 0xffff0000, v29
	v_mul_f32_e32 v18, v61, v18
	v_and_b32_e32 v19, 0x7f800000, v18
	v_cmp_ne_u32_e32 vcc, s97, v19
                                        ; implicit-def: $vgpr21
	s_and_saveexec_b64 s[92:93], vcc
	s_xor_b64 s[92:93], exec, s[92:93]
	s_cbranch_execz .LBB12_4538
; %bb.4537:                             ;   in Loop: Header=BB12_4523 Depth=3
	v_bfe_u32 v19, v18, 16, 1
	s_waitcnt vmcnt(0)
	v_add3_u32 v21, v18, v19, s46
                                        ; implicit-def: $vgpr18
.LBB12_4538:                            ;   in Loop: Header=BB12_4523 Depth=3
	s_andn2_saveexec_b64 s[92:93], s[92:93]
	s_cbranch_execz .LBB12_4540
; %bb.4539:                             ;   in Loop: Header=BB12_4523 Depth=3
	buffer_load_dword v20, off, s[0:3], s33 offset:128 ; 4-byte Folded Reload
	buffer_load_dword v21, off, s[0:3], s33 offset:132 ; 4-byte Folded Reload
	v_or_b32_e32 v19, 0x10000, v18
	s_waitcnt vmcnt(1)
	v_cmp_eq_u32_sdwa vcc, v18, v20 src0_sel:WORD_0 src1_sel:DWORD
	s_waitcnt vmcnt(0)
	v_cndmask_b32_e32 v21, v19, v18, vcc
.LBB12_4540:                            ;   in Loop: Header=BB12_4523 Depth=3
	s_or_b64 exec, exec, s[92:93]
	v_lshlrev_b32_e32 v18, 16, v30
	v_mul_f32_e32 v18, v61, v18
	v_and_b32_e32 v19, 0x7f800000, v18
	v_cmp_ne_u32_e32 vcc, s97, v19
                                        ; implicit-def: $vgpr22
	s_and_saveexec_b64 s[92:93], vcc
	s_xor_b64 s[92:93], exec, s[92:93]
; %bb.4541:                             ;   in Loop: Header=BB12_4523 Depth=3
	v_bfe_u32 v19, v18, 16, 1
	v_add3_u32 v22, v18, v19, s46
                                        ; implicit-def: $vgpr18
; %bb.4542:                             ;   in Loop: Header=BB12_4523 Depth=3
	s_andn2_saveexec_b64 s[92:93], s[92:93]
	s_cbranch_execz .LBB12_4544
; %bb.4543:                             ;   in Loop: Header=BB12_4523 Depth=3
	buffer_load_dword v24, off, s[0:3], s33 offset:128 ; 4-byte Folded Reload
	buffer_load_dword v25, off, s[0:3], s33 offset:132 ; 4-byte Folded Reload
	v_or_b32_e32 v19, 0x10000, v18
	s_waitcnt vmcnt(1)
	v_cmp_eq_u32_sdwa vcc, v18, v24 src0_sel:WORD_0 src1_sel:DWORD
	v_cndmask_b32_e32 v22, v19, v18, vcc
.LBB12_4544:                            ;   in Loop: Header=BB12_4523 Depth=3
	s_or_b64 exec, exec, s[92:93]
	v_and_b32_e32 v18, 0xffff0000, v30
	v_mul_f32_e32 v18, v61, v18
	v_and_b32_e32 v19, 0x7f800000, v18
	v_cmp_ne_u32_e32 vcc, s97, v19
                                        ; implicit-def: $vgpr19
	s_and_saveexec_b64 s[92:93], vcc
	s_xor_b64 s[92:93], exec, s[92:93]
; %bb.4545:                             ;   in Loop: Header=BB12_4523 Depth=3
	v_bfe_u32 v19, v18, 16, 1
	v_add3_u32 v19, v18, v19, s46
                                        ; implicit-def: $vgpr18
; %bb.4546:                             ;   in Loop: Header=BB12_4523 Depth=3
	s_andn2_saveexec_b64 s[92:93], s[92:93]
	s_cbranch_execz .LBB12_4548
; %bb.4547:                             ;   in Loop: Header=BB12_4523 Depth=3
	buffer_load_dword v24, off, s[0:3], s33 offset:128 ; 4-byte Folded Reload
	buffer_load_dword v25, off, s[0:3], s33 offset:132 ; 4-byte Folded Reload
	v_or_b32_e32 v19, 0x10000, v18
	s_waitcnt vmcnt(1)
	v_cmp_eq_u32_sdwa vcc, v18, v24 src0_sel:WORD_0 src1_sel:DWORD
	v_cndmask_b32_e32 v19, v19, v18, vcc
.LBB12_4548:                            ;   in Loop: Header=BB12_4523 Depth=3
	s_or_b64 exec, exec, s[92:93]
	v_lshlrev_b32_e32 v18, 16, v31
	v_mul_f32_e32 v18, v61, v18
	v_and_b32_e32 v20, 0x7f800000, v18
	v_cmp_ne_u32_e32 vcc, s97, v20
                                        ; implicit-def: $vgpr20
	s_and_saveexec_b64 s[92:93], vcc
	s_xor_b64 s[92:93], exec, s[92:93]
; %bb.4549:                             ;   in Loop: Header=BB12_4523 Depth=3
	v_bfe_u32 v20, v18, 16, 1
	v_add3_u32 v20, v18, v20, s46
                                        ; implicit-def: $vgpr18
; %bb.4550:                             ;   in Loop: Header=BB12_4523 Depth=3
	s_andn2_saveexec_b64 s[92:93], s[92:93]
	s_cbranch_execz .LBB12_4552
; %bb.4551:                             ;   in Loop: Header=BB12_4523 Depth=3
	buffer_load_dword v24, off, s[0:3], s33 offset:128 ; 4-byte Folded Reload
	buffer_load_dword v25, off, s[0:3], s33 offset:132 ; 4-byte Folded Reload
	v_or_b32_e32 v20, 0x10000, v18
	s_waitcnt vmcnt(1)
	v_cmp_eq_u32_sdwa vcc, v18, v24 src0_sel:WORD_0 src1_sel:DWORD
	v_cndmask_b32_e32 v20, v20, v18, vcc
.LBB12_4552:                            ;   in Loop: Header=BB12_4523 Depth=3
	s_or_b64 exec, exec, s[92:93]
	v_and_b32_e32 v18, 0xffff0000, v31
	v_mul_f32_e32 v18, v61, v18
	v_and_b32_e32 v24, 0x7f800000, v18
	v_cmp_ne_u32_e32 vcc, s97, v24
                                        ; implicit-def: $vgpr31
	s_and_saveexec_b64 s[92:93], vcc
	s_xor_b64 s[92:93], exec, s[92:93]
; %bb.4553:                             ;   in Loop: Header=BB12_4523 Depth=3
	v_bfe_u32 v24, v18, 16, 1
	v_add3_u32 v31, v18, v24, s46
                                        ; implicit-def: $vgpr18
; %bb.4554:                             ;   in Loop: Header=BB12_4523 Depth=3
	s_andn2_saveexec_b64 s[92:93], s[92:93]
	s_cbranch_execz .LBB12_4556
; %bb.4555:                             ;   in Loop: Header=BB12_4523 Depth=3
	buffer_load_dword v25, off, s[0:3], s33 offset:128 ; 4-byte Folded Reload
	buffer_load_dword v26, off, s[0:3], s33 offset:132 ; 4-byte Folded Reload
	v_or_b32_e32 v24, 0x10000, v18
	s_waitcnt vmcnt(1)
	v_cmp_eq_u32_sdwa vcc, v18, v25 src0_sel:WORD_0 src1_sel:DWORD
	v_cndmask_b32_e32 v31, v24, v18, vcc
.LBB12_4556:                            ;   in Loop: Header=BB12_4523 Depth=3
	s_or_b64 exec, exec, s[92:93]
	v_lshlrev_b32_e32 v18, 16, v44
	v_mul_f32_e32 v24, v61, v18
	v_and_b32_e32 v18, 0x7f800000, v24
	v_cmp_ne_u32_e32 vcc, s97, v18
                                        ; implicit-def: $vgpr18
	s_and_saveexec_b64 s[92:93], vcc
	s_xor_b64 s[92:93], exec, s[92:93]
; %bb.4557:                             ;   in Loop: Header=BB12_4523 Depth=3
	v_bfe_u32 v18, v24, 16, 1
	v_add3_u32 v18, v24, v18, s46
                                        ; implicit-def: $vgpr24
; %bb.4558:                             ;   in Loop: Header=BB12_4523 Depth=3
	s_andn2_saveexec_b64 s[92:93], s[92:93]
	s_cbranch_execz .LBB12_4560
; %bb.4559:                             ;   in Loop: Header=BB12_4523 Depth=3
	buffer_load_dword v25, off, s[0:3], s33 offset:128 ; 4-byte Folded Reload
	buffer_load_dword v26, off, s[0:3], s33 offset:132 ; 4-byte Folded Reload
	v_or_b32_e32 v18, 0x10000, v24
	s_waitcnt vmcnt(1)
	v_cmp_eq_u32_sdwa vcc, v24, v25 src0_sel:WORD_0 src1_sel:DWORD
	v_cndmask_b32_e32 v18, v18, v24, vcc
.LBB12_4560:                            ;   in Loop: Header=BB12_4523 Depth=3
	s_or_b64 exec, exec, s[92:93]
	v_and_b32_e32 v24, 0xffff0000, v44
	v_mul_f32_e32 v24, v61, v24
	s_waitcnt vmcnt(0)
	v_and_b32_e32 v25, 0x7f800000, v24
	v_cmp_ne_u32_e32 vcc, s97, v25
                                        ; implicit-def: $vgpr29
	s_and_saveexec_b64 s[92:93], vcc
	s_xor_b64 s[92:93], exec, s[92:93]
; %bb.4561:                             ;   in Loop: Header=BB12_4523 Depth=3
	v_bfe_u32 v25, v24, 16, 1
	v_add3_u32 v29, v24, v25, s46
                                        ; implicit-def: $vgpr24
; %bb.4562:                             ;   in Loop: Header=BB12_4523 Depth=3
	s_andn2_saveexec_b64 s[92:93], s[92:93]
	s_cbranch_execz .LBB12_4564
; %bb.4563:                             ;   in Loop: Header=BB12_4523 Depth=3
	buffer_load_dword v26, off, s[0:3], s33 offset:128 ; 4-byte Folded Reload
	buffer_load_dword v27, off, s[0:3], s33 offset:132 ; 4-byte Folded Reload
	v_or_b32_e32 v25, 0x10000, v24
	s_waitcnt vmcnt(1)
	v_cmp_eq_u32_sdwa vcc, v24, v26 src0_sel:WORD_0 src1_sel:DWORD
	v_cndmask_b32_e32 v29, v25, v24, vcc
.LBB12_4564:                            ;   in Loop: Header=BB12_4523 Depth=3
	s_or_b64 exec, exec, s[92:93]
	v_lshlrev_b32_e32 v24, 16, v45
	v_mul_f32_e32 v24, v61, v24
	v_and_b32_e32 v25, 0x7f800000, v24
	v_cmp_ne_u32_e32 vcc, s97, v25
                                        ; implicit-def: $vgpr30
	s_and_saveexec_b64 s[92:93], vcc
	s_xor_b64 s[92:93], exec, s[92:93]
; %bb.4565:                             ;   in Loop: Header=BB12_4523 Depth=3
	v_bfe_u32 v25, v24, 16, 1
	v_add3_u32 v30, v24, v25, s46
                                        ; implicit-def: $vgpr24
; %bb.4566:                             ;   in Loop: Header=BB12_4523 Depth=3
	s_andn2_saveexec_b64 s[92:93], s[92:93]
	s_cbranch_execz .LBB12_4568
; %bb.4567:                             ;   in Loop: Header=BB12_4523 Depth=3
	buffer_load_dword v26, off, s[0:3], s33 offset:128 ; 4-byte Folded Reload
	buffer_load_dword v27, off, s[0:3], s33 offset:132 ; 4-byte Folded Reload
	v_or_b32_e32 v25, 0x10000, v24
	s_waitcnt vmcnt(1)
	v_cmp_eq_u32_sdwa vcc, v24, v26 src0_sel:WORD_0 src1_sel:DWORD
	v_cndmask_b32_e32 v30, v25, v24, vcc
.LBB12_4568:                            ;   in Loop: Header=BB12_4523 Depth=3
	s_or_b64 exec, exec, s[92:93]
	v_and_b32_e32 v24, 0xffff0000, v45
	v_mul_f32_e32 v24, v61, v24
	v_and_b32_e32 v25, 0x7f800000, v24
	v_cmp_ne_u32_e32 vcc, s97, v25
                                        ; implicit-def: $vgpr45
	s_and_saveexec_b64 s[92:93], vcc
	s_xor_b64 s[92:93], exec, s[92:93]
; %bb.4569:                             ;   in Loop: Header=BB12_4523 Depth=3
	v_bfe_u32 v25, v24, 16, 1
	v_add3_u32 v45, v24, v25, s46
                                        ; implicit-def: $vgpr24
; %bb.4570:                             ;   in Loop: Header=BB12_4523 Depth=3
	s_andn2_saveexec_b64 s[92:93], s[92:93]
	s_cbranch_execz .LBB12_4572
; %bb.4571:                             ;   in Loop: Header=BB12_4523 Depth=3
	buffer_load_dword v26, off, s[0:3], s33 offset:128 ; 4-byte Folded Reload
	buffer_load_dword v27, off, s[0:3], s33 offset:132 ; 4-byte Folded Reload
	v_or_b32_e32 v25, 0x10000, v24
	s_waitcnt vmcnt(1)
	v_cmp_eq_u32_sdwa vcc, v24, v26 src0_sel:WORD_0 src1_sel:DWORD
	v_cndmask_b32_e32 v45, v25, v24, vcc
.LBB12_4572:                            ;   in Loop: Header=BB12_4523 Depth=3
	s_or_b64 exec, exec, s[92:93]
	v_lshlrev_b32_e32 v24, 16, v46
	v_mul_f32_e32 v24, v61, v24
	v_and_b32_e32 v25, 0x7f800000, v24
	v_cmp_ne_u32_e32 vcc, s97, v25
                                        ; implicit-def: $vgpr44
	s_and_saveexec_b64 s[92:93], vcc
	s_xor_b64 s[92:93], exec, s[92:93]
; %bb.4573:                             ;   in Loop: Header=BB12_4523 Depth=3
	v_bfe_u32 v25, v24, 16, 1
	v_add3_u32 v44, v24, v25, s46
                                        ; implicit-def: $vgpr24
; %bb.4574:                             ;   in Loop: Header=BB12_4523 Depth=3
	s_andn2_saveexec_b64 s[92:93], s[92:93]
	s_cbranch_execz .LBB12_4576
; %bb.4575:                             ;   in Loop: Header=BB12_4523 Depth=3
	buffer_load_dword v26, off, s[0:3], s33 offset:128 ; 4-byte Folded Reload
	buffer_load_dword v27, off, s[0:3], s33 offset:132 ; 4-byte Folded Reload
	v_or_b32_e32 v25, 0x10000, v24
	s_waitcnt vmcnt(1)
	v_cmp_eq_u32_sdwa vcc, v24, v26 src0_sel:WORD_0 src1_sel:DWORD
	v_cndmask_b32_e32 v44, v25, v24, vcc
.LBB12_4576:                            ;   in Loop: Header=BB12_4523 Depth=3
	s_or_b64 exec, exec, s[92:93]
	v_and_b32_e32 v24, 0xffff0000, v46
	v_mul_f32_e32 v24, v61, v24
	v_and_b32_e32 v25, 0x7f800000, v24
	v_cmp_ne_u32_e32 vcc, s97, v25
                                        ; implicit-def: $vgpr46
	s_and_saveexec_b64 s[92:93], vcc
	s_xor_b64 s[92:93], exec, s[92:93]
; %bb.4577:                             ;   in Loop: Header=BB12_4523 Depth=3
	v_bfe_u32 v25, v24, 16, 1
	v_add3_u32 v46, v24, v25, s46
                                        ; implicit-def: $vgpr24
; %bb.4578:                             ;   in Loop: Header=BB12_4523 Depth=3
	s_andn2_saveexec_b64 s[92:93], s[92:93]
	s_cbranch_execz .LBB12_4580
; %bb.4579:                             ;   in Loop: Header=BB12_4523 Depth=3
	buffer_load_dword v26, off, s[0:3], s33 offset:128 ; 4-byte Folded Reload
	buffer_load_dword v27, off, s[0:3], s33 offset:132 ; 4-byte Folded Reload
	v_or_b32_e32 v25, 0x10000, v24
	s_waitcnt vmcnt(1)
	v_cmp_eq_u32_sdwa vcc, v24, v26 src0_sel:WORD_0 src1_sel:DWORD
	v_cndmask_b32_e32 v46, v25, v24, vcc
.LBB12_4580:                            ;   in Loop: Header=BB12_4523 Depth=3
	s_or_b64 exec, exec, s[92:93]
	v_lshlrev_b32_e32 v24, 16, v47
	v_mul_f32_e32 v24, v61, v24
	v_and_b32_e32 v25, 0x7f800000, v24
	v_cmp_ne_u32_e32 vcc, s97, v25
                                        ; implicit-def: $vgpr25
                                        ; kill: killed $vgpr25
	s_and_saveexec_b64 s[92:93], vcc
	s_xor_b64 s[92:93], exec, s[92:93]
	s_cbranch_execz .LBB12_4582
; %bb.4581:                             ;   in Loop: Header=BB12_4523 Depth=3
	v_bfe_u32 v25, v24, 16, 1
	v_add3_u32 v24, v24, v25, s46
	buffer_store_dword v24, off, s[0:3], s33 offset:460 ; 4-byte Folded Spill
                                        ; implicit-def: $vgpr24
.LBB12_4582:                            ;   in Loop: Header=BB12_4523 Depth=3
	s_andn2_saveexec_b64 s[92:93], s[92:93]
	s_cbranch_execz .LBB12_4584
; %bb.4583:                             ;   in Loop: Header=BB12_4523 Depth=3
	buffer_load_dword v26, off, s[0:3], s33 offset:128 ; 4-byte Folded Reload
	buffer_load_dword v27, off, s[0:3], s33 offset:132 ; 4-byte Folded Reload
	v_or_b32_e32 v25, 0x10000, v24
	s_waitcnt vmcnt(1)
	v_cmp_eq_u32_sdwa vcc, v24, v26 src0_sel:WORD_0 src1_sel:DWORD
	v_cndmask_b32_e32 v24, v25, v24, vcc
	buffer_store_dword v24, off, s[0:3], s33 offset:460 ; 4-byte Folded Spill
.LBB12_4584:                            ;   in Loop: Header=BB12_4523 Depth=3
	s_or_b64 exec, exec, s[92:93]
	v_and_b32_e32 v24, 0xffff0000, v47
	v_mul_f32_e32 v24, v61, v24
	v_and_b32_e32 v25, 0x7f800000, v24
	v_cmp_ne_u32_e32 vcc, s97, v25
                                        ; implicit-def: $vgpr47
	s_and_saveexec_b64 s[92:93], vcc
	s_xor_b64 s[92:93], exec, s[92:93]
; %bb.4585:                             ;   in Loop: Header=BB12_4523 Depth=3
	v_bfe_u32 v25, v24, 16, 1
	v_add3_u32 v47, v24, v25, s46
                                        ; implicit-def: $vgpr24
; %bb.4586:                             ;   in Loop: Header=BB12_4523 Depth=3
	s_andn2_saveexec_b64 s[92:93], s[92:93]
	s_cbranch_execz .LBB12_4588
; %bb.4587:                             ;   in Loop: Header=BB12_4523 Depth=3
	buffer_load_dword v26, off, s[0:3], s33 offset:128 ; 4-byte Folded Reload
	buffer_load_dword v27, off, s[0:3], s33 offset:132 ; 4-byte Folded Reload
	v_or_b32_e32 v25, 0x10000, v24
	s_waitcnt vmcnt(1)
	v_cmp_eq_u32_sdwa vcc, v24, v26 src0_sel:WORD_0 src1_sel:DWORD
	v_cndmask_b32_e32 v47, v25, v24, vcc
.LBB12_4588:                            ;   in Loop: Header=BB12_4523 Depth=3
	s_or_b64 exec, exec, s[92:93]
	v_lshlrev_b32_e32 v24, 16, v48
	v_mul_f32_e32 v24, v61, v24
	v_and_b32_e32 v25, 0x7f800000, v24
	v_cmp_ne_u32_e32 vcc, s97, v25
                                        ; implicit-def: $vgpr25
                                        ; kill: killed $vgpr25
	s_and_saveexec_b64 s[92:93], vcc
	s_xor_b64 s[92:93], exec, s[92:93]
	s_cbranch_execz .LBB12_4590
; %bb.4589:                             ;   in Loop: Header=BB12_4523 Depth=3
	v_bfe_u32 v25, v24, 16, 1
	v_add3_u32 v24, v24, v25, s46
	buffer_store_dword v24, off, s[0:3], s33 offset:456 ; 4-byte Folded Spill
                                        ; implicit-def: $vgpr24
.LBB12_4590:                            ;   in Loop: Header=BB12_4523 Depth=3
	s_andn2_saveexec_b64 s[92:93], s[92:93]
	s_cbranch_execz .LBB12_4592
; %bb.4591:                             ;   in Loop: Header=BB12_4523 Depth=3
	buffer_load_dword v26, off, s[0:3], s33 offset:128 ; 4-byte Folded Reload
	buffer_load_dword v27, off, s[0:3], s33 offset:132 ; 4-byte Folded Reload
	v_or_b32_e32 v25, 0x10000, v24
	s_waitcnt vmcnt(1)
	v_cmp_eq_u32_sdwa vcc, v24, v26 src0_sel:WORD_0 src1_sel:DWORD
	v_cndmask_b32_e32 v24, v25, v24, vcc
	buffer_store_dword v24, off, s[0:3], s33 offset:456 ; 4-byte Folded Spill
.LBB12_4592:                            ;   in Loop: Header=BB12_4523 Depth=3
	s_or_b64 exec, exec, s[92:93]
	v_and_b32_e32 v24, 0xffff0000, v48
	v_mul_f32_e32 v24, v61, v24
	v_and_b32_e32 v25, 0x7f800000, v24
	v_cmp_ne_u32_e32 vcc, s97, v25
                                        ; implicit-def: $vgpr25
                                        ; kill: killed $vgpr25
	s_and_saveexec_b64 s[92:93], vcc
	s_xor_b64 s[92:93], exec, s[92:93]
	s_cbranch_execz .LBB12_4594
; %bb.4593:                             ;   in Loop: Header=BB12_4523 Depth=3
	v_bfe_u32 v25, v24, 16, 1
	v_add3_u32 v24, v24, v25, s46
	buffer_store_dword v24, off, s[0:3], s33 offset:448 ; 4-byte Folded Spill
                                        ; implicit-def: $vgpr24
.LBB12_4594:                            ;   in Loop: Header=BB12_4523 Depth=3
	s_andn2_saveexec_b64 s[92:93], s[92:93]
	s_cbranch_execz .LBB12_4596
; %bb.4595:                             ;   in Loop: Header=BB12_4523 Depth=3
	buffer_load_dword v26, off, s[0:3], s33 offset:128 ; 4-byte Folded Reload
	buffer_load_dword v27, off, s[0:3], s33 offset:132 ; 4-byte Folded Reload
	v_or_b32_e32 v25, 0x10000, v24
	s_waitcnt vmcnt(1)
	v_cmp_eq_u32_sdwa vcc, v24, v26 src0_sel:WORD_0 src1_sel:DWORD
	v_cndmask_b32_e32 v24, v25, v24, vcc
	buffer_store_dword v24, off, s[0:3], s33 offset:448 ; 4-byte Folded Spill
.LBB12_4596:                            ;   in Loop: Header=BB12_4523 Depth=3
	s_or_b64 exec, exec, s[92:93]
	v_lshlrev_b32_e32 v24, 16, v49
	v_mul_f32_e32 v24, v61, v24
	v_and_b32_e32 v25, 0x7f800000, v24
	v_cmp_ne_u32_e32 vcc, s97, v25
                                        ; implicit-def: $vgpr25
                                        ; kill: killed $vgpr25
	s_and_saveexec_b64 s[92:93], vcc
	s_xor_b64 s[92:93], exec, s[92:93]
	s_cbranch_execz .LBB12_4598
; %bb.4597:                             ;   in Loop: Header=BB12_4523 Depth=3
	v_bfe_u32 v25, v24, 16, 1
	v_add3_u32 v24, v24, v25, s46
	buffer_store_dword v24, off, s[0:3], s33 offset:452 ; 4-byte Folded Spill
                                        ; implicit-def: $vgpr24
.LBB12_4598:                            ;   in Loop: Header=BB12_4523 Depth=3
	s_andn2_saveexec_b64 s[92:93], s[92:93]
	s_cbranch_execz .LBB12_4600
; %bb.4599:                             ;   in Loop: Header=BB12_4523 Depth=3
	buffer_load_dword v26, off, s[0:3], s33 offset:128 ; 4-byte Folded Reload
	buffer_load_dword v27, off, s[0:3], s33 offset:132 ; 4-byte Folded Reload
	v_or_b32_e32 v25, 0x10000, v24
	s_waitcnt vmcnt(1)
	v_cmp_eq_u32_sdwa vcc, v24, v26 src0_sel:WORD_0 src1_sel:DWORD
	v_cndmask_b32_e32 v24, v25, v24, vcc
	buffer_store_dword v24, off, s[0:3], s33 offset:452 ; 4-byte Folded Spill
.LBB12_4600:                            ;   in Loop: Header=BB12_4523 Depth=3
	s_or_b64 exec, exec, s[92:93]
	v_and_b32_e32 v24, 0xffff0000, v49
	v_mul_f32_e32 v24, v61, v24
	v_and_b32_e32 v25, 0x7f800000, v24
	v_cmp_ne_u32_e32 vcc, s97, v25
                                        ; implicit-def: $vgpr25
                                        ; kill: killed $vgpr25
	s_and_saveexec_b64 s[92:93], vcc
	s_xor_b64 s[92:93], exec, s[92:93]
	s_cbranch_execz .LBB12_4602
; %bb.4601:                             ;   in Loop: Header=BB12_4523 Depth=3
	v_bfe_u32 v25, v24, 16, 1
	v_add3_u32 v24, v24, v25, s46
	buffer_store_dword v24, off, s[0:3], s33 offset:440 ; 4-byte Folded Spill
                                        ; implicit-def: $vgpr24
.LBB12_4602:                            ;   in Loop: Header=BB12_4523 Depth=3
	s_andn2_saveexec_b64 s[92:93], s[92:93]
	s_cbranch_execz .LBB12_4604
; %bb.4603:                             ;   in Loop: Header=BB12_4523 Depth=3
	buffer_load_dword v26, off, s[0:3], s33 offset:128 ; 4-byte Folded Reload
	buffer_load_dword v27, off, s[0:3], s33 offset:132 ; 4-byte Folded Reload
	v_or_b32_e32 v25, 0x10000, v24
	s_waitcnt vmcnt(1)
	v_cmp_eq_u32_sdwa vcc, v24, v26 src0_sel:WORD_0 src1_sel:DWORD
	v_cndmask_b32_e32 v24, v25, v24, vcc
	buffer_store_dword v24, off, s[0:3], s33 offset:440 ; 4-byte Folded Spill
.LBB12_4604:                            ;   in Loop: Header=BB12_4523 Depth=3
	;; [unrolled: 54-line block ×4, first 2 shown]
	s_or_b64 exec, exec, s[92:93]
	buffer_load_dword v24, off, s[0:3], s33 offset:168 ; 4-byte Folded Reload
	buffer_load_dword v25, off, s[0:3], s33 offset:172 ; 4-byte Folded Reload
	;; [unrolled: 1-line block ×4, first 2 shown]
	s_waitcnt vmcnt(3)
	v_lshlrev_b32_e32 v24, 16, v24
	v_mul_f32_e32 v24, v61, v24
	s_waitcnt vmcnt(2)
	v_and_b32_e32 v25, 0x7f800000, v24
	v_cmp_ne_u32_e32 vcc, s97, v25
                                        ; implicit-def: $vgpr25
                                        ; kill: killed $vgpr25
	s_and_saveexec_b64 s[92:93], vcc
	s_xor_b64 s[92:93], exec, s[92:93]
	s_cbranch_execz .LBB12_4622
; %bb.4621:                             ;   in Loop: Header=BB12_4523 Depth=3
	v_bfe_u32 v25, v24, 16, 1
	v_add3_u32 v24, v24, v25, s46
	buffer_store_dword v24, off, s[0:3], s33 offset:372 ; 4-byte Folded Spill
                                        ; implicit-def: $vgpr24
.LBB12_4622:                            ;   in Loop: Header=BB12_4523 Depth=3
	s_andn2_saveexec_b64 s[92:93], s[92:93]
	s_cbranch_execz .LBB12_4624
; %bb.4623:                             ;   in Loop: Header=BB12_4523 Depth=3
	buffer_load_dword v26, off, s[0:3], s33 offset:128 ; 4-byte Folded Reload
	buffer_load_dword v27, off, s[0:3], s33 offset:132 ; 4-byte Folded Reload
	v_or_b32_e32 v25, 0x10000, v24
	s_waitcnt vmcnt(1)
	v_cmp_eq_u32_sdwa vcc, v24, v26 src0_sel:WORD_0 src1_sel:DWORD
	v_cndmask_b32_e32 v24, v25, v24, vcc
	buffer_store_dword v24, off, s[0:3], s33 offset:372 ; 4-byte Folded Spill
.LBB12_4624:                            ;   in Loop: Header=BB12_4523 Depth=3
	s_or_b64 exec, exec, s[92:93]
	buffer_load_dword v24, off, s[0:3], s33 offset:168 ; 4-byte Folded Reload
	buffer_load_dword v25, off, s[0:3], s33 offset:172 ; 4-byte Folded Reload
	;; [unrolled: 1-line block ×4, first 2 shown]
	s_waitcnt vmcnt(3)
	v_and_b32_e32 v24, 0xffff0000, v24
	v_mul_f32_e32 v24, v61, v24
	s_waitcnt vmcnt(2)
	v_and_b32_e32 v25, 0x7f800000, v24
	v_cmp_ne_u32_e32 vcc, s97, v25
                                        ; implicit-def: $vgpr25
                                        ; kill: killed $vgpr25
	s_and_saveexec_b64 s[92:93], vcc
	s_xor_b64 s[92:93], exec, s[92:93]
	s_cbranch_execz .LBB12_4626
; %bb.4625:                             ;   in Loop: Header=BB12_4523 Depth=3
	v_bfe_u32 v25, v24, 16, 1
	v_add3_u32 v24, v24, v25, s46
	buffer_store_dword v24, off, s[0:3], s33 offset:356 ; 4-byte Folded Spill
                                        ; implicit-def: $vgpr24
.LBB12_4626:                            ;   in Loop: Header=BB12_4523 Depth=3
	s_andn2_saveexec_b64 s[92:93], s[92:93]
	s_cbranch_execz .LBB12_4628
; %bb.4627:                             ;   in Loop: Header=BB12_4523 Depth=3
	buffer_load_dword v26, off, s[0:3], s33 offset:128 ; 4-byte Folded Reload
	buffer_load_dword v27, off, s[0:3], s33 offset:132 ; 4-byte Folded Reload
	v_or_b32_e32 v25, 0x10000, v24
	s_waitcnt vmcnt(1)
	v_cmp_eq_u32_sdwa vcc, v24, v26 src0_sel:WORD_0 src1_sel:DWORD
	v_cndmask_b32_e32 v24, v25, v24, vcc
	buffer_store_dword v24, off, s[0:3], s33 offset:356 ; 4-byte Folded Spill
.LBB12_4628:                            ;   in Loop: Header=BB12_4523 Depth=3
	s_or_b64 exec, exec, s[92:93]
	buffer_load_dword v24, off, s[0:3], s33 offset:168 ; 4-byte Folded Reload
	buffer_load_dword v25, off, s[0:3], s33 offset:172 ; 4-byte Folded Reload
	buffer_load_dword v26, off, s[0:3], s33 offset:176 ; 4-byte Folded Reload
	buffer_load_dword v27, off, s[0:3], s33 offset:180 ; 4-byte Folded Reload
	s_waitcnt vmcnt(2)
	v_lshlrev_b32_e32 v24, 16, v25
	v_mul_f32_e32 v24, v61, v24
	v_and_b32_e32 v25, 0x7f800000, v24
	v_cmp_ne_u32_e32 vcc, s97, v25
                                        ; implicit-def: $vgpr25
                                        ; kill: killed $vgpr25
	s_and_saveexec_b64 s[92:93], vcc
	s_xor_b64 s[92:93], exec, s[92:93]
	s_cbranch_execz .LBB12_4630
; %bb.4629:                             ;   in Loop: Header=BB12_4523 Depth=3
	v_bfe_u32 v25, v24, 16, 1
	v_add3_u32 v24, v24, v25, s46
	buffer_store_dword v24, off, s[0:3], s33 offset:360 ; 4-byte Folded Spill
                                        ; implicit-def: $vgpr24
.LBB12_4630:                            ;   in Loop: Header=BB12_4523 Depth=3
	s_andn2_saveexec_b64 s[92:93], s[92:93]
	s_cbranch_execz .LBB12_4632
; %bb.4631:                             ;   in Loop: Header=BB12_4523 Depth=3
	buffer_load_dword v26, off, s[0:3], s33 offset:128 ; 4-byte Folded Reload
	buffer_load_dword v27, off, s[0:3], s33 offset:132 ; 4-byte Folded Reload
	v_or_b32_e32 v25, 0x10000, v24
	s_waitcnt vmcnt(1)
	v_cmp_eq_u32_sdwa vcc, v24, v26 src0_sel:WORD_0 src1_sel:DWORD
	v_cndmask_b32_e32 v24, v25, v24, vcc
	buffer_store_dword v24, off, s[0:3], s33 offset:360 ; 4-byte Folded Spill
.LBB12_4632:                            ;   in Loop: Header=BB12_4523 Depth=3
	s_or_b64 exec, exec, s[92:93]
	buffer_load_dword v24, off, s[0:3], s33 offset:168 ; 4-byte Folded Reload
	buffer_load_dword v25, off, s[0:3], s33 offset:172 ; 4-byte Folded Reload
	buffer_load_dword v26, off, s[0:3], s33 offset:176 ; 4-byte Folded Reload
	buffer_load_dword v27, off, s[0:3], s33 offset:180 ; 4-byte Folded Reload
	s_waitcnt vmcnt(2)
	v_and_b32_e32 v24, 0xffff0000, v25
	v_mul_f32_e32 v24, v61, v24
	v_and_b32_e32 v25, 0x7f800000, v24
	v_cmp_ne_u32_e32 vcc, s97, v25
                                        ; implicit-def: $vgpr25
                                        ; kill: killed $vgpr25
	s_and_saveexec_b64 s[92:93], vcc
	s_xor_b64 s[92:93], exec, s[92:93]
	s_cbranch_execz .LBB12_4634
; %bb.4633:                             ;   in Loop: Header=BB12_4523 Depth=3
	v_bfe_u32 v25, v24, 16, 1
	v_add3_u32 v24, v24, v25, s46
	buffer_store_dword v24, off, s[0:3], s33 offset:344 ; 4-byte Folded Spill
                                        ; implicit-def: $vgpr24
.LBB12_4634:                            ;   in Loop: Header=BB12_4523 Depth=3
	s_andn2_saveexec_b64 s[92:93], s[92:93]
	s_cbranch_execz .LBB12_4636
; %bb.4635:                             ;   in Loop: Header=BB12_4523 Depth=3
	buffer_load_dword v26, off, s[0:3], s33 offset:128 ; 4-byte Folded Reload
	buffer_load_dword v27, off, s[0:3], s33 offset:132 ; 4-byte Folded Reload
	v_or_b32_e32 v25, 0x10000, v24
	s_waitcnt vmcnt(1)
	v_cmp_eq_u32_sdwa vcc, v24, v26 src0_sel:WORD_0 src1_sel:DWORD
	v_cndmask_b32_e32 v24, v25, v24, vcc
	buffer_store_dword v24, off, s[0:3], s33 offset:344 ; 4-byte Folded Spill
.LBB12_4636:                            ;   in Loop: Header=BB12_4523 Depth=3
	s_or_b64 exec, exec, s[92:93]
	buffer_load_dword v24, off, s[0:3], s33 offset:168 ; 4-byte Folded Reload
	buffer_load_dword v25, off, s[0:3], s33 offset:172 ; 4-byte Folded Reload
	buffer_load_dword v26, off, s[0:3], s33 offset:176 ; 4-byte Folded Reload
	buffer_load_dword v27, off, s[0:3], s33 offset:180 ; 4-byte Folded Reload
	s_waitcnt vmcnt(1)
	v_lshlrev_b32_e32 v24, 16, v26
	v_mul_f32_e32 v24, v61, v24
	v_and_b32_e32 v25, 0x7f800000, v24
	v_cmp_ne_u32_e32 vcc, s97, v25
                                        ; implicit-def: $vgpr25
                                        ; kill: killed $vgpr25
	s_and_saveexec_b64 s[92:93], vcc
	s_xor_b64 s[92:93], exec, s[92:93]
	s_cbranch_execz .LBB12_4638
; %bb.4637:                             ;   in Loop: Header=BB12_4523 Depth=3
	v_bfe_u32 v25, v24, 16, 1
	v_add3_u32 v24, v24, v25, s46
	buffer_store_dword v24, off, s[0:3], s33 offset:352 ; 4-byte Folded Spill
                                        ; implicit-def: $vgpr24
.LBB12_4638:                            ;   in Loop: Header=BB12_4523 Depth=3
	s_andn2_saveexec_b64 s[92:93], s[92:93]
	s_cbranch_execz .LBB12_4640
; %bb.4639:                             ;   in Loop: Header=BB12_4523 Depth=3
	buffer_load_dword v26, off, s[0:3], s33 offset:128 ; 4-byte Folded Reload
	buffer_load_dword v27, off, s[0:3], s33 offset:132 ; 4-byte Folded Reload
	v_or_b32_e32 v25, 0x10000, v24
	s_waitcnt vmcnt(1)
	v_cmp_eq_u32_sdwa vcc, v24, v26 src0_sel:WORD_0 src1_sel:DWORD
	v_cndmask_b32_e32 v24, v25, v24, vcc
	buffer_store_dword v24, off, s[0:3], s33 offset:352 ; 4-byte Folded Spill
.LBB12_4640:                            ;   in Loop: Header=BB12_4523 Depth=3
	s_or_b64 exec, exec, s[92:93]
	buffer_load_dword v24, off, s[0:3], s33 offset:168 ; 4-byte Folded Reload
	buffer_load_dword v25, off, s[0:3], s33 offset:172 ; 4-byte Folded Reload
	buffer_load_dword v26, off, s[0:3], s33 offset:176 ; 4-byte Folded Reload
	buffer_load_dword v27, off, s[0:3], s33 offset:180 ; 4-byte Folded Reload
	s_waitcnt vmcnt(1)
	v_and_b32_e32 v24, 0xffff0000, v26
	v_mul_f32_e32 v24, v61, v24
	;; [unrolled: 64-line block ×3, first 2 shown]
	v_and_b32_e32 v25, 0x7f800000, v24
	v_cmp_ne_u32_e32 vcc, s97, v25
                                        ; implicit-def: $vgpr25
                                        ; kill: killed $vgpr25
	s_and_saveexec_b64 s[92:93], vcc
	s_xor_b64 s[92:93], exec, s[92:93]
	s_cbranch_execz .LBB12_4650
; %bb.4649:                             ;   in Loop: Header=BB12_4523 Depth=3
	v_bfe_u32 v25, v24, 16, 1
	v_add3_u32 v24, v24, v25, s46
	buffer_store_dword v24, off, s[0:3], s33 offset:300 ; 4-byte Folded Spill
                                        ; implicit-def: $vgpr24
.LBB12_4650:                            ;   in Loop: Header=BB12_4523 Depth=3
	s_andn2_saveexec_b64 s[92:93], s[92:93]
	s_cbranch_execz .LBB12_4652
; %bb.4651:                             ;   in Loop: Header=BB12_4523 Depth=3
	buffer_load_dword v26, off, s[0:3], s33 offset:128 ; 4-byte Folded Reload
	buffer_load_dword v27, off, s[0:3], s33 offset:132 ; 4-byte Folded Reload
	v_or_b32_e32 v25, 0x10000, v24
	s_waitcnt vmcnt(1)
	v_cmp_eq_u32_sdwa vcc, v24, v26 src0_sel:WORD_0 src1_sel:DWORD
	v_cndmask_b32_e32 v24, v25, v24, vcc
	buffer_store_dword v24, off, s[0:3], s33 offset:300 ; 4-byte Folded Spill
.LBB12_4652:                            ;   in Loop: Header=BB12_4523 Depth=3
	s_or_b64 exec, exec, s[92:93]
	buffer_load_dword v48, off, s[0:3], s33 offset:240 ; 4-byte Folded Reload
	buffer_load_dword v49, off, s[0:3], s33 offset:244 ; 4-byte Folded Reload
	;; [unrolled: 1-line block ×4, first 2 shown]
	v_and_b32_e32 v24, 0xffff0000, v60
	s_waitcnt vmcnt(3)
	v_lshlrev_b32_e32 v25, 16, v48
	v_add_f32_e32 v24, v25, v24
	v_and_b32_e32 v25, 0x7f800000, v24
	v_cmp_ne_u32_e32 vcc, s97, v25
                                        ; implicit-def: $vgpr25
                                        ; kill: killed $vgpr25
	s_and_saveexec_b64 s[92:93], vcc
	s_xor_b64 s[92:93], exec, s[92:93]
	s_cbranch_execz .LBB12_4654
; %bb.4653:                             ;   in Loop: Header=BB12_4523 Depth=3
	v_bfe_u32 v25, v24, 16, 1
	v_add3_u32 v24, v24, v25, s46
	buffer_store_dword v24, off, s[0:3], s33 offset:168 ; 4-byte Folded Spill
                                        ; implicit-def: $vgpr24
.LBB12_4654:                            ;   in Loop: Header=BB12_4523 Depth=3
	s_andn2_saveexec_b64 s[92:93], s[92:93]
	s_cbranch_execz .LBB12_4656
; %bb.4655:                             ;   in Loop: Header=BB12_4523 Depth=3
	buffer_load_dword v26, off, s[0:3], s33 offset:128 ; 4-byte Folded Reload
	buffer_load_dword v27, off, s[0:3], s33 offset:132 ; 4-byte Folded Reload
	v_or_b32_e32 v25, 0x10000, v24
	s_waitcnt vmcnt(1)
	v_cmp_eq_u32_sdwa vcc, v24, v26 src0_sel:WORD_0 src1_sel:DWORD
	v_cndmask_b32_e32 v24, v25, v24, vcc
	buffer_store_dword v24, off, s[0:3], s33 offset:168 ; 4-byte Folded Spill
.LBB12_4656:                            ;   in Loop: Header=BB12_4523 Depth=3
	s_or_b64 exec, exec, s[92:93]
	buffer_load_dword v24, off, s[0:3], s33 offset:240 ; 4-byte Folded Reload
	buffer_load_dword v25, off, s[0:3], s33 offset:244 ; 4-byte Folded Reload
	;; [unrolled: 1-line block ×4, first 2 shown]
	v_and_b32_e32 v23, 0xffff0000, v23
	s_waitcnt vmcnt(3)
	v_and_b32_e32 v24, 0xffff0000, v24
	v_add_f32_e32 v23, v24, v23
	v_and_b32_e32 v24, 0x7f800000, v23
	v_cmp_ne_u32_e32 vcc, s97, v24
                                        ; implicit-def: $vgpr24
                                        ; kill: killed $vgpr24
	s_and_saveexec_b64 s[92:93], vcc
	s_xor_b64 s[92:93], exec, s[92:93]
	s_cbranch_execz .LBB12_4658
; %bb.4657:                             ;   in Loop: Header=BB12_4523 Depth=3
	v_bfe_u32 v24, v23, 16, 1
	v_add3_u32 v23, v23, v24, s46
	buffer_store_dword v23, off, s[0:3], s33 offset:364 ; 4-byte Folded Spill
                                        ; implicit-def: $vgpr23
.LBB12_4658:                            ;   in Loop: Header=BB12_4523 Depth=3
	s_andn2_saveexec_b64 s[92:93], s[92:93]
	s_cbranch_execz .LBB12_4660
; %bb.4659:                             ;   in Loop: Header=BB12_4523 Depth=3
	buffer_load_dword v25, off, s[0:3], s33 offset:128 ; 4-byte Folded Reload
	buffer_load_dword v26, off, s[0:3], s33 offset:132 ; 4-byte Folded Reload
	v_or_b32_e32 v24, 0x10000, v23
	s_waitcnt vmcnt(1)
	v_cmp_eq_u32_sdwa vcc, v23, v25 src0_sel:WORD_0 src1_sel:DWORD
	v_cndmask_b32_e32 v23, v24, v23, vcc
	buffer_store_dword v23, off, s[0:3], s33 offset:364 ; 4-byte Folded Spill
.LBB12_4660:                            ;   in Loop: Header=BB12_4523 Depth=3
	s_or_b64 exec, exec, s[92:93]
	buffer_load_dword v24, off, s[0:3], s33 offset:240 ; 4-byte Folded Reload
	buffer_load_dword v25, off, s[0:3], s33 offset:244 ; 4-byte Folded Reload
	;; [unrolled: 1-line block ×4, first 2 shown]
	v_and_b32_e32 v23, 0xffff0000, v28
	s_waitcnt vmcnt(2)
	v_lshlrev_b32_e32 v24, 16, v25
	v_add_f32_e32 v23, v24, v23
	v_and_b32_e32 v24, 0x7f800000, v23
	v_cmp_ne_u32_e32 vcc, s97, v24
                                        ; implicit-def: $vgpr24
                                        ; kill: killed $vgpr24
	s_and_saveexec_b64 s[92:93], vcc
	s_xor_b64 s[92:93], exec, s[92:93]
	s_cbranch_execz .LBB12_4662
; %bb.4661:                             ;   in Loop: Header=BB12_4523 Depth=3
	v_bfe_u32 v24, v23, 16, 1
	v_add3_u32 v23, v23, v24, s46
	buffer_store_dword v23, off, s[0:3], s33 offset:464 ; 4-byte Folded Spill
                                        ; implicit-def: $vgpr23
.LBB12_4662:                            ;   in Loop: Header=BB12_4523 Depth=3
	s_andn2_saveexec_b64 s[92:93], s[92:93]
	s_cbranch_execz .LBB12_4664
; %bb.4663:                             ;   in Loop: Header=BB12_4523 Depth=3
	buffer_load_dword v25, off, s[0:3], s33 offset:128 ; 4-byte Folded Reload
	buffer_load_dword v26, off, s[0:3], s33 offset:132 ; 4-byte Folded Reload
	v_or_b32_e32 v24, 0x10000, v23
	s_waitcnt vmcnt(1)
	v_cmp_eq_u32_sdwa vcc, v23, v25 src0_sel:WORD_0 src1_sel:DWORD
	v_cndmask_b32_e32 v23, v24, v23, vcc
	buffer_store_dword v23, off, s[0:3], s33 offset:464 ; 4-byte Folded Spill
.LBB12_4664:                            ;   in Loop: Header=BB12_4523 Depth=3
	s_or_b64 exec, exec, s[92:93]
	buffer_load_dword v23, off, s[0:3], s33 offset:240 ; 4-byte Folded Reload
	buffer_load_dword v24, off, s[0:3], s33 offset:244 ; 4-byte Folded Reload
	;; [unrolled: 1-line block ×4, first 2 shown]
	v_and_b32_e32 v21, 0xffff0000, v21
	s_waitcnt vmcnt(2)
	v_and_b32_e32 v23, 0xffff0000, v24
	v_add_f32_e32 v21, v23, v21
	v_and_b32_e32 v23, 0x7f800000, v21
	v_cmp_ne_u32_e32 vcc, s97, v23
                                        ; implicit-def: $vgpr23
                                        ; kill: killed $vgpr23
	s_and_saveexec_b64 s[92:93], vcc
	s_xor_b64 s[92:93], exec, s[92:93]
	s_cbranch_execz .LBB12_4666
; %bb.4665:                             ;   in Loop: Header=BB12_4523 Depth=3
	v_bfe_u32 v23, v21, 16, 1
	v_add3_u32 v21, v21, v23, s46
	buffer_store_dword v21, off, s[0:3], s33 offset:468 ; 4-byte Folded Spill
                                        ; implicit-def: $vgpr21
.LBB12_4666:                            ;   in Loop: Header=BB12_4523 Depth=3
	s_andn2_saveexec_b64 s[92:93], s[92:93]
	s_cbranch_execz .LBB12_4668
; %bb.4667:                             ;   in Loop: Header=BB12_4523 Depth=3
	buffer_load_dword v24, off, s[0:3], s33 offset:128 ; 4-byte Folded Reload
	buffer_load_dword v25, off, s[0:3], s33 offset:132 ; 4-byte Folded Reload
	v_or_b32_e32 v23, 0x10000, v21
	s_waitcnt vmcnt(1)
	v_cmp_eq_u32_sdwa vcc, v21, v24 src0_sel:WORD_0 src1_sel:DWORD
	v_cndmask_b32_e32 v21, v23, v21, vcc
	buffer_store_dword v21, off, s[0:3], s33 offset:468 ; 4-byte Folded Spill
.LBB12_4668:                            ;   in Loop: Header=BB12_4523 Depth=3
	s_or_b64 exec, exec, s[92:93]
	v_and_b32_e32 v21, 0xffff0000, v22
	buffer_load_dword v22, off, s[0:3], s33 offset:240 ; 4-byte Folded Reload
	buffer_load_dword v23, off, s[0:3], s33 offset:244 ; 4-byte Folded Reload
	;; [unrolled: 1-line block ×4, first 2 shown]
	s_waitcnt vmcnt(1)
	v_lshlrev_b32_e32 v22, 16, v24
	v_add_f32_e32 v21, v22, v21
	v_and_b32_e32 v22, 0x7f800000, v21
	v_cmp_ne_u32_e32 vcc, s97, v22
                                        ; implicit-def: $vgpr22
                                        ; kill: killed $vgpr22
	s_and_saveexec_b64 s[92:93], vcc
	s_xor_b64 s[92:93], exec, s[92:93]
	s_cbranch_execz .LBB12_4670
; %bb.4669:                             ;   in Loop: Header=BB12_4523 Depth=3
	v_bfe_u32 v22, v21, 16, 1
	v_add3_u32 v21, v21, v22, s46
	buffer_store_dword v21, off, s[0:3], s33 offset:472 ; 4-byte Folded Spill
                                        ; implicit-def: $vgpr21
.LBB12_4670:                            ;   in Loop: Header=BB12_4523 Depth=3
	s_andn2_saveexec_b64 s[92:93], s[92:93]
	s_cbranch_execz .LBB12_4672
; %bb.4671:                             ;   in Loop: Header=BB12_4523 Depth=3
	buffer_load_dword v23, off, s[0:3], s33 offset:128 ; 4-byte Folded Reload
	buffer_load_dword v24, off, s[0:3], s33 offset:132 ; 4-byte Folded Reload
	v_or_b32_e32 v22, 0x10000, v21
	s_waitcnt vmcnt(1)
	v_cmp_eq_u32_sdwa vcc, v21, v23 src0_sel:WORD_0 src1_sel:DWORD
	v_cndmask_b32_e32 v21, v22, v21, vcc
	buffer_store_dword v21, off, s[0:3], s33 offset:472 ; 4-byte Folded Spill
.LBB12_4672:                            ;   in Loop: Header=BB12_4523 Depth=3
	s_or_b64 exec, exec, s[92:93]
	buffer_load_dword v21, off, s[0:3], s33 offset:240 ; 4-byte Folded Reload
	buffer_load_dword v22, off, s[0:3], s33 offset:244 ; 4-byte Folded Reload
	;; [unrolled: 1-line block ×4, first 2 shown]
	v_and_b32_e32 v19, 0xffff0000, v19
	s_waitcnt vmcnt(1)
	v_and_b32_e32 v21, 0xffff0000, v23
	v_add_f32_e32 v19, v21, v19
	v_and_b32_e32 v21, 0x7f800000, v19
	v_cmp_ne_u32_e32 vcc, s97, v21
                                        ; implicit-def: $vgpr21
                                        ; kill: killed $vgpr21
	s_and_saveexec_b64 s[92:93], vcc
	s_xor_b64 s[92:93], exec, s[92:93]
	s_cbranch_execz .LBB12_4674
; %bb.4673:                             ;   in Loop: Header=BB12_4523 Depth=3
	v_bfe_u32 v21, v19, 16, 1
	v_add3_u32 v19, v19, v21, s46
	buffer_store_dword v19, off, s[0:3], s33 offset:476 ; 4-byte Folded Spill
                                        ; implicit-def: $vgpr19
.LBB12_4674:                            ;   in Loop: Header=BB12_4523 Depth=3
	s_andn2_saveexec_b64 s[92:93], s[92:93]
	s_cbranch_execz .LBB12_4676
; %bb.4675:                             ;   in Loop: Header=BB12_4523 Depth=3
	buffer_load_dword v22, off, s[0:3], s33 offset:128 ; 4-byte Folded Reload
	buffer_load_dword v23, off, s[0:3], s33 offset:132 ; 4-byte Folded Reload
	v_or_b32_e32 v21, 0x10000, v19
	s_waitcnt vmcnt(1)
	v_cmp_eq_u32_sdwa vcc, v19, v22 src0_sel:WORD_0 src1_sel:DWORD
	v_cndmask_b32_e32 v19, v21, v19, vcc
	buffer_store_dword v19, off, s[0:3], s33 offset:476 ; 4-byte Folded Spill
.LBB12_4676:                            ;   in Loop: Header=BB12_4523 Depth=3
	s_or_b64 exec, exec, s[92:93]
	v_and_b32_e32 v19, 0xffff0000, v20
	buffer_load_dword v20, off, s[0:3], s33 offset:240 ; 4-byte Folded Reload
	buffer_load_dword v21, off, s[0:3], s33 offset:244 ; 4-byte Folded Reload
	;; [unrolled: 1-line block ×4, first 2 shown]
	s_waitcnt vmcnt(0)
	v_lshlrev_b32_e32 v20, 16, v23
	v_add_f32_e32 v19, v20, v19
	v_and_b32_e32 v20, 0x7f800000, v19
	v_cmp_ne_u32_e32 vcc, s97, v20
                                        ; implicit-def: $vgpr20
                                        ; kill: killed $vgpr20
	s_and_saveexec_b64 s[92:93], vcc
	s_xor_b64 s[92:93], exec, s[92:93]
	s_cbranch_execz .LBB12_4678
; %bb.4677:                             ;   in Loop: Header=BB12_4523 Depth=3
	v_bfe_u32 v20, v19, 16, 1
	v_add3_u32 v19, v19, v20, s46
	buffer_store_dword v19, off, s[0:3], s33 offset:480 ; 4-byte Folded Spill
                                        ; implicit-def: $vgpr19
.LBB12_4678:                            ;   in Loop: Header=BB12_4523 Depth=3
	s_andn2_saveexec_b64 s[92:93], s[92:93]
	s_cbranch_execz .LBB12_4680
; %bb.4679:                             ;   in Loop: Header=BB12_4523 Depth=3
	buffer_load_dword v21, off, s[0:3], s33 offset:128 ; 4-byte Folded Reload
	buffer_load_dword v22, off, s[0:3], s33 offset:132 ; 4-byte Folded Reload
	v_or_b32_e32 v20, 0x10000, v19
	s_waitcnt vmcnt(1)
	v_cmp_eq_u32_sdwa vcc, v19, v21 src0_sel:WORD_0 src1_sel:DWORD
	v_cndmask_b32_e32 v19, v20, v19, vcc
	buffer_store_dword v19, off, s[0:3], s33 offset:480 ; 4-byte Folded Spill
.LBB12_4680:                            ;   in Loop: Header=BB12_4523 Depth=3
	s_or_b64 exec, exec, s[92:93]
	buffer_load_dword v19, off, s[0:3], s33 offset:240 ; 4-byte Folded Reload
	buffer_load_dword v20, off, s[0:3], s33 offset:244 ; 4-byte Folded Reload
	;; [unrolled: 1-line block ×4, first 2 shown]
	s_waitcnt vmcnt(2)
	v_and_b32_e32 v20, 0xffff0000, v31
	s_waitcnt vmcnt(0)
	v_and_b32_e32 v19, 0xffff0000, v22
	v_add_f32_e32 v19, v19, v20
	v_and_b32_e32 v20, 0x7f800000, v19
	v_cmp_ne_u32_e32 vcc, s97, v20
                                        ; implicit-def: $vgpr20
                                        ; kill: killed $vgpr20
	s_and_saveexec_b64 s[92:93], vcc
	s_xor_b64 s[92:93], exec, s[92:93]
	s_cbranch_execz .LBB12_4682
; %bb.4681:                             ;   in Loop: Header=BB12_4523 Depth=3
	v_bfe_u32 v20, v19, 16, 1
	v_add3_u32 v19, v19, v20, s46
	buffer_store_dword v19, off, s[0:3], s33 offset:488 ; 4-byte Folded Spill
                                        ; implicit-def: $vgpr19
.LBB12_4682:                            ;   in Loop: Header=BB12_4523 Depth=3
	s_andn2_saveexec_b64 s[92:93], s[92:93]
	s_cbranch_execz .LBB12_4684
; %bb.4683:                             ;   in Loop: Header=BB12_4523 Depth=3
	buffer_load_dword v21, off, s[0:3], s33 offset:128 ; 4-byte Folded Reload
	buffer_load_dword v22, off, s[0:3], s33 offset:132 ; 4-byte Folded Reload
	v_or_b32_e32 v20, 0x10000, v19
	s_waitcnt vmcnt(1)
	v_cmp_eq_u32_sdwa vcc, v19, v21 src0_sel:WORD_0 src1_sel:DWORD
	v_cndmask_b32_e32 v19, v20, v19, vcc
	buffer_store_dword v19, off, s[0:3], s33 offset:488 ; 4-byte Folded Spill
.LBB12_4684:                            ;   in Loop: Header=BB12_4523 Depth=3
	s_or_b64 exec, exec, s[92:93]
	buffer_load_dword v19, off, s[0:3], s33 offset:216 ; 4-byte Folded Reload
	buffer_load_dword v20, off, s[0:3], s33 offset:220 ; 4-byte Folded Reload
	;; [unrolled: 1-line block ×4, first 2 shown]
	v_and_b32_e32 v18, 0xffff0000, v18
	s_waitcnt vmcnt(3)
	v_lshlrev_b32_e32 v19, 16, v19
	v_add_f32_e32 v18, v19, v18
	v_and_b32_e32 v19, 0x7f800000, v18
	v_cmp_ne_u32_e32 vcc, s97, v19
                                        ; implicit-def: $vgpr19
                                        ; kill: killed $vgpr19
	s_and_saveexec_b64 s[92:93], vcc
	s_xor_b64 s[92:93], exec, s[92:93]
	s_cbranch_execz .LBB12_4686
; %bb.4685:                             ;   in Loop: Header=BB12_4523 Depth=3
	v_bfe_u32 v19, v18, 16, 1
	v_add3_u32 v18, v18, v19, s46
	buffer_store_dword v18, off, s[0:3], s33 offset:492 ; 4-byte Folded Spill
                                        ; implicit-def: $vgpr18
.LBB12_4686:                            ;   in Loop: Header=BB12_4523 Depth=3
	s_andn2_saveexec_b64 s[92:93], s[92:93]
	s_cbranch_execz .LBB12_4688
; %bb.4687:                             ;   in Loop: Header=BB12_4523 Depth=3
	buffer_load_dword v20, off, s[0:3], s33 offset:128 ; 4-byte Folded Reload
	buffer_load_dword v21, off, s[0:3], s33 offset:132 ; 4-byte Folded Reload
	v_or_b32_e32 v19, 0x10000, v18
	s_waitcnt vmcnt(1)
	v_cmp_eq_u32_sdwa vcc, v18, v20 src0_sel:WORD_0 src1_sel:DWORD
	v_cndmask_b32_e32 v18, v19, v18, vcc
	buffer_store_dword v18, off, s[0:3], s33 offset:492 ; 4-byte Folded Spill
.LBB12_4688:                            ;   in Loop: Header=BB12_4523 Depth=3
	s_or_b64 exec, exec, s[92:93]
	buffer_load_dword v18, off, s[0:3], s33 offset:216 ; 4-byte Folded Reload
	buffer_load_dword v19, off, s[0:3], s33 offset:220 ; 4-byte Folded Reload
	;; [unrolled: 1-line block ×4, first 2 shown]
	s_waitcnt vmcnt(2)
	v_and_b32_e32 v19, 0xffff0000, v29
	v_and_b32_e32 v18, 0xffff0000, v18
	v_add_f32_e32 v18, v18, v19
	v_and_b32_e32 v19, 0x7f800000, v18
	v_cmp_ne_u32_e32 vcc, s97, v19
                                        ; implicit-def: $vgpr19
                                        ; kill: killed $vgpr19
	s_and_saveexec_b64 s[92:93], vcc
	s_xor_b64 s[92:93], exec, s[92:93]
	s_cbranch_execz .LBB12_4690
; %bb.4689:                             ;   in Loop: Header=BB12_4523 Depth=3
	v_bfe_u32 v19, v18, 16, 1
	v_add3_u32 v18, v18, v19, s46
	buffer_store_dword v18, off, s[0:3], s33 offset:508 ; 4-byte Folded Spill
                                        ; implicit-def: $vgpr18
.LBB12_4690:                            ;   in Loop: Header=BB12_4523 Depth=3
	s_andn2_saveexec_b64 s[92:93], s[92:93]
	s_cbranch_execz .LBB12_4692
; %bb.4691:                             ;   in Loop: Header=BB12_4523 Depth=3
	buffer_load_dword v20, off, s[0:3], s33 offset:128 ; 4-byte Folded Reload
	buffer_load_dword v21, off, s[0:3], s33 offset:132 ; 4-byte Folded Reload
	v_or_b32_e32 v19, 0x10000, v18
	s_waitcnt vmcnt(1)
	v_cmp_eq_u32_sdwa vcc, v18, v20 src0_sel:WORD_0 src1_sel:DWORD
	v_cndmask_b32_e32 v18, v19, v18, vcc
	buffer_store_dword v18, off, s[0:3], s33 offset:508 ; 4-byte Folded Spill
.LBB12_4692:                            ;   in Loop: Header=BB12_4523 Depth=3
	s_or_b64 exec, exec, s[92:93]
	buffer_load_dword v19, off, s[0:3], s33 offset:216 ; 4-byte Folded Reload
	buffer_load_dword v20, off, s[0:3], s33 offset:220 ; 4-byte Folded Reload
	;; [unrolled: 1-line block ×4, first 2 shown]
	v_and_b32_e32 v18, 0xffff0000, v30
	s_waitcnt vmcnt(2)
	v_lshlrev_b32_e32 v19, 16, v20
	v_add_f32_e32 v18, v19, v18
	v_and_b32_e32 v19, 0x7f800000, v18
	v_cmp_ne_u32_e32 vcc, s97, v19
                                        ; implicit-def: $vgpr19
                                        ; kill: killed $vgpr19
	s_and_saveexec_b64 s[92:93], vcc
	s_xor_b64 s[92:93], exec, s[92:93]
	s_cbranch_execz .LBB12_4694
; %bb.4693:                             ;   in Loop: Header=BB12_4523 Depth=3
	v_bfe_u32 v19, v18, 16, 1
	v_add3_u32 v18, v18, v19, s46
	buffer_store_dword v18, off, s[0:3], s33 offset:516 ; 4-byte Folded Spill
                                        ; implicit-def: $vgpr18
.LBB12_4694:                            ;   in Loop: Header=BB12_4523 Depth=3
	s_andn2_saveexec_b64 s[92:93], s[92:93]
	s_cbranch_execz .LBB12_4696
; %bb.4695:                             ;   in Loop: Header=BB12_4523 Depth=3
	buffer_load_dword v20, off, s[0:3], s33 offset:128 ; 4-byte Folded Reload
	buffer_load_dword v21, off, s[0:3], s33 offset:132 ; 4-byte Folded Reload
	v_or_b32_e32 v19, 0x10000, v18
	s_waitcnt vmcnt(1)
	v_cmp_eq_u32_sdwa vcc, v18, v20 src0_sel:WORD_0 src1_sel:DWORD
	v_cndmask_b32_e32 v18, v19, v18, vcc
	buffer_store_dword v18, off, s[0:3], s33 offset:516 ; 4-byte Folded Spill
.LBB12_4696:                            ;   in Loop: Header=BB12_4523 Depth=3
	s_or_b64 exec, exec, s[92:93]
	buffer_load_dword v18, off, s[0:3], s33 offset:216 ; 4-byte Folded Reload
	buffer_load_dword v19, off, s[0:3], s33 offset:220 ; 4-byte Folded Reload
	;; [unrolled: 1-line block ×4, first 2 shown]
	s_waitcnt vmcnt(2)
	v_and_b32_e32 v18, 0xffff0000, v19
	v_and_b32_e32 v19, 0xffff0000, v45
	v_add_f32_e32 v18, v18, v19
	v_and_b32_e32 v19, 0x7f800000, v18
	v_cmp_ne_u32_e32 vcc, s97, v19
                                        ; implicit-def: $vgpr19
                                        ; kill: killed $vgpr19
	s_and_saveexec_b64 s[92:93], vcc
	s_xor_b64 s[92:93], exec, s[92:93]
	s_cbranch_execz .LBB12_4698
; %bb.4697:                             ;   in Loop: Header=BB12_4523 Depth=3
	v_bfe_u32 v19, v18, 16, 1
	v_add3_u32 v18, v18, v19, s46
	buffer_store_dword v18, off, s[0:3], s33 offset:556 ; 4-byte Folded Spill
                                        ; implicit-def: $vgpr18
.LBB12_4698:                            ;   in Loop: Header=BB12_4523 Depth=3
	s_andn2_saveexec_b64 s[92:93], s[92:93]
	s_cbranch_execz .LBB12_4700
; %bb.4699:                             ;   in Loop: Header=BB12_4523 Depth=3
	buffer_load_dword v20, off, s[0:3], s33 offset:128 ; 4-byte Folded Reload
	buffer_load_dword v21, off, s[0:3], s33 offset:132 ; 4-byte Folded Reload
	v_or_b32_e32 v19, 0x10000, v18
	s_waitcnt vmcnt(1)
	v_cmp_eq_u32_sdwa vcc, v18, v20 src0_sel:WORD_0 src1_sel:DWORD
	v_cndmask_b32_e32 v18, v19, v18, vcc
	buffer_store_dword v18, off, s[0:3], s33 offset:556 ; 4-byte Folded Spill
.LBB12_4700:                            ;   in Loop: Header=BB12_4523 Depth=3
	s_or_b64 exec, exec, s[92:93]
	buffer_load_dword v19, off, s[0:3], s33 offset:216 ; 4-byte Folded Reload
	buffer_load_dword v20, off, s[0:3], s33 offset:220 ; 4-byte Folded Reload
	;; [unrolled: 1-line block ×4, first 2 shown]
	v_and_b32_e32 v18, 0xffff0000, v44
	s_waitcnt vmcnt(1)
	v_lshlrev_b32_e32 v19, 16, v21
	v_add_f32_e32 v18, v19, v18
	v_and_b32_e32 v19, 0x7f800000, v18
	v_cmp_ne_u32_e32 vcc, s97, v19
                                        ; implicit-def: $vgpr19
                                        ; kill: killed $vgpr19
	s_and_saveexec_b64 s[92:93], vcc
	s_xor_b64 s[92:93], exec, s[92:93]
	s_cbranch_execz .LBB12_4702
; %bb.4701:                             ;   in Loop: Header=BB12_4523 Depth=3
	v_bfe_u32 v19, v18, 16, 1
	v_add3_u32 v18, v18, v19, s46
	buffer_store_dword v18, off, s[0:3], s33 offset:604 ; 4-byte Folded Spill
                                        ; implicit-def: $vgpr18
.LBB12_4702:                            ;   in Loop: Header=BB12_4523 Depth=3
	s_andn2_saveexec_b64 s[92:93], s[92:93]
	s_cbranch_execz .LBB12_4704
; %bb.4703:                             ;   in Loop: Header=BB12_4523 Depth=3
	buffer_load_dword v20, off, s[0:3], s33 offset:128 ; 4-byte Folded Reload
	buffer_load_dword v21, off, s[0:3], s33 offset:132 ; 4-byte Folded Reload
	v_or_b32_e32 v19, 0x10000, v18
	s_waitcnt vmcnt(1)
	v_cmp_eq_u32_sdwa vcc, v18, v20 src0_sel:WORD_0 src1_sel:DWORD
	v_cndmask_b32_e32 v18, v19, v18, vcc
	buffer_store_dword v18, off, s[0:3], s33 offset:604 ; 4-byte Folded Spill
.LBB12_4704:                            ;   in Loop: Header=BB12_4523 Depth=3
	s_or_b64 exec, exec, s[92:93]
	buffer_load_dword v18, off, s[0:3], s33 offset:216 ; 4-byte Folded Reload
	buffer_load_dword v19, off, s[0:3], s33 offset:220 ; 4-byte Folded Reload
	;; [unrolled: 1-line block ×4, first 2 shown]
	s_waitcnt vmcnt(2)
	v_and_b32_e32 v19, 0xffff0000, v46
                                        ; implicit-def: $vgpr46
	s_waitcnt vmcnt(1)
	v_and_b32_e32 v18, 0xffff0000, v20
	v_add_f32_e32 v18, v18, v19
	v_and_b32_e32 v19, 0x7f800000, v18
	v_cmp_ne_u32_e32 vcc, s97, v19
	s_and_saveexec_b64 s[92:93], vcc
	s_xor_b64 s[92:93], exec, s[92:93]
; %bb.4705:                             ;   in Loop: Header=BB12_4523 Depth=3
	v_bfe_u32 v19, v18, 16, 1
	v_add3_u32 v46, v18, v19, s46
                                        ; implicit-def: $vgpr18
; %bb.4706:                             ;   in Loop: Header=BB12_4523 Depth=3
	s_andn2_saveexec_b64 s[92:93], s[92:93]
	s_cbranch_execz .LBB12_4708
; %bb.4707:                             ;   in Loop: Header=BB12_4523 Depth=3
	buffer_load_dword v20, off, s[0:3], s33 offset:128 ; 4-byte Folded Reload
	buffer_load_dword v21, off, s[0:3], s33 offset:132 ; 4-byte Folded Reload
	v_or_b32_e32 v19, 0x10000, v18
	s_waitcnt vmcnt(1)
	v_cmp_eq_u32_sdwa vcc, v18, v20 src0_sel:WORD_0 src1_sel:DWORD
	v_cndmask_b32_e32 v46, v19, v18, vcc
.LBB12_4708:                            ;   in Loop: Header=BB12_4523 Depth=3
	s_or_b64 exec, exec, s[92:93]
	buffer_load_dword v18, off, s[0:3], s33 offset:460 ; 4-byte Folded Reload
	buffer_load_dword v19, off, s[0:3], s33 offset:216 ; 4-byte Folded Reload
	;; [unrolled: 1-line block ×5, first 2 shown]
	s_waitcnt vmcnt(4)
	v_and_b32_e32 v18, 0xffff0000, v18
	s_waitcnt vmcnt(0)
	v_lshlrev_b32_e32 v19, 16, v22
	v_add_f32_e32 v18, v19, v18
	v_and_b32_e32 v19, 0x7f800000, v18
	v_cmp_ne_u32_e32 vcc, s97, v19
                                        ; implicit-def: $vgpr19
                                        ; kill: killed $vgpr19
	s_and_saveexec_b64 s[92:93], vcc
	s_xor_b64 s[92:93], exec, s[92:93]
	s_cbranch_execz .LBB12_4710
; %bb.4709:                             ;   in Loop: Header=BB12_4523 Depth=3
	v_bfe_u32 v19, v18, 16, 1
	v_add3_u32 v18, v18, v19, s46
	buffer_store_dword v18, off, s[0:3], s33 offset:460 ; 4-byte Folded Spill
                                        ; implicit-def: $vgpr18
.LBB12_4710:                            ;   in Loop: Header=BB12_4523 Depth=3
	s_andn2_saveexec_b64 s[92:93], s[92:93]
	s_cbranch_execz .LBB12_4712
; %bb.4711:                             ;   in Loop: Header=BB12_4523 Depth=3
	buffer_load_dword v20, off, s[0:3], s33 offset:128 ; 4-byte Folded Reload
	buffer_load_dword v21, off, s[0:3], s33 offset:132 ; 4-byte Folded Reload
	v_or_b32_e32 v19, 0x10000, v18
	s_waitcnt vmcnt(1)
	v_cmp_eq_u32_sdwa vcc, v18, v20 src0_sel:WORD_0 src1_sel:DWORD
	v_cndmask_b32_e32 v18, v19, v18, vcc
	buffer_store_dword v18, off, s[0:3], s33 offset:460 ; 4-byte Folded Spill
.LBB12_4712:                            ;   in Loop: Header=BB12_4523 Depth=3
	s_or_b64 exec, exec, s[92:93]
	buffer_load_dword v18, off, s[0:3], s33 offset:216 ; 4-byte Folded Reload
	buffer_load_dword v19, off, s[0:3], s33 offset:220 ; 4-byte Folded Reload
	;; [unrolled: 1-line block ×4, first 2 shown]
	s_waitcnt vmcnt(2)
	v_and_b32_e32 v19, 0xffff0000, v47
                                        ; implicit-def: $vgpr47
	s_waitcnt vmcnt(0)
	v_and_b32_e32 v18, 0xffff0000, v21
	v_add_f32_e32 v18, v18, v19
	v_and_b32_e32 v19, 0x7f800000, v18
	v_cmp_ne_u32_e32 vcc, s97, v19
	s_and_saveexec_b64 s[92:93], vcc
	s_xor_b64 s[92:93], exec, s[92:93]
; %bb.4713:                             ;   in Loop: Header=BB12_4523 Depth=3
	v_bfe_u32 v19, v18, 16, 1
	v_add3_u32 v47, v18, v19, s46
                                        ; implicit-def: $vgpr18
; %bb.4714:                             ;   in Loop: Header=BB12_4523 Depth=3
	s_andn2_saveexec_b64 s[92:93], s[92:93]
	s_cbranch_execz .LBB12_4716
; %bb.4715:                             ;   in Loop: Header=BB12_4523 Depth=3
	buffer_load_dword v20, off, s[0:3], s33 offset:128 ; 4-byte Folded Reload
	buffer_load_dword v21, off, s[0:3], s33 offset:132 ; 4-byte Folded Reload
	v_or_b32_e32 v19, 0x10000, v18
	s_waitcnt vmcnt(1)
	v_cmp_eq_u32_sdwa vcc, v18, v20 src0_sel:WORD_0 src1_sel:DWORD
	v_cndmask_b32_e32 v47, v19, v18, vcc
.LBB12_4716:                            ;   in Loop: Header=BB12_4523 Depth=3
	s_or_b64 exec, exec, s[92:93]
	buffer_load_dword v18, off, s[0:3], s33 offset:456 ; 4-byte Folded Reload
	buffer_load_dword v19, off, s[0:3], s33 offset:200 ; 4-byte Folded Reload
	;; [unrolled: 1-line block ×5, first 2 shown]
                                        ; implicit-def: $vgpr44
	s_waitcnt vmcnt(3)
	v_lshlrev_b32_e32 v19, 16, v19
	v_and_b32_e32 v18, 0xffff0000, v18
	v_add_f32_e32 v18, v19, v18
	v_and_b32_e32 v19, 0x7f800000, v18
	v_cmp_ne_u32_e32 vcc, s97, v19
	s_and_saveexec_b64 s[92:93], vcc
	s_xor_b64 s[92:93], exec, s[92:93]
; %bb.4717:                             ;   in Loop: Header=BB12_4523 Depth=3
	v_bfe_u32 v19, v18, 16, 1
	v_add3_u32 v44, v18, v19, s46
                                        ; implicit-def: $vgpr18
; %bb.4718:                             ;   in Loop: Header=BB12_4523 Depth=3
	s_andn2_saveexec_b64 s[92:93], s[92:93]
	s_cbranch_execz .LBB12_4720
; %bb.4719:                             ;   in Loop: Header=BB12_4523 Depth=3
	buffer_load_dword v20, off, s[0:3], s33 offset:128 ; 4-byte Folded Reload
	buffer_load_dword v21, off, s[0:3], s33 offset:132 ; 4-byte Folded Reload
	v_or_b32_e32 v19, 0x10000, v18
	s_waitcnt vmcnt(1)
	v_cmp_eq_u32_sdwa vcc, v18, v20 src0_sel:WORD_0 src1_sel:DWORD
	v_cndmask_b32_e32 v44, v19, v18, vcc
.LBB12_4720:                            ;   in Loop: Header=BB12_4523 Depth=3
	s_or_b64 exec, exec, s[92:93]
	buffer_load_dword v18, off, s[0:3], s33 offset:200 ; 4-byte Folded Reload
	buffer_load_dword v19, off, s[0:3], s33 offset:204 ; 4-byte Folded Reload
	;; [unrolled: 1-line block ×5, first 2 shown]
                                        ; implicit-def: $vgpr48
	s_waitcnt vmcnt(4)
	v_and_b32_e32 v18, 0xffff0000, v18
	s_waitcnt vmcnt(0)
	v_and_b32_e32 v19, 0xffff0000, v19
	v_add_f32_e32 v18, v18, v19
	v_and_b32_e32 v19, 0x7f800000, v18
	v_cmp_ne_u32_e32 vcc, s97, v19
	s_and_saveexec_b64 s[92:93], vcc
	s_xor_b64 s[92:93], exec, s[92:93]
; %bb.4721:                             ;   in Loop: Header=BB12_4523 Depth=3
	v_bfe_u32 v19, v18, 16, 1
	v_add3_u32 v48, v18, v19, s46
                                        ; implicit-def: $vgpr18
; %bb.4722:                             ;   in Loop: Header=BB12_4523 Depth=3
	s_andn2_saveexec_b64 s[92:93], s[92:93]
	s_cbranch_execz .LBB12_4724
; %bb.4723:                             ;   in Loop: Header=BB12_4523 Depth=3
	buffer_load_dword v20, off, s[0:3], s33 offset:128 ; 4-byte Folded Reload
	buffer_load_dword v21, off, s[0:3], s33 offset:132 ; 4-byte Folded Reload
	v_or_b32_e32 v19, 0x10000, v18
	s_waitcnt vmcnt(1)
	v_cmp_eq_u32_sdwa vcc, v18, v20 src0_sel:WORD_0 src1_sel:DWORD
	v_cndmask_b32_e32 v48, v19, v18, vcc
.LBB12_4724:                            ;   in Loop: Header=BB12_4523 Depth=3
	s_or_b64 exec, exec, s[92:93]
	buffer_load_dword v18, off, s[0:3], s33 offset:452 ; 4-byte Folded Reload
	buffer_load_dword v19, off, s[0:3], s33 offset:200 ; 4-byte Folded Reload
	;; [unrolled: 1-line block ×5, first 2 shown]
                                        ; implicit-def: $vgpr45
	s_waitcnt vmcnt(2)
	v_lshlrev_b32_e32 v19, 16, v20
	v_and_b32_e32 v18, 0xffff0000, v18
	v_add_f32_e32 v18, v19, v18
	v_and_b32_e32 v19, 0x7f800000, v18
	v_cmp_ne_u32_e32 vcc, s97, v19
	s_and_saveexec_b64 s[92:93], vcc
	s_xor_b64 s[92:93], exec, s[92:93]
; %bb.4725:                             ;   in Loop: Header=BB12_4523 Depth=3
	v_bfe_u32 v19, v18, 16, 1
	v_add3_u32 v45, v18, v19, s46
                                        ; implicit-def: $vgpr18
; %bb.4726:                             ;   in Loop: Header=BB12_4523 Depth=3
	s_andn2_saveexec_b64 s[92:93], s[92:93]
	s_cbranch_execz .LBB12_4728
; %bb.4727:                             ;   in Loop: Header=BB12_4523 Depth=3
	buffer_load_dword v20, off, s[0:3], s33 offset:128 ; 4-byte Folded Reload
	buffer_load_dword v21, off, s[0:3], s33 offset:132 ; 4-byte Folded Reload
	v_or_b32_e32 v19, 0x10000, v18
	s_waitcnt vmcnt(1)
	v_cmp_eq_u32_sdwa vcc, v18, v20 src0_sel:WORD_0 src1_sel:DWORD
	v_cndmask_b32_e32 v45, v19, v18, vcc
.LBB12_4728:                            ;   in Loop: Header=BB12_4523 Depth=3
	s_or_b64 exec, exec, s[92:93]
	buffer_load_dword v18, off, s[0:3], s33 offset:200 ; 4-byte Folded Reload
	buffer_load_dword v19, off, s[0:3], s33 offset:204 ; 4-byte Folded Reload
	;; [unrolled: 1-line block ×4, first 2 shown]
                                        ; implicit-def: $vgpr49
	s_waitcnt vmcnt(2)
	v_and_b32_e32 v18, 0xffff0000, v19
	buffer_load_dword v19, off, s[0:3], s33 offset:440 ; 4-byte Folded Reload
	s_waitcnt vmcnt(0)
	v_and_b32_e32 v19, 0xffff0000, v19
	v_add_f32_e32 v18, v18, v19
	v_and_b32_e32 v19, 0x7f800000, v18
	v_cmp_ne_u32_e32 vcc, s97, v19
	s_and_saveexec_b64 s[92:93], vcc
	s_xor_b64 s[92:93], exec, s[92:93]
; %bb.4729:                             ;   in Loop: Header=BB12_4523 Depth=3
	v_bfe_u32 v19, v18, 16, 1
	v_add3_u32 v49, v18, v19, s46
                                        ; implicit-def: $vgpr18
; %bb.4730:                             ;   in Loop: Header=BB12_4523 Depth=3
	s_andn2_saveexec_b64 s[92:93], s[92:93]
	s_cbranch_execz .LBB12_4732
; %bb.4731:                             ;   in Loop: Header=BB12_4523 Depth=3
	buffer_load_dword v20, off, s[0:3], s33 offset:128 ; 4-byte Folded Reload
	buffer_load_dword v21, off, s[0:3], s33 offset:132 ; 4-byte Folded Reload
	v_or_b32_e32 v19, 0x10000, v18
	s_waitcnt vmcnt(1)
	v_cmp_eq_u32_sdwa vcc, v18, v20 src0_sel:WORD_0 src1_sel:DWORD
	v_cndmask_b32_e32 v49, v19, v18, vcc
.LBB12_4732:                            ;   in Loop: Header=BB12_4523 Depth=3
	s_or_b64 exec, exec, s[92:93]
	buffer_load_dword v18, off, s[0:3], s33 offset:444 ; 4-byte Folded Reload
	buffer_load_dword v19, off, s[0:3], s33 offset:200 ; 4-byte Folded Reload
	buffer_load_dword v20, off, s[0:3], s33 offset:204 ; 4-byte Folded Reload
	buffer_load_dword v21, off, s[0:3], s33 offset:208 ; 4-byte Folded Reload
	buffer_load_dword v22, off, s[0:3], s33 offset:212 ; 4-byte Folded Reload
                                        ; implicit-def: $vgpr25
	s_waitcnt vmcnt(1)
	v_lshlrev_b32_e32 v19, 16, v21
	v_and_b32_e32 v18, 0xffff0000, v18
	v_add_f32_e32 v18, v19, v18
	v_and_b32_e32 v19, 0x7f800000, v18
	v_cmp_ne_u32_e32 vcc, s97, v19
	s_and_saveexec_b64 s[92:93], vcc
	s_xor_b64 s[92:93], exec, s[92:93]
; %bb.4733:                             ;   in Loop: Header=BB12_4523 Depth=3
	v_bfe_u32 v19, v18, 16, 1
	v_add3_u32 v25, v18, v19, s46
                                        ; implicit-def: $vgpr18
; %bb.4734:                             ;   in Loop: Header=BB12_4523 Depth=3
	s_andn2_saveexec_b64 s[92:93], s[92:93]
	s_cbranch_execz .LBB12_4736
; %bb.4735:                             ;   in Loop: Header=BB12_4523 Depth=3
	buffer_load_dword v20, off, s[0:3], s33 offset:128 ; 4-byte Folded Reload
	buffer_load_dword v21, off, s[0:3], s33 offset:132 ; 4-byte Folded Reload
	v_or_b32_e32 v19, 0x10000, v18
	s_waitcnt vmcnt(1)
	v_cmp_eq_u32_sdwa vcc, v18, v20 src0_sel:WORD_0 src1_sel:DWORD
	v_cndmask_b32_e32 v25, v19, v18, vcc
.LBB12_4736:                            ;   in Loop: Header=BB12_4523 Depth=3
	s_or_b64 exec, exec, s[92:93]
	buffer_load_dword v18, off, s[0:3], s33 offset:200 ; 4-byte Folded Reload
	buffer_load_dword v19, off, s[0:3], s33 offset:204 ; 4-byte Folded Reload
	;; [unrolled: 1-line block ×5, first 2 shown]
                                        ; implicit-def: $vgpr24
	s_waitcnt vmcnt(2)
	v_and_b32_e32 v18, 0xffff0000, v20
	s_waitcnt vmcnt(0)
	v_and_b32_e32 v19, 0xffff0000, v19
	v_add_f32_e32 v18, v18, v19
	v_and_b32_e32 v19, 0x7f800000, v18
	v_cmp_ne_u32_e32 vcc, s97, v19
	s_and_saveexec_b64 s[92:93], vcc
	s_xor_b64 s[92:93], exec, s[92:93]
; %bb.4737:                             ;   in Loop: Header=BB12_4523 Depth=3
	v_bfe_u32 v19, v18, 16, 1
	v_add3_u32 v24, v18, v19, s46
                                        ; implicit-def: $vgpr18
; %bb.4738:                             ;   in Loop: Header=BB12_4523 Depth=3
	s_andn2_saveexec_b64 s[92:93], s[92:93]
	s_cbranch_execz .LBB12_4740
; %bb.4739:                             ;   in Loop: Header=BB12_4523 Depth=3
	buffer_load_dword v20, off, s[0:3], s33 offset:128 ; 4-byte Folded Reload
	buffer_load_dword v21, off, s[0:3], s33 offset:132 ; 4-byte Folded Reload
	v_or_b32_e32 v19, 0x10000, v18
	s_waitcnt vmcnt(1)
	v_cmp_eq_u32_sdwa vcc, v18, v20 src0_sel:WORD_0 src1_sel:DWORD
	v_cndmask_b32_e32 v24, v19, v18, vcc
.LBB12_4740:                            ;   in Loop: Header=BB12_4523 Depth=3
	s_or_b64 exec, exec, s[92:93]
	buffer_load_dword v18, off, s[0:3], s33 offset:380 ; 4-byte Folded Reload
	buffer_load_dword v19, off, s[0:3], s33 offset:200 ; 4-byte Folded Reload
	;; [unrolled: 1-line block ×5, first 2 shown]
                                        ; implicit-def: $vgpr27
	s_waitcnt vmcnt(4)
	v_and_b32_e32 v18, 0xffff0000, v18
	s_waitcnt vmcnt(0)
	v_lshlrev_b32_e32 v19, 16, v22
	v_add_f32_e32 v18, v19, v18
	v_and_b32_e32 v19, 0x7f800000, v18
	v_cmp_ne_u32_e32 vcc, s97, v19
	s_and_saveexec_b64 s[92:93], vcc
	s_xor_b64 s[92:93], exec, s[92:93]
; %bb.4741:                             ;   in Loop: Header=BB12_4523 Depth=3
	v_bfe_u32 v19, v18, 16, 1
	v_add3_u32 v27, v18, v19, s46
                                        ; implicit-def: $vgpr18
; %bb.4742:                             ;   in Loop: Header=BB12_4523 Depth=3
	s_andn2_saveexec_b64 s[92:93], s[92:93]
	s_cbranch_execz .LBB12_4744
; %bb.4743:                             ;   in Loop: Header=BB12_4523 Depth=3
	buffer_load_dword v20, off, s[0:3], s33 offset:128 ; 4-byte Folded Reload
	buffer_load_dword v21, off, s[0:3], s33 offset:132 ; 4-byte Folded Reload
	v_or_b32_e32 v19, 0x10000, v18
	s_waitcnt vmcnt(1)
	v_cmp_eq_u32_sdwa vcc, v18, v20 src0_sel:WORD_0 src1_sel:DWORD
	v_cndmask_b32_e32 v27, v19, v18, vcc
.LBB12_4744:                            ;   in Loop: Header=BB12_4523 Depth=3
	s_or_b64 exec, exec, s[92:93]
	buffer_load_dword v18, off, s[0:3], s33 offset:200 ; 4-byte Folded Reload
	buffer_load_dword v19, off, s[0:3], s33 offset:204 ; 4-byte Folded Reload
	;; [unrolled: 1-line block ×5, first 2 shown]
                                        ; implicit-def: $vgpr51
	s_waitcnt vmcnt(1)
	v_and_b32_e32 v18, 0xffff0000, v21
	s_waitcnt vmcnt(0)
	v_and_b32_e32 v19, 0xffff0000, v19
	v_add_f32_e32 v18, v18, v19
	v_and_b32_e32 v19, 0x7f800000, v18
	v_cmp_ne_u32_e32 vcc, s97, v19
	s_and_saveexec_b64 s[92:93], vcc
	s_xor_b64 s[92:93], exec, s[92:93]
; %bb.4745:                             ;   in Loop: Header=BB12_4523 Depth=3
	v_bfe_u32 v19, v18, 16, 1
	v_add3_u32 v51, v18, v19, s46
                                        ; implicit-def: $vgpr18
; %bb.4746:                             ;   in Loop: Header=BB12_4523 Depth=3
	s_andn2_saveexec_b64 s[92:93], s[92:93]
	s_cbranch_execz .LBB12_4748
; %bb.4747:                             ;   in Loop: Header=BB12_4523 Depth=3
	buffer_load_dword v20, off, s[0:3], s33 offset:128 ; 4-byte Folded Reload
	buffer_load_dword v21, off, s[0:3], s33 offset:132 ; 4-byte Folded Reload
	v_or_b32_e32 v19, 0x10000, v18
	s_waitcnt vmcnt(1)
	v_cmp_eq_u32_sdwa vcc, v18, v20 src0_sel:WORD_0 src1_sel:DWORD
	v_cndmask_b32_e32 v51, v19, v18, vcc
.LBB12_4748:                            ;   in Loop: Header=BB12_4523 Depth=3
	s_or_b64 exec, exec, s[92:93]
	buffer_load_dword v18, off, s[0:3], s33 offset:372 ; 4-byte Folded Reload
	buffer_load_dword v19, off, s[0:3], s33 offset:184 ; 4-byte Folded Reload
	;; [unrolled: 1-line block ×5, first 2 shown]
                                        ; implicit-def: $vgpr23
	s_waitcnt vmcnt(3)
	v_lshlrev_b32_e32 v19, 16, v19
	v_and_b32_e32 v18, 0xffff0000, v18
	v_add_f32_e32 v18, v19, v18
	v_and_b32_e32 v19, 0x7f800000, v18
	v_cmp_ne_u32_e32 vcc, s97, v19
	s_and_saveexec_b64 s[92:93], vcc
	s_xor_b64 s[92:93], exec, s[92:93]
; %bb.4749:                             ;   in Loop: Header=BB12_4523 Depth=3
	v_bfe_u32 v19, v18, 16, 1
	v_add3_u32 v23, v18, v19, s46
                                        ; implicit-def: $vgpr18
; %bb.4750:                             ;   in Loop: Header=BB12_4523 Depth=3
	s_andn2_saveexec_b64 s[92:93], s[92:93]
	s_cbranch_execz .LBB12_4752
; %bb.4751:                             ;   in Loop: Header=BB12_4523 Depth=3
	buffer_load_dword v20, off, s[0:3], s33 offset:128 ; 4-byte Folded Reload
	buffer_load_dword v21, off, s[0:3], s33 offset:132 ; 4-byte Folded Reload
	v_or_b32_e32 v19, 0x10000, v18
	s_waitcnt vmcnt(1)
	v_cmp_eq_u32_sdwa vcc, v18, v20 src0_sel:WORD_0 src1_sel:DWORD
	v_cndmask_b32_e32 v23, v19, v18, vcc
.LBB12_4752:                            ;   in Loop: Header=BB12_4523 Depth=3
	s_or_b64 exec, exec, s[92:93]
	buffer_load_dword v18, off, s[0:3], s33 offset:184 ; 4-byte Folded Reload
	buffer_load_dword v19, off, s[0:3], s33 offset:188 ; 4-byte Folded Reload
	;; [unrolled: 1-line block ×5, first 2 shown]
                                        ; implicit-def: $vgpr21
	s_waitcnt vmcnt(4)
	v_and_b32_e32 v18, 0xffff0000, v18
	s_waitcnt vmcnt(0)
	v_and_b32_e32 v19, 0xffff0000, v19
	v_add_f32_e32 v18, v18, v19
	v_and_b32_e32 v19, 0x7f800000, v18
	v_cmp_ne_u32_e32 vcc, s97, v19
	s_and_saveexec_b64 s[92:93], vcc
	s_xor_b64 s[92:93], exec, s[92:93]
; %bb.4753:                             ;   in Loop: Header=BB12_4523 Depth=3
	v_bfe_u32 v19, v18, 16, 1
	v_add3_u32 v21, v18, v19, s46
                                        ; implicit-def: $vgpr18
; %bb.4754:                             ;   in Loop: Header=BB12_4523 Depth=3
	s_andn2_saveexec_b64 s[92:93], s[92:93]
	s_cbranch_execz .LBB12_4756
; %bb.4755:                             ;   in Loop: Header=BB12_4523 Depth=3
	buffer_load_dword v20, off, s[0:3], s33 offset:128 ; 4-byte Folded Reload
	buffer_load_dword v21, off, s[0:3], s33 offset:132 ; 4-byte Folded Reload
	v_or_b32_e32 v19, 0x10000, v18
	s_waitcnt vmcnt(1)
	v_cmp_eq_u32_sdwa vcc, v18, v20 src0_sel:WORD_0 src1_sel:DWORD
	s_waitcnt vmcnt(0)
	v_cndmask_b32_e32 v21, v19, v18, vcc
.LBB12_4756:                            ;   in Loop: Header=BB12_4523 Depth=3
	s_or_b64 exec, exec, s[92:93]
	buffer_load_dword v18, off, s[0:3], s33 offset:360 ; 4-byte Folded Reload
	buffer_load_dword v28, off, s[0:3], s33 offset:184 ; 4-byte Folded Reload
	;; [unrolled: 1-line block ×5, first 2 shown]
                                        ; implicit-def: $vgpr22
	s_waitcnt vmcnt(2)
	v_lshlrev_b32_e32 v19, 16, v29
	v_and_b32_e32 v18, 0xffff0000, v18
	v_add_f32_e32 v18, v19, v18
	v_and_b32_e32 v19, 0x7f800000, v18
	v_cmp_ne_u32_e32 vcc, s97, v19
	s_and_saveexec_b64 s[92:93], vcc
	s_xor_b64 s[92:93], exec, s[92:93]
; %bb.4757:                             ;   in Loop: Header=BB12_4523 Depth=3
	v_bfe_u32 v19, v18, 16, 1
	v_add3_u32 v22, v18, v19, s46
                                        ; implicit-def: $vgpr18
; %bb.4758:                             ;   in Loop: Header=BB12_4523 Depth=3
	s_andn2_saveexec_b64 s[92:93], s[92:93]
	s_cbranch_execz .LBB12_4760
; %bb.4759:                             ;   in Loop: Header=BB12_4523 Depth=3
	buffer_load_dword v29, off, s[0:3], s33 offset:128 ; 4-byte Folded Reload
	buffer_load_dword v30, off, s[0:3], s33 offset:132 ; 4-byte Folded Reload
	v_or_b32_e32 v19, 0x10000, v18
	s_waitcnt vmcnt(1)
	v_cmp_eq_u32_sdwa vcc, v18, v29 src0_sel:WORD_0 src1_sel:DWORD
	v_cndmask_b32_e32 v22, v19, v18, vcc
.LBB12_4760:                            ;   in Loop: Header=BB12_4523 Depth=3
	s_or_b64 exec, exec, s[92:93]
	buffer_load_dword v28, off, s[0:3], s33 offset:184 ; 4-byte Folded Reload
	buffer_load_dword v29, off, s[0:3], s33 offset:188 ; 4-byte Folded Reload
	;; [unrolled: 1-line block ×5, first 2 shown]
	s_waitcnt vmcnt(3)
	v_and_b32_e32 v18, 0xffff0000, v29
	s_waitcnt vmcnt(0)
	v_and_b32_e32 v19, 0xffff0000, v19
	v_add_f32_e32 v18, v18, v19
	v_and_b32_e32 v19, 0x7f800000, v18
	v_cmp_ne_u32_e32 vcc, s97, v19
                                        ; implicit-def: $vgpr19
	s_and_saveexec_b64 s[92:93], vcc
	s_xor_b64 s[92:93], exec, s[92:93]
; %bb.4761:                             ;   in Loop: Header=BB12_4523 Depth=3
	v_bfe_u32 v19, v18, 16, 1
	v_add3_u32 v19, v18, v19, s46
                                        ; implicit-def: $vgpr18
; %bb.4762:                             ;   in Loop: Header=BB12_4523 Depth=3
	s_andn2_saveexec_b64 s[92:93], s[92:93]
	s_cbranch_execz .LBB12_4764
; %bb.4763:                             ;   in Loop: Header=BB12_4523 Depth=3
	buffer_load_dword v29, off, s[0:3], s33 offset:128 ; 4-byte Folded Reload
	buffer_load_dword v30, off, s[0:3], s33 offset:132 ; 4-byte Folded Reload
	v_or_b32_e32 v19, 0x10000, v18
	s_waitcnt vmcnt(1)
	v_cmp_eq_u32_sdwa vcc, v18, v29 src0_sel:WORD_0 src1_sel:DWORD
	v_cndmask_b32_e32 v19, v19, v18, vcc
.LBB12_4764:                            ;   in Loop: Header=BB12_4523 Depth=3
	s_or_b64 exec, exec, s[92:93]
	buffer_load_dword v18, off, s[0:3], s33 offset:352 ; 4-byte Folded Reload
	buffer_load_dword v28, off, s[0:3], s33 offset:184 ; 4-byte Folded Reload
	;; [unrolled: 1-line block ×5, first 2 shown]
	s_waitcnt vmcnt(1)
	v_lshlrev_b32_e32 v20, 16, v30
	v_and_b32_e32 v18, 0xffff0000, v18
	v_add_f32_e32 v18, v20, v18
	v_and_b32_e32 v20, 0x7f800000, v18
	v_cmp_ne_u32_e32 vcc, s97, v20
                                        ; implicit-def: $vgpr20
	s_and_saveexec_b64 s[92:93], vcc
	s_xor_b64 s[92:93], exec, s[92:93]
; %bb.4765:                             ;   in Loop: Header=BB12_4523 Depth=3
	v_bfe_u32 v20, v18, 16, 1
	v_add3_u32 v20, v18, v20, s46
                                        ; implicit-def: $vgpr18
; %bb.4766:                             ;   in Loop: Header=BB12_4523 Depth=3
	s_andn2_saveexec_b64 s[92:93], s[92:93]
	s_cbranch_execz .LBB12_4768
; %bb.4767:                             ;   in Loop: Header=BB12_4523 Depth=3
	buffer_load_dword v29, off, s[0:3], s33 offset:128 ; 4-byte Folded Reload
	buffer_load_dword v30, off, s[0:3], s33 offset:132 ; 4-byte Folded Reload
	v_or_b32_e32 v20, 0x10000, v18
	s_waitcnt vmcnt(1)
	v_cmp_eq_u32_sdwa vcc, v18, v29 src0_sel:WORD_0 src1_sel:DWORD
	v_cndmask_b32_e32 v20, v20, v18, vcc
.LBB12_4768:                            ;   in Loop: Header=BB12_4523 Depth=3
	s_or_b64 exec, exec, s[92:93]
	buffer_load_dword v28, off, s[0:3], s33 offset:184 ; 4-byte Folded Reload
	buffer_load_dword v29, off, s[0:3], s33 offset:188 ; 4-byte Folded Reload
	;; [unrolled: 1-line block ×5, first 2 shown]
	s_waitcnt vmcnt(2)
	v_and_b32_e32 v18, 0xffff0000, v30
	s_waitcnt vmcnt(0)
	v_and_b32_e32 v26, 0xffff0000, v26
	v_add_f32_e32 v26, v18, v26
	v_and_b32_e32 v18, 0x7f800000, v26
	v_cmp_ne_u32_e32 vcc, s97, v18
                                        ; implicit-def: $vgpr18
	s_and_saveexec_b64 s[92:93], vcc
	s_xor_b64 s[92:93], exec, s[92:93]
; %bb.4769:                             ;   in Loop: Header=BB12_4523 Depth=3
	v_bfe_u32 v18, v26, 16, 1
	v_add3_u32 v18, v26, v18, s46
                                        ; implicit-def: $vgpr26
; %bb.4770:                             ;   in Loop: Header=BB12_4523 Depth=3
	s_andn2_saveexec_b64 s[92:93], s[92:93]
	s_cbranch_execz .LBB12_4772
; %bb.4771:                             ;   in Loop: Header=BB12_4523 Depth=3
	buffer_load_dword v29, off, s[0:3], s33 offset:128 ; 4-byte Folded Reload
	buffer_load_dword v30, off, s[0:3], s33 offset:132 ; 4-byte Folded Reload
	v_or_b32_e32 v18, 0x10000, v26
	s_waitcnt vmcnt(1)
	v_cmp_eq_u32_sdwa vcc, v26, v29 src0_sel:WORD_0 src1_sel:DWORD
	v_cndmask_b32_e32 v18, v18, v26, vcc
.LBB12_4772:                            ;   in Loop: Header=BB12_4523 Depth=3
	s_or_b64 exec, exec, s[92:93]
	buffer_load_dword v26, off, s[0:3], s33 offset:340 ; 4-byte Folded Reload
	buffer_load_dword v28, off, s[0:3], s33 offset:184 ; 4-byte Folded Reload
	;; [unrolled: 1-line block ×5, first 2 shown]
                                        ; implicit-def: $vgpr60
	s_waitcnt vmcnt(4)
	v_and_b32_e32 v26, 0xffff0000, v26
	s_waitcnt vmcnt(0)
	v_lshlrev_b32_e32 v50, 16, v31
	v_add_f32_e32 v26, v50, v26
	v_and_b32_e32 v50, 0x7f800000, v26
	v_cmp_ne_u32_e32 vcc, s97, v50
	s_and_saveexec_b64 s[92:93], vcc
	s_xor_b64 s[92:93], exec, s[92:93]
; %bb.4773:                             ;   in Loop: Header=BB12_4523 Depth=3
	v_bfe_u32 v50, v26, 16, 1
	v_add3_u32 v60, v26, v50, s46
                                        ; implicit-def: $vgpr26
; %bb.4774:                             ;   in Loop: Header=BB12_4523 Depth=3
	s_andn2_saveexec_b64 s[92:93], s[92:93]
	s_cbranch_execz .LBB12_4776
; %bb.4775:                             ;   in Loop: Header=BB12_4523 Depth=3
	buffer_load_dword v29, off, s[0:3], s33 offset:128 ; 4-byte Folded Reload
	buffer_load_dword v30, off, s[0:3], s33 offset:132 ; 4-byte Folded Reload
	v_or_b32_e32 v50, 0x10000, v26
	s_waitcnt vmcnt(1)
	v_cmp_eq_u32_sdwa vcc, v26, v29 src0_sel:WORD_0 src1_sel:DWORD
	v_cndmask_b32_e32 v60, v50, v26, vcc
.LBB12_4776:                            ;   in Loop: Header=BB12_4523 Depth=3
	s_or_b64 exec, exec, s[92:93]
	buffer_load_dword v28, off, s[0:3], s33 offset:184 ; 4-byte Folded Reload
	buffer_load_dword v29, off, s[0:3], s33 offset:188 ; 4-byte Folded Reload
	;; [unrolled: 1-line block ×5, first 2 shown]
	s_waitcnt vmcnt(1)
	v_and_b32_e32 v26, 0xffff0000, v31
	s_waitcnt vmcnt(0)
	v_and_b32_e32 v50, 0xffff0000, v28
	v_add_f32_e32 v50, v26, v50
	v_and_b32_e32 v26, 0x7f800000, v50
	v_cmp_ne_u32_e32 vcc, s97, v26
                                        ; implicit-def: $vgpr26
	s_and_saveexec_b64 s[92:93], vcc
	s_xor_b64 s[92:93], exec, s[92:93]
; %bb.4777:                             ;   in Loop: Header=BB12_4523 Depth=3
	v_bfe_u32 v26, v50, 16, 1
	v_add3_u32 v26, v50, v26, s46
                                        ; implicit-def: $vgpr50
; %bb.4778:                             ;   in Loop: Header=BB12_4523 Depth=3
	s_andn2_saveexec_b64 s[92:93], s[92:93]
	s_cbranch_execz .LBB12_4780
; %bb.4779:                             ;   in Loop: Header=BB12_4523 Depth=3
	buffer_load_dword v29, off, s[0:3], s33 offset:128 ; 4-byte Folded Reload
	buffer_load_dword v30, off, s[0:3], s33 offset:132 ; 4-byte Folded Reload
	v_or_b32_e32 v26, 0x10000, v50
	s_waitcnt vmcnt(1)
	v_cmp_eq_u32_sdwa vcc, v50, v29 src0_sel:WORD_0 src1_sel:DWORD
	v_cndmask_b32_e32 v26, v26, v50, vcc
.LBB12_4780:                            ;   in Loop: Header=BB12_4523 Depth=3
	s_or_b64 exec, exec, s[92:93]
	v_lshrrev_b32_e32 v50, 16, v45
	v_and_or_b32 v49, v49, s47, v50
	v_lshrrev_b32_e32 v50, 16, v44
	v_lshrrev_b32_e32 v25, 16, v25
	v_and_or_b32 v48, v48, s47, v50
	v_and_or_b32 v50, v24, s47, v25
	v_lshrrev_b32_e32 v24, 16, v27
	v_and_or_b32 v51, v51, s47, v24
	buffer_load_dword v24, off, s[0:3], s33 offset:516 ; 4-byte Folded Reload
	buffer_load_dword v25, off, s[0:3], s33 offset:556 ; 4-byte Folded Reload
	v_lshrrev_b32_e32 v22, 16, v22
	v_and_or_b32 v22, v19, s47, v22
	v_lshrrev_b32_e32 v19, 16, v23
	v_and_or_b32 v21, v21, s47, v19
	v_lshrrev_b32_e32 v19, 16, v20
	v_and_or_b32 v23, v18, s47, v19
	v_lshrrev_b32_e32 v18, 16, v60
	s_waitcnt vmcnt(1)
	v_lshrrev_b32_e32 v24, 16, v24
	s_waitcnt vmcnt(0)
	v_and_or_b32 v45, v25, s47, v24
	buffer_load_dword v24, off, s[0:3], s33 offset:492 ; 4-byte Folded Reload
	buffer_load_dword v25, off, s[0:3], s33 offset:508 ; 4-byte Folded Reload
	s_waitcnt vmcnt(1)
	v_lshrrev_b32_e32 v24, 16, v24
	s_waitcnt vmcnt(0)
	v_and_or_b32 v44, v25, s47, v24
	buffer_load_dword v24, off, s[0:3], s33 offset:604 ; 4-byte Folded Reload
	buffer_load_dword v25, off, s[0:3], s33 offset:468 ; 4-byte Folded Reload
	s_waitcnt vmcnt(1)
	v_lshrrev_b32_e32 v24, 16, v24
	v_and_or_b32 v46, v46, s47, v24
	buffer_load_dword v24, off, s[0:3], s33 offset:460 ; 4-byte Folded Reload
	s_waitcnt vmcnt(0)
	v_lshrrev_b32_e32 v24, 16, v24
	v_and_or_b32 v47, v47, s47, v24
	;; [unrolled: 4-line block ×3, first 2 shown]
	buffer_load_dword v24, off, s[0:3], s33 offset:168 ; 4-byte Folded Reload
	buffer_load_dword v25, off, s[0:3], s33 offset:364 ; 4-byte Folded Reload
	s_waitcnt vmcnt(1)
	v_lshrrev_b32_e32 v24, 16, v24
	s_waitcnt vmcnt(0)
	v_and_or_b32 v28, v25, s47, v24
	buffer_load_dword v24, off, s[0:3], s33 offset:472 ; 4-byte Folded Reload
	buffer_load_dword v25, off, s[0:3], s33 offset:476 ; 4-byte Folded Reload
	s_waitcnt vmcnt(1)
	v_lshrrev_b32_e32 v24, 16, v24
	s_waitcnt vmcnt(0)
	v_and_or_b32 v30, v25, s47, v24
	;; [unrolled: 6-line block ×3, first 2 shown]
	v_and_or_b32 v24, v26, s47, v18
	global_store_dwordx4 v[14:15], v[28:31], off glc slc
	global_store_dwordx4 v[14:15], v[44:47], off offset:1024 glc slc
	global_store_dwordx4 v[14:15], v[48:51], off offset:2048 glc slc
	buffer_store_dword v21, off, s[0:3], s33 offset:168 ; 4-byte Folded Spill
	s_nop 0
	buffer_store_dword v22, off, s[0:3], s33 offset:172 ; 4-byte Folded Spill
	buffer_store_dword v23, off, s[0:3], s33 offset:176 ; 4-byte Folded Spill
	;; [unrolled: 1-line block ×3, first 2 shown]
	buffer_load_dword v18, off, s[0:3], s33 offset:264 ; 4-byte Folded Reload
	s_nop 0
	global_store_dwordx4 v[14:15], v[21:24], off offset:3072 glc slc
	s_waitcnt vmcnt(1)
	v_add_co_u32_e32 v14, vcc, v14, v18
	buffer_load_dword v18, off, s[0:3], s33 offset:268 ; 4-byte Folded Reload
	s_waitcnt vmcnt(0)
	v_addc_co_u32_e32 v15, vcc, v15, v18, vcc
.LBB12_4781:                            ;   in Loop: Header=BB12_4523 Depth=3
	s_or_b64 exec, exec, s[94:95]
	buffer_load_dword v18, off, s[0:3], s33 offset:264 ; 4-byte Folded Reload
	buffer_load_dword v19, off, s[0:3], s33 offset:268 ; 4-byte Folded Reload
	s_waitcnt vmcnt(1)
	v_add_co_u32_e32 v16, vcc, v16, v18
	s_waitcnt vmcnt(0)
	v_addc_co_u32_e32 v17, vcc, v17, v19, vcc
	v_add_co_u32_e32 v0, vcc, v0, v18
	v_addc_co_u32_e32 v1, vcc, v1, v19, vcc
	buffer_load_dword v18, off, s[0:3], s33 offset:152 ; 4-byte Folded Reload
	buffer_load_dword v19, off, s[0:3], s33 offset:284 ; 4-byte Folded Reload
	s_waitcnt vmcnt(0)
	v_sub_u32_e32 v19, v19, v18
	v_cmp_lt_i32_e64 s[92:93], 0, v19
	buffer_store_dword v19, off, s[0:3], s33 offset:284 ; 4-byte Folded Spill
	s_and_saveexec_b64 s[94:95], s[92:93]
	s_cbranch_execz .LBB12_4783
; %bb.4782:                             ;   in Loop: Header=BB12_4523 Depth=3
	global_load_dwordx4 v[28:31], v[16:17], off glc slc
	global_load_dwordx4 v[44:47], v[16:17], off offset:1024 glc slc
	global_load_dwordx4 v[48:51], v[16:17], off offset:2048 glc slc
	;; [unrolled: 1-line block ×3, first 2 shown]
	v_add_co_u32_e32 v16, vcc, s81, v16
	v_addc_co_u32_e32 v17, vcc, 0, v17, vcc
	s_waitcnt vmcnt(0)
	buffer_store_dword v18, off, s[0:3], s33 offset:168 ; 4-byte Folded Spill
	s_nop 0
	buffer_store_dword v19, off, s[0:3], s33 offset:172 ; 4-byte Folded Spill
	buffer_store_dword v20, off, s[0:3], s33 offset:176 ; 4-byte Folded Spill
	;; [unrolled: 1-line block ×3, first 2 shown]
	global_load_dwordx4 v[18:21], v[0:1], off glc slc
	s_waitcnt vmcnt(0)
	buffer_store_dword v18, off, s[0:3], s33 offset:240 ; 4-byte Folded Spill
	s_nop 0
	buffer_store_dword v19, off, s[0:3], s33 offset:244 ; 4-byte Folded Spill
	buffer_store_dword v20, off, s[0:3], s33 offset:248 ; 4-byte Folded Spill
	buffer_store_dword v21, off, s[0:3], s33 offset:252 ; 4-byte Folded Spill
	global_load_dwordx4 v[18:21], v[0:1], off offset:1024 glc slc
	s_waitcnt vmcnt(0)
	buffer_store_dword v18, off, s[0:3], s33 offset:216 ; 4-byte Folded Spill
	s_nop 0
	buffer_store_dword v19, off, s[0:3], s33 offset:220 ; 4-byte Folded Spill
	buffer_store_dword v20, off, s[0:3], s33 offset:224 ; 4-byte Folded Spill
	buffer_store_dword v21, off, s[0:3], s33 offset:228 ; 4-byte Folded Spill
	global_load_dwordx4 v[18:21], v[0:1], off offset:2048 glc slc
	s_waitcnt vmcnt(0)
	buffer_store_dword v18, off, s[0:3], s33 offset:200 ; 4-byte Folded Spill
	s_nop 0
	buffer_store_dword v19, off, s[0:3], s33 offset:204 ; 4-byte Folded Spill
	buffer_store_dword v20, off, s[0:3], s33 offset:208 ; 4-byte Folded Spill
	buffer_store_dword v21, off, s[0:3], s33 offset:212 ; 4-byte Folded Spill
	global_load_dwordx4 v[18:21], v[0:1], off offset:3072 glc slc
	v_add_co_u32_e32 v0, vcc, 0x1000, v0
	v_addc_co_u32_e32 v1, vcc, 0, v1, vcc
	s_waitcnt vmcnt(0)
	buffer_store_dword v18, off, s[0:3], s33 offset:184 ; 4-byte Folded Spill
	s_nop 0
	buffer_store_dword v19, off, s[0:3], s33 offset:188 ; 4-byte Folded Spill
	buffer_store_dword v20, off, s[0:3], s33 offset:192 ; 4-byte Folded Spill
	buffer_store_dword v21, off, s[0:3], s33 offset:196 ; 4-byte Folded Spill
.LBB12_4783:                            ;   in Loop: Header=BB12_4523 Depth=3
	s_or_b64 exec, exec, s[94:95]
	v_lshlrev_b32_e32 v18, 16, v10
	v_mul_f32_e32 v18, v61, v18
	v_and_b32_e32 v19, 0x7f800000, v18
	v_cmp_ne_u32_e32 vcc, s97, v19
                                        ; implicit-def: $vgpr60
	s_and_saveexec_b64 s[94:95], vcc
	s_xor_b64 s[94:95], exec, s[94:95]
; %bb.4784:                             ;   in Loop: Header=BB12_4523 Depth=3
	v_bfe_u32 v19, v18, 16, 1
	v_add3_u32 v60, v18, v19, s46
                                        ; implicit-def: $vgpr18
; %bb.4785:                             ;   in Loop: Header=BB12_4523 Depth=3
	s_andn2_saveexec_b64 s[94:95], s[94:95]
	s_cbranch_execz .LBB12_4787
; %bb.4786:                             ;   in Loop: Header=BB12_4523 Depth=3
	buffer_load_dword v20, off, s[0:3], s33 offset:128 ; 4-byte Folded Reload
	buffer_load_dword v21, off, s[0:3], s33 offset:132 ; 4-byte Folded Reload
	v_or_b32_e32 v19, 0x10000, v18
	s_waitcnt vmcnt(1)
	v_cmp_eq_u32_sdwa vcc, v18, v20 src0_sel:WORD_0 src1_sel:DWORD
	v_cndmask_b32_e32 v60, v19, v18, vcc
.LBB12_4787:                            ;   in Loop: Header=BB12_4523 Depth=3
	s_or_b64 exec, exec, s[94:95]
	v_and_b32_e32 v10, 0xffff0000, v10
	v_mul_f32_e32 v10, v61, v10
	v_and_b32_e32 v18, 0x7f800000, v10
	v_cmp_ne_u32_e32 vcc, s97, v18
                                        ; implicit-def: $vgpr23
	s_and_saveexec_b64 s[94:95], vcc
	s_xor_b64 s[94:95], exec, s[94:95]
; %bb.4788:                             ;   in Loop: Header=BB12_4523 Depth=3
	v_bfe_u32 v18, v10, 16, 1
	v_add3_u32 v23, v10, v18, s46
                                        ; implicit-def: $vgpr10
; %bb.4789:                             ;   in Loop: Header=BB12_4523 Depth=3
	s_andn2_saveexec_b64 s[94:95], s[94:95]
	s_cbranch_execz .LBB12_4791
; %bb.4790:                             ;   in Loop: Header=BB12_4523 Depth=3
	buffer_load_dword v19, off, s[0:3], s33 offset:128 ; 4-byte Folded Reload
	buffer_load_dword v20, off, s[0:3], s33 offset:132 ; 4-byte Folded Reload
	v_or_b32_e32 v18, 0x10000, v10
	s_waitcnt vmcnt(1)
	v_cmp_eq_u32_sdwa vcc, v10, v19 src0_sel:WORD_0 src1_sel:DWORD
	v_cndmask_b32_e32 v23, v18, v10, vcc
.LBB12_4791:                            ;   in Loop: Header=BB12_4523 Depth=3
	s_or_b64 exec, exec, s[94:95]
	v_lshlrev_b32_e32 v10, 16, v11
	v_mul_f32_e32 v18, v61, v10
	v_and_b32_e32 v10, 0x7f800000, v18
	v_cmp_ne_u32_e32 vcc, s97, v10
                                        ; implicit-def: $vgpr10
	s_and_saveexec_b64 s[94:95], vcc
	s_xor_b64 s[94:95], exec, s[94:95]
; %bb.4792:                             ;   in Loop: Header=BB12_4523 Depth=3
	v_bfe_u32 v10, v18, 16, 1
	v_add3_u32 v10, v18, v10, s46
                                        ; implicit-def: $vgpr18
; %bb.4793:                             ;   in Loop: Header=BB12_4523 Depth=3
	s_andn2_saveexec_b64 s[94:95], s[94:95]
	s_cbranch_execz .LBB12_4795
; %bb.4794:                             ;   in Loop: Header=BB12_4523 Depth=3
	buffer_load_dword v19, off, s[0:3], s33 offset:128 ; 4-byte Folded Reload
	buffer_load_dword v20, off, s[0:3], s33 offset:132 ; 4-byte Folded Reload
	v_or_b32_e32 v10, 0x10000, v18
	s_waitcnt vmcnt(1)
	v_cmp_eq_u32_sdwa vcc, v18, v19 src0_sel:WORD_0 src1_sel:DWORD
	v_cndmask_b32_e32 v10, v10, v18, vcc
.LBB12_4795:                            ;   in Loop: Header=BB12_4523 Depth=3
	s_or_b64 exec, exec, s[94:95]
	v_and_b32_e32 v11, 0xffff0000, v11
	v_mul_f32_e32 v11, v61, v11
	v_and_b32_e32 v18, 0x7f800000, v11
	v_cmp_ne_u32_e32 vcc, s97, v18
                                        ; implicit-def: $vgpr21
	s_and_saveexec_b64 s[94:95], vcc
	s_xor_b64 s[94:95], exec, s[94:95]
	s_cbranch_execz .LBB12_4797
; %bb.4796:                             ;   in Loop: Header=BB12_4523 Depth=3
	v_bfe_u32 v18, v11, 16, 1
	s_waitcnt vmcnt(0)
	v_add3_u32 v21, v11, v18, s46
                                        ; implicit-def: $vgpr11
.LBB12_4797:                            ;   in Loop: Header=BB12_4523 Depth=3
	s_andn2_saveexec_b64 s[94:95], s[94:95]
	s_cbranch_execz .LBB12_4799
; %bb.4798:                             ;   in Loop: Header=BB12_4523 Depth=3
	buffer_load_dword v19, off, s[0:3], s33 offset:128 ; 4-byte Folded Reload
	buffer_load_dword v20, off, s[0:3], s33 offset:132 ; 4-byte Folded Reload
	v_or_b32_e32 v18, 0x10000, v11
	s_waitcnt vmcnt(1)
	v_cmp_eq_u32_sdwa vcc, v11, v19 src0_sel:WORD_0 src1_sel:DWORD
	v_cndmask_b32_e32 v21, v18, v11, vcc
.LBB12_4799:                            ;   in Loop: Header=BB12_4523 Depth=3
	s_or_b64 exec, exec, s[94:95]
	v_lshlrev_b32_e32 v11, 16, v12
	v_mul_f32_e32 v11, v61, v11
	v_and_b32_e32 v18, 0x7f800000, v11
	v_cmp_ne_u32_e32 vcc, s97, v18
                                        ; implicit-def: $vgpr22
	s_and_saveexec_b64 s[94:95], vcc
	s_xor_b64 s[94:95], exec, s[94:95]
; %bb.4800:                             ;   in Loop: Header=BB12_4523 Depth=3
	v_bfe_u32 v18, v11, 16, 1
	v_add3_u32 v22, v11, v18, s46
                                        ; implicit-def: $vgpr11
; %bb.4801:                             ;   in Loop: Header=BB12_4523 Depth=3
	s_andn2_saveexec_b64 s[94:95], s[94:95]
	s_cbranch_execz .LBB12_4803
; %bb.4802:                             ;   in Loop: Header=BB12_4523 Depth=3
	buffer_load_dword v19, off, s[0:3], s33 offset:128 ; 4-byte Folded Reload
	buffer_load_dword v20, off, s[0:3], s33 offset:132 ; 4-byte Folded Reload
	v_or_b32_e32 v18, 0x10000, v11
	s_waitcnt vmcnt(1)
	v_cmp_eq_u32_sdwa vcc, v11, v19 src0_sel:WORD_0 src1_sel:DWORD
	v_cndmask_b32_e32 v22, v18, v11, vcc
.LBB12_4803:                            ;   in Loop: Header=BB12_4523 Depth=3
	s_or_b64 exec, exec, s[94:95]
	v_and_b32_e32 v11, 0xffff0000, v12
	v_mul_f32_e32 v11, v61, v11
	v_and_b32_e32 v12, 0x7f800000, v11
	v_cmp_ne_u32_e32 vcc, s97, v12
                                        ; implicit-def: $vgpr19
	s_and_saveexec_b64 s[94:95], vcc
	s_xor_b64 s[94:95], exec, s[94:95]
; %bb.4804:                             ;   in Loop: Header=BB12_4523 Depth=3
	v_bfe_u32 v12, v11, 16, 1
	v_add3_u32 v19, v11, v12, s46
                                        ; implicit-def: $vgpr11
; %bb.4805:                             ;   in Loop: Header=BB12_4523 Depth=3
	s_andn2_saveexec_b64 s[94:95], s[94:95]
	s_cbranch_execz .LBB12_4807
; %bb.4806:                             ;   in Loop: Header=BB12_4523 Depth=3
	buffer_load_dword v18, off, s[0:3], s33 offset:128 ; 4-byte Folded Reload
	buffer_load_dword v19, off, s[0:3], s33 offset:132 ; 4-byte Folded Reload
	v_or_b32_e32 v12, 0x10000, v11
	s_waitcnt vmcnt(1)
	v_cmp_eq_u32_sdwa vcc, v11, v18 src0_sel:WORD_0 src1_sel:DWORD
	s_waitcnt vmcnt(0)
	v_cndmask_b32_e32 v19, v12, v11, vcc
.LBB12_4807:                            ;   in Loop: Header=BB12_4523 Depth=3
	s_or_b64 exec, exec, s[94:95]
	v_lshlrev_b32_e32 v11, 16, v13
	v_mul_f32_e32 v11, v61, v11
	v_and_b32_e32 v12, 0x7f800000, v11
	v_cmp_ne_u32_e32 vcc, s97, v12
                                        ; implicit-def: $vgpr20
	s_and_saveexec_b64 s[94:95], vcc
	s_xor_b64 s[94:95], exec, s[94:95]
	s_cbranch_execz .LBB12_4809
; %bb.4808:                             ;   in Loop: Header=BB12_4523 Depth=3
	v_bfe_u32 v12, v11, 16, 1
	s_waitcnt vmcnt(0)
	v_add3_u32 v20, v11, v12, s46
                                        ; implicit-def: $vgpr11
.LBB12_4809:                            ;   in Loop: Header=BB12_4523 Depth=3
	s_andn2_saveexec_b64 s[94:95], s[94:95]
	s_cbranch_execz .LBB12_4811
; %bb.4810:                             ;   in Loop: Header=BB12_4523 Depth=3
	buffer_load_dword v24, off, s[0:3], s33 offset:128 ; 4-byte Folded Reload
	buffer_load_dword v25, off, s[0:3], s33 offset:132 ; 4-byte Folded Reload
	v_or_b32_e32 v12, 0x10000, v11
	s_waitcnt vmcnt(1)
	v_cmp_eq_u32_sdwa vcc, v11, v24 src0_sel:WORD_0 src1_sel:DWORD
	v_cndmask_b32_e32 v20, v12, v11, vcc
.LBB12_4811:                            ;   in Loop: Header=BB12_4523 Depth=3
	s_or_b64 exec, exec, s[94:95]
	v_and_b32_e32 v11, 0xffff0000, v13
	v_mul_f32_e32 v11, v61, v11
	v_and_b32_e32 v12, 0x7f800000, v11
	v_cmp_ne_u32_e32 vcc, s97, v12
                                        ; implicit-def: $vgpr13
	s_and_saveexec_b64 s[94:95], vcc
	s_xor_b64 s[94:95], exec, s[94:95]
; %bb.4812:                             ;   in Loop: Header=BB12_4523 Depth=3
	v_bfe_u32 v12, v11, 16, 1
	v_add3_u32 v13, v11, v12, s46
                                        ; implicit-def: $vgpr11
; %bb.4813:                             ;   in Loop: Header=BB12_4523 Depth=3
	s_andn2_saveexec_b64 s[94:95], s[94:95]
	s_cbranch_execz .LBB12_4815
; %bb.4814:                             ;   in Loop: Header=BB12_4523 Depth=3
	buffer_load_dword v24, off, s[0:3], s33 offset:128 ; 4-byte Folded Reload
	buffer_load_dword v25, off, s[0:3], s33 offset:132 ; 4-byte Folded Reload
	v_or_b32_e32 v12, 0x10000, v11
	s_waitcnt vmcnt(1)
	v_cmp_eq_u32_sdwa vcc, v11, v24 src0_sel:WORD_0 src1_sel:DWORD
	v_cndmask_b32_e32 v13, v12, v11, vcc
.LBB12_4815:                            ;   in Loop: Header=BB12_4523 Depth=3
	s_or_b64 exec, exec, s[94:95]
	v_lshlrev_b32_e32 v11, 16, v6
	v_mul_f32_e32 v11, v61, v11
	v_and_b32_e32 v12, 0x7f800000, v11
	v_cmp_ne_u32_e32 vcc, s97, v12
                                        ; implicit-def: $vgpr18
	s_and_saveexec_b64 s[94:95], vcc
	s_xor_b64 s[94:95], exec, s[94:95]
; %bb.4816:                             ;   in Loop: Header=BB12_4523 Depth=3
	v_bfe_u32 v12, v11, 16, 1
	v_add3_u32 v18, v11, v12, s46
                                        ; implicit-def: $vgpr11
; %bb.4817:                             ;   in Loop: Header=BB12_4523 Depth=3
	s_andn2_saveexec_b64 s[94:95], s[94:95]
	s_cbranch_execz .LBB12_4819
; %bb.4818:                             ;   in Loop: Header=BB12_4523 Depth=3
	buffer_load_dword v24, off, s[0:3], s33 offset:128 ; 4-byte Folded Reload
	buffer_load_dword v25, off, s[0:3], s33 offset:132 ; 4-byte Folded Reload
	v_or_b32_e32 v12, 0x10000, v11
	s_waitcnt vmcnt(1)
	v_cmp_eq_u32_sdwa vcc, v11, v24 src0_sel:WORD_0 src1_sel:DWORD
	v_cndmask_b32_e32 v18, v12, v11, vcc
.LBB12_4819:                            ;   in Loop: Header=BB12_4523 Depth=3
	s_or_b64 exec, exec, s[94:95]
	v_and_b32_e32 v6, 0xffff0000, v6
	v_mul_f32_e32 v6, v61, v6
	v_and_b32_e32 v11, 0x7f800000, v6
	v_cmp_ne_u32_e32 vcc, s97, v11
                                        ; implicit-def: $vgpr11
	s_and_saveexec_b64 s[94:95], vcc
	s_xor_b64 s[94:95], exec, s[94:95]
; %bb.4820:                             ;   in Loop: Header=BB12_4523 Depth=3
	v_bfe_u32 v11, v6, 16, 1
	v_add3_u32 v11, v6, v11, s46
                                        ; implicit-def: $vgpr6
; %bb.4821:                             ;   in Loop: Header=BB12_4523 Depth=3
	s_andn2_saveexec_b64 s[94:95], s[94:95]
	s_cbranch_execz .LBB12_4823
; %bb.4822:                             ;   in Loop: Header=BB12_4523 Depth=3
	buffer_load_dword v24, off, s[0:3], s33 offset:128 ; 4-byte Folded Reload
	buffer_load_dword v25, off, s[0:3], s33 offset:132 ; 4-byte Folded Reload
	v_or_b32_e32 v11, 0x10000, v6
	s_waitcnt vmcnt(1)
	v_cmp_eq_u32_sdwa vcc, v6, v24 src0_sel:WORD_0 src1_sel:DWORD
	v_cndmask_b32_e32 v11, v11, v6, vcc
.LBB12_4823:                            ;   in Loop: Header=BB12_4523 Depth=3
	s_or_b64 exec, exec, s[94:95]
	v_lshlrev_b32_e32 v6, 16, v7
	v_mul_f32_e32 v6, v61, v6
	v_and_b32_e32 v12, 0x7f800000, v6
	v_cmp_ne_u32_e32 vcc, s97, v12
                                        ; implicit-def: $vgpr12
	s_and_saveexec_b64 s[94:95], vcc
	s_xor_b64 s[94:95], exec, s[94:95]
; %bb.4824:                             ;   in Loop: Header=BB12_4523 Depth=3
	v_bfe_u32 v12, v6, 16, 1
	v_add3_u32 v12, v6, v12, s46
                                        ; implicit-def: $vgpr6
; %bb.4825:                             ;   in Loop: Header=BB12_4523 Depth=3
	s_andn2_saveexec_b64 s[94:95], s[94:95]
	s_cbranch_execz .LBB12_4827
; %bb.4826:                             ;   in Loop: Header=BB12_4523 Depth=3
	buffer_load_dword v24, off, s[0:3], s33 offset:128 ; 4-byte Folded Reload
	buffer_load_dword v25, off, s[0:3], s33 offset:132 ; 4-byte Folded Reload
	v_or_b32_e32 v12, 0x10000, v6
	s_waitcnt vmcnt(1)
	v_cmp_eq_u32_sdwa vcc, v6, v24 src0_sel:WORD_0 src1_sel:DWORD
	v_cndmask_b32_e32 v12, v12, v6, vcc
.LBB12_4827:                            ;   in Loop: Header=BB12_4523 Depth=3
	s_or_b64 exec, exec, s[94:95]
	v_and_b32_e32 v6, 0xffff0000, v7
	v_mul_f32_e32 v6, v61, v6
	v_and_b32_e32 v7, 0x7f800000, v6
	v_cmp_ne_u32_e32 vcc, s97, v7
                                        ; implicit-def: $vgpr7
	s_and_saveexec_b64 s[94:95], vcc
	s_xor_b64 s[94:95], exec, s[94:95]
; %bb.4828:                             ;   in Loop: Header=BB12_4523 Depth=3
	v_bfe_u32 v7, v6, 16, 1
	v_add3_u32 v7, v6, v7, s46
                                        ; implicit-def: $vgpr6
; %bb.4829:                             ;   in Loop: Header=BB12_4523 Depth=3
	s_andn2_saveexec_b64 s[94:95], s[94:95]
	s_cbranch_execz .LBB12_4831
; %bb.4830:                             ;   in Loop: Header=BB12_4523 Depth=3
	buffer_load_dword v24, off, s[0:3], s33 offset:128 ; 4-byte Folded Reload
	buffer_load_dword v25, off, s[0:3], s33 offset:132 ; 4-byte Folded Reload
	v_or_b32_e32 v7, 0x10000, v6
	s_waitcnt vmcnt(1)
	v_cmp_eq_u32_sdwa vcc, v6, v24 src0_sel:WORD_0 src1_sel:DWORD
	v_cndmask_b32_e32 v7, v7, v6, vcc
.LBB12_4831:                            ;   in Loop: Header=BB12_4523 Depth=3
	s_or_b64 exec, exec, s[94:95]
	v_lshlrev_b32_e32 v6, 16, v8
	v_mul_f32_e32 v24, v61, v6
	v_and_b32_e32 v6, 0x7f800000, v24
	v_cmp_ne_u32_e32 vcc, s97, v6
                                        ; implicit-def: $vgpr6
	s_and_saveexec_b64 s[94:95], vcc
	s_xor_b64 s[94:95], exec, s[94:95]
; %bb.4832:                             ;   in Loop: Header=BB12_4523 Depth=3
	v_bfe_u32 v6, v24, 16, 1
	v_add3_u32 v6, v24, v6, s46
                                        ; implicit-def: $vgpr24
; %bb.4833:                             ;   in Loop: Header=BB12_4523 Depth=3
	s_andn2_saveexec_b64 s[94:95], s[94:95]
	s_cbranch_execz .LBB12_4835
; %bb.4834:                             ;   in Loop: Header=BB12_4523 Depth=3
	buffer_load_dword v25, off, s[0:3], s33 offset:128 ; 4-byte Folded Reload
	buffer_load_dword v26, off, s[0:3], s33 offset:132 ; 4-byte Folded Reload
	v_or_b32_e32 v6, 0x10000, v24
	s_waitcnt vmcnt(1)
	v_cmp_eq_u32_sdwa vcc, v24, v25 src0_sel:WORD_0 src1_sel:DWORD
	v_cndmask_b32_e32 v6, v6, v24, vcc
.LBB12_4835:                            ;   in Loop: Header=BB12_4523 Depth=3
	s_or_b64 exec, exec, s[94:95]
	v_and_b32_e32 v8, 0xffff0000, v8
	v_mul_f32_e32 v24, v61, v8
	v_and_b32_e32 v8, 0x7f800000, v24
	v_cmp_ne_u32_e32 vcc, s97, v8
                                        ; implicit-def: $vgpr8
	s_and_saveexec_b64 s[94:95], vcc
	s_xor_b64 s[94:95], exec, s[94:95]
; %bb.4836:                             ;   in Loop: Header=BB12_4523 Depth=3
	v_bfe_u32 v8, v24, 16, 1
	v_add3_u32 v8, v24, v8, s46
                                        ; implicit-def: $vgpr24
; %bb.4837:                             ;   in Loop: Header=BB12_4523 Depth=3
	s_andn2_saveexec_b64 s[94:95], s[94:95]
	s_cbranch_execz .LBB12_4839
; %bb.4838:                             ;   in Loop: Header=BB12_4523 Depth=3
	buffer_load_dword v25, off, s[0:3], s33 offset:128 ; 4-byte Folded Reload
	buffer_load_dword v26, off, s[0:3], s33 offset:132 ; 4-byte Folded Reload
	v_or_b32_e32 v8, 0x10000, v24
	s_waitcnt vmcnt(1)
	v_cmp_eq_u32_sdwa vcc, v24, v25 src0_sel:WORD_0 src1_sel:DWORD
	v_cndmask_b32_e32 v8, v8, v24, vcc
.LBB12_4839:                            ;   in Loop: Header=BB12_4523 Depth=3
	s_or_b64 exec, exec, s[94:95]
	v_lshlrev_b32_e32 v24, 16, v9
	v_mul_f32_e32 v24, v61, v24
	s_waitcnt vmcnt(0)
	v_and_b32_e32 v25, 0x7f800000, v24
	v_cmp_ne_u32_e32 vcc, s97, v25
                                        ; implicit-def: $vgpr25
                                        ; kill: killed $vgpr25
	s_and_saveexec_b64 s[94:95], vcc
	s_xor_b64 s[94:95], exec, s[94:95]
	s_cbranch_execz .LBB12_4841
; %bb.4840:                             ;   in Loop: Header=BB12_4523 Depth=3
	v_bfe_u32 v25, v24, 16, 1
	v_add3_u32 v24, v24, v25, s46
	buffer_store_dword v24, off, s[0:3], s33 offset:368 ; 4-byte Folded Spill
                                        ; implicit-def: $vgpr24
.LBB12_4841:                            ;   in Loop: Header=BB12_4523 Depth=3
	s_andn2_saveexec_b64 s[94:95], s[94:95]
	s_cbranch_execz .LBB12_4843
; %bb.4842:                             ;   in Loop: Header=BB12_4523 Depth=3
	buffer_load_dword v26, off, s[0:3], s33 offset:128 ; 4-byte Folded Reload
	buffer_load_dword v27, off, s[0:3], s33 offset:132 ; 4-byte Folded Reload
	v_or_b32_e32 v25, 0x10000, v24
	s_waitcnt vmcnt(1)
	v_cmp_eq_u32_sdwa vcc, v24, v26 src0_sel:WORD_0 src1_sel:DWORD
	v_cndmask_b32_e32 v24, v25, v24, vcc
	buffer_store_dword v24, off, s[0:3], s33 offset:368 ; 4-byte Folded Spill
.LBB12_4843:                            ;   in Loop: Header=BB12_4523 Depth=3
	s_or_b64 exec, exec, s[94:95]
	v_and_b32_e32 v9, 0xffff0000, v9
	v_mul_f32_e32 v24, v61, v9
	v_and_b32_e32 v9, 0x7f800000, v24
	v_cmp_ne_u32_e32 vcc, s97, v9
                                        ; implicit-def: $vgpr9
	s_and_saveexec_b64 s[94:95], vcc
	s_xor_b64 s[94:95], exec, s[94:95]
; %bb.4844:                             ;   in Loop: Header=BB12_4523 Depth=3
	v_bfe_u32 v9, v24, 16, 1
	v_add3_u32 v9, v24, v9, s46
                                        ; implicit-def: $vgpr24
; %bb.4845:                             ;   in Loop: Header=BB12_4523 Depth=3
	s_andn2_saveexec_b64 s[94:95], s[94:95]
	s_cbranch_execz .LBB12_4847
; %bb.4846:                             ;   in Loop: Header=BB12_4523 Depth=3
	buffer_load_dword v25, off, s[0:3], s33 offset:128 ; 4-byte Folded Reload
	buffer_load_dword v26, off, s[0:3], s33 offset:132 ; 4-byte Folded Reload
	v_or_b32_e32 v9, 0x10000, v24
	s_waitcnt vmcnt(1)
	v_cmp_eq_u32_sdwa vcc, v24, v25 src0_sel:WORD_0 src1_sel:DWORD
	v_cndmask_b32_e32 v9, v9, v24, vcc
.LBB12_4847:                            ;   in Loop: Header=BB12_4523 Depth=3
	s_or_b64 exec, exec, s[94:95]
	v_lshlrev_b32_e32 v24, 16, v2
	v_mul_f32_e32 v24, v61, v24
	v_and_b32_e32 v25, 0x7f800000, v24
	v_cmp_ne_u32_e32 vcc, s97, v25
                                        ; implicit-def: $vgpr25
                                        ; kill: killed $vgpr25
	s_and_saveexec_b64 s[94:95], vcc
	s_xor_b64 s[94:95], exec, s[94:95]
	s_cbranch_execz .LBB12_4849
; %bb.4848:                             ;   in Loop: Header=BB12_4523 Depth=3
	v_bfe_u32 v25, v24, 16, 1
	v_add3_u32 v24, v24, v25, s46
	buffer_store_dword v24, off, s[0:3], s33 offset:364 ; 4-byte Folded Spill
                                        ; implicit-def: $vgpr24
.LBB12_4849:                            ;   in Loop: Header=BB12_4523 Depth=3
	s_andn2_saveexec_b64 s[94:95], s[94:95]
	s_cbranch_execz .LBB12_4851
; %bb.4850:                             ;   in Loop: Header=BB12_4523 Depth=3
	buffer_load_dword v26, off, s[0:3], s33 offset:128 ; 4-byte Folded Reload
	buffer_load_dword v27, off, s[0:3], s33 offset:132 ; 4-byte Folded Reload
	v_or_b32_e32 v25, 0x10000, v24
	s_waitcnt vmcnt(1)
	v_cmp_eq_u32_sdwa vcc, v24, v26 src0_sel:WORD_0 src1_sel:DWORD
	v_cndmask_b32_e32 v24, v25, v24, vcc
	buffer_store_dword v24, off, s[0:3], s33 offset:364 ; 4-byte Folded Spill
.LBB12_4851:                            ;   in Loop: Header=BB12_4523 Depth=3
	s_or_b64 exec, exec, s[94:95]
	v_and_b32_e32 v2, 0xffff0000, v2
	v_mul_f32_e32 v2, v61, v2
	v_and_b32_e32 v24, 0x7f800000, v2
	v_cmp_ne_u32_e32 vcc, s97, v24
                                        ; implicit-def: $vgpr24
                                        ; kill: killed $vgpr24
	s_and_saveexec_b64 s[94:95], vcc
	s_xor_b64 s[94:95], exec, s[94:95]
	s_cbranch_execz .LBB12_4853
; %bb.4852:                             ;   in Loop: Header=BB12_4523 Depth=3
	v_bfe_u32 v24, v2, 16, 1
	v_add3_u32 v2, v2, v24, s46
	buffer_store_dword v2, off, s[0:3], s33 offset:360 ; 4-byte Folded Spill
                                        ; implicit-def: $vgpr2
.LBB12_4853:                            ;   in Loop: Header=BB12_4523 Depth=3
	s_andn2_saveexec_b64 s[94:95], s[94:95]
	s_cbranch_execz .LBB12_4855
; %bb.4854:                             ;   in Loop: Header=BB12_4523 Depth=3
	buffer_load_dword v25, off, s[0:3], s33 offset:128 ; 4-byte Folded Reload
	buffer_load_dword v26, off, s[0:3], s33 offset:132 ; 4-byte Folded Reload
	v_or_b32_e32 v24, 0x10000, v2
	s_waitcnt vmcnt(1)
	v_cmp_eq_u32_sdwa vcc, v2, v25 src0_sel:WORD_0 src1_sel:DWORD
	v_cndmask_b32_e32 v2, v24, v2, vcc
	buffer_store_dword v2, off, s[0:3], s33 offset:360 ; 4-byte Folded Spill
.LBB12_4855:                            ;   in Loop: Header=BB12_4523 Depth=3
	s_or_b64 exec, exec, s[94:95]
	v_lshlrev_b32_e32 v2, 16, v3
	v_mul_f32_e32 v24, v61, v2
	v_and_b32_e32 v2, 0x7f800000, v24
	v_cmp_ne_u32_e32 vcc, s97, v2
                                        ; implicit-def: $vgpr2
	s_and_saveexec_b64 s[94:95], vcc
	s_xor_b64 s[94:95], exec, s[94:95]
; %bb.4856:                             ;   in Loop: Header=BB12_4523 Depth=3
	v_bfe_u32 v2, v24, 16, 1
	v_add3_u32 v2, v24, v2, s46
                                        ; implicit-def: $vgpr24
; %bb.4857:                             ;   in Loop: Header=BB12_4523 Depth=3
	s_andn2_saveexec_b64 s[94:95], s[94:95]
	s_cbranch_execz .LBB12_4859
; %bb.4858:                             ;   in Loop: Header=BB12_4523 Depth=3
	buffer_load_dword v25, off, s[0:3], s33 offset:128 ; 4-byte Folded Reload
	buffer_load_dword v26, off, s[0:3], s33 offset:132 ; 4-byte Folded Reload
	v_or_b32_e32 v2, 0x10000, v24
	s_waitcnt vmcnt(1)
	v_cmp_eq_u32_sdwa vcc, v24, v25 src0_sel:WORD_0 src1_sel:DWORD
	v_cndmask_b32_e32 v2, v2, v24, vcc
.LBB12_4859:                            ;   in Loop: Header=BB12_4523 Depth=3
	s_or_b64 exec, exec, s[94:95]
	v_and_b32_e32 v3, 0xffff0000, v3
	v_mul_f32_e32 v24, v61, v3
	v_and_b32_e32 v3, 0x7f800000, v24
	v_cmp_ne_u32_e32 vcc, s97, v3
                                        ; implicit-def: $vgpr3
	s_and_saveexec_b64 s[94:95], vcc
	s_xor_b64 s[94:95], exec, s[94:95]
; %bb.4860:                             ;   in Loop: Header=BB12_4523 Depth=3
	v_bfe_u32 v3, v24, 16, 1
	v_add3_u32 v3, v24, v3, s46
                                        ; implicit-def: $vgpr24
; %bb.4861:                             ;   in Loop: Header=BB12_4523 Depth=3
	s_andn2_saveexec_b64 s[94:95], s[94:95]
	s_cbranch_execz .LBB12_4863
; %bb.4862:                             ;   in Loop: Header=BB12_4523 Depth=3
	buffer_load_dword v25, off, s[0:3], s33 offset:128 ; 4-byte Folded Reload
	buffer_load_dword v26, off, s[0:3], s33 offset:132 ; 4-byte Folded Reload
	v_or_b32_e32 v3, 0x10000, v24
	s_waitcnt vmcnt(1)
	v_cmp_eq_u32_sdwa vcc, v24, v25 src0_sel:WORD_0 src1_sel:DWORD
	v_cndmask_b32_e32 v3, v3, v24, vcc
.LBB12_4863:                            ;   in Loop: Header=BB12_4523 Depth=3
	s_or_b64 exec, exec, s[94:95]
	v_lshlrev_b32_e32 v24, 16, v4
	v_mul_f32_e32 v24, v61, v24
	v_and_b32_e32 v25, 0x7f800000, v24
	v_cmp_ne_u32_e32 vcc, s97, v25
                                        ; implicit-def: $vgpr25
                                        ; kill: killed $vgpr25
	s_and_saveexec_b64 s[94:95], vcc
	s_xor_b64 s[94:95], exec, s[94:95]
	s_cbranch_execz .LBB12_4865
; %bb.4864:                             ;   in Loop: Header=BB12_4523 Depth=3
	v_bfe_u32 v25, v24, 16, 1
	v_add3_u32 v24, v24, v25, s46
	buffer_store_dword v24, off, s[0:3], s33 offset:356 ; 4-byte Folded Spill
                                        ; implicit-def: $vgpr24
.LBB12_4865:                            ;   in Loop: Header=BB12_4523 Depth=3
	s_andn2_saveexec_b64 s[94:95], s[94:95]
	s_cbranch_execz .LBB12_4867
; %bb.4866:                             ;   in Loop: Header=BB12_4523 Depth=3
	buffer_load_dword v26, off, s[0:3], s33 offset:128 ; 4-byte Folded Reload
	buffer_load_dword v27, off, s[0:3], s33 offset:132 ; 4-byte Folded Reload
	v_or_b32_e32 v25, 0x10000, v24
	s_waitcnt vmcnt(1)
	v_cmp_eq_u32_sdwa vcc, v24, v26 src0_sel:WORD_0 src1_sel:DWORD
	v_cndmask_b32_e32 v24, v25, v24, vcc
	buffer_store_dword v24, off, s[0:3], s33 offset:356 ; 4-byte Folded Spill
.LBB12_4867:                            ;   in Loop: Header=BB12_4523 Depth=3
	s_or_b64 exec, exec, s[94:95]
	v_and_b32_e32 v4, 0xffff0000, v4
	v_mul_f32_e32 v24, v61, v4
	v_and_b32_e32 v4, 0x7f800000, v24
	v_cmp_ne_u32_e32 vcc, s97, v4
                                        ; implicit-def: $vgpr4
	s_and_saveexec_b64 s[94:95], vcc
	s_xor_b64 s[94:95], exec, s[94:95]
; %bb.4868:                             ;   in Loop: Header=BB12_4523 Depth=3
	v_bfe_u32 v4, v24, 16, 1
	v_add3_u32 v4, v24, v4, s46
                                        ; implicit-def: $vgpr24
; %bb.4869:                             ;   in Loop: Header=BB12_4523 Depth=3
	s_andn2_saveexec_b64 s[94:95], s[94:95]
	s_cbranch_execz .LBB12_4871
; %bb.4870:                             ;   in Loop: Header=BB12_4523 Depth=3
	buffer_load_dword v25, off, s[0:3], s33 offset:128 ; 4-byte Folded Reload
	buffer_load_dword v26, off, s[0:3], s33 offset:132 ; 4-byte Folded Reload
	v_or_b32_e32 v4, 0x10000, v24
	s_waitcnt vmcnt(1)
	v_cmp_eq_u32_sdwa vcc, v24, v25 src0_sel:WORD_0 src1_sel:DWORD
	v_cndmask_b32_e32 v4, v4, v24, vcc
.LBB12_4871:                            ;   in Loop: Header=BB12_4523 Depth=3
	s_or_b64 exec, exec, s[94:95]
	v_lshlrev_b32_e32 v24, 16, v5
	v_mul_f32_e32 v24, v61, v24
	v_and_b32_e32 v25, 0x7f800000, v24
	v_cmp_ne_u32_e32 vcc, s97, v25
                                        ; implicit-def: $vgpr25
                                        ; kill: killed $vgpr25
	s_and_saveexec_b64 s[94:95], vcc
	s_xor_b64 s[94:95], exec, s[94:95]
	s_cbranch_execz .LBB12_4873
; %bb.4872:                             ;   in Loop: Header=BB12_4523 Depth=3
	v_bfe_u32 v25, v24, 16, 1
	v_add3_u32 v24, v24, v25, s46
	buffer_store_dword v24, off, s[0:3], s33 offset:352 ; 4-byte Folded Spill
                                        ; implicit-def: $vgpr24
.LBB12_4873:                            ;   in Loop: Header=BB12_4523 Depth=3
	s_andn2_saveexec_b64 s[94:95], s[94:95]
	s_cbranch_execz .LBB12_4875
; %bb.4874:                             ;   in Loop: Header=BB12_4523 Depth=3
	buffer_load_dword v26, off, s[0:3], s33 offset:128 ; 4-byte Folded Reload
	buffer_load_dword v27, off, s[0:3], s33 offset:132 ; 4-byte Folded Reload
	v_or_b32_e32 v25, 0x10000, v24
	s_waitcnt vmcnt(1)
	v_cmp_eq_u32_sdwa vcc, v24, v26 src0_sel:WORD_0 src1_sel:DWORD
	v_cndmask_b32_e32 v24, v25, v24, vcc
	buffer_store_dword v24, off, s[0:3], s33 offset:352 ; 4-byte Folded Spill
.LBB12_4875:                            ;   in Loop: Header=BB12_4523 Depth=3
	s_or_b64 exec, exec, s[94:95]
	v_and_b32_e32 v5, 0xffff0000, v5
	v_mul_f32_e32 v24, v61, v5
	v_and_b32_e32 v5, 0x7f800000, v24
	v_cmp_ne_u32_e32 vcc, s97, v5
                                        ; implicit-def: $vgpr5
	s_and_saveexec_b64 s[94:95], vcc
	s_xor_b64 s[94:95], exec, s[94:95]
; %bb.4876:                             ;   in Loop: Header=BB12_4523 Depth=3
	v_bfe_u32 v5, v24, 16, 1
	v_add3_u32 v5, v24, v5, s46
                                        ; implicit-def: $vgpr24
; %bb.4877:                             ;   in Loop: Header=BB12_4523 Depth=3
	s_andn2_saveexec_b64 s[94:95], s[94:95]
	s_cbranch_execz .LBB12_4879
; %bb.4878:                             ;   in Loop: Header=BB12_4523 Depth=3
	buffer_load_dword v25, off, s[0:3], s33 offset:128 ; 4-byte Folded Reload
	buffer_load_dword v26, off, s[0:3], s33 offset:132 ; 4-byte Folded Reload
	v_or_b32_e32 v5, 0x10000, v24
	s_waitcnt vmcnt(1)
	v_cmp_eq_u32_sdwa vcc, v24, v25 src0_sel:WORD_0 src1_sel:DWORD
	v_cndmask_b32_e32 v5, v5, v24, vcc
.LBB12_4879:                            ;   in Loop: Header=BB12_4523 Depth=3
	s_or_b64 exec, exec, s[94:95]
	v_lshlrev_b32_e32 v24, 16, v56
	v_mul_f32_e32 v24, v61, v24
	v_and_b32_e32 v25, 0x7f800000, v24
	v_cmp_ne_u32_e32 vcc, s97, v25
                                        ; implicit-def: $vgpr25
                                        ; kill: killed $vgpr25
	s_and_saveexec_b64 s[94:95], vcc
	s_xor_b64 s[94:95], exec, s[94:95]
	s_cbranch_execz .LBB12_4881
; %bb.4880:                             ;   in Loop: Header=BB12_4523 Depth=3
	v_bfe_u32 v25, v24, 16, 1
	v_add3_u32 v24, v24, v25, s46
	buffer_store_dword v24, off, s[0:3], s33 offset:344 ; 4-byte Folded Spill
                                        ; implicit-def: $vgpr24
.LBB12_4881:                            ;   in Loop: Header=BB12_4523 Depth=3
	s_andn2_saveexec_b64 s[94:95], s[94:95]
	s_cbranch_execz .LBB12_4883
; %bb.4882:                             ;   in Loop: Header=BB12_4523 Depth=3
	buffer_load_dword v26, off, s[0:3], s33 offset:128 ; 4-byte Folded Reload
	buffer_load_dword v27, off, s[0:3], s33 offset:132 ; 4-byte Folded Reload
	v_or_b32_e32 v25, 0x10000, v24
	s_waitcnt vmcnt(1)
	v_cmp_eq_u32_sdwa vcc, v24, v26 src0_sel:WORD_0 src1_sel:DWORD
	v_cndmask_b32_e32 v24, v25, v24, vcc
	buffer_store_dword v24, off, s[0:3], s33 offset:344 ; 4-byte Folded Spill
.LBB12_4883:                            ;   in Loop: Header=BB12_4523 Depth=3
	s_or_b64 exec, exec, s[94:95]
	v_and_b32_e32 v24, 0xffff0000, v56
	v_mul_f32_e32 v24, v61, v24
	v_and_b32_e32 v25, 0x7f800000, v24
	v_cmp_ne_u32_e32 vcc, s97, v25
                                        ; implicit-def: $vgpr25
                                        ; kill: killed $vgpr25
	s_and_saveexec_b64 s[94:95], vcc
	s_xor_b64 s[94:95], exec, s[94:95]
	s_cbranch_execz .LBB12_4885
; %bb.4884:                             ;   in Loop: Header=BB12_4523 Depth=3
	v_bfe_u32 v25, v24, 16, 1
	v_add3_u32 v24, v24, v25, s46
	buffer_store_dword v24, off, s[0:3], s33 offset:340 ; 4-byte Folded Spill
                                        ; implicit-def: $vgpr24
.LBB12_4885:                            ;   in Loop: Header=BB12_4523 Depth=3
	s_andn2_saveexec_b64 s[94:95], s[94:95]
	s_cbranch_execz .LBB12_4887
; %bb.4886:                             ;   in Loop: Header=BB12_4523 Depth=3
	buffer_load_dword v26, off, s[0:3], s33 offset:128 ; 4-byte Folded Reload
	buffer_load_dword v27, off, s[0:3], s33 offset:132 ; 4-byte Folded Reload
	v_or_b32_e32 v25, 0x10000, v24
	s_waitcnt vmcnt(1)
	v_cmp_eq_u32_sdwa vcc, v24, v26 src0_sel:WORD_0 src1_sel:DWORD
	v_cndmask_b32_e32 v24, v25, v24, vcc
	buffer_store_dword v24, off, s[0:3], s33 offset:340 ; 4-byte Folded Spill
.LBB12_4887:                            ;   in Loop: Header=BB12_4523 Depth=3
	s_or_b64 exec, exec, s[94:95]
	v_lshlrev_b32_e32 v24, 16, v57
	v_mul_f32_e32 v24, v61, v24
	v_and_b32_e32 v25, 0x7f800000, v24
	v_cmp_ne_u32_e32 vcc, s97, v25
                                        ; implicit-def: $vgpr56
	s_and_saveexec_b64 s[94:95], vcc
	s_xor_b64 s[94:95], exec, s[94:95]
; %bb.4888:                             ;   in Loop: Header=BB12_4523 Depth=3
	v_bfe_u32 v25, v24, 16, 1
	v_add3_u32 v56, v24, v25, s46
                                        ; implicit-def: $vgpr24
; %bb.4889:                             ;   in Loop: Header=BB12_4523 Depth=3
	s_andn2_saveexec_b64 s[94:95], s[94:95]
	s_cbranch_execz .LBB12_4891
; %bb.4890:                             ;   in Loop: Header=BB12_4523 Depth=3
	buffer_load_dword v26, off, s[0:3], s33 offset:128 ; 4-byte Folded Reload
	buffer_load_dword v27, off, s[0:3], s33 offset:132 ; 4-byte Folded Reload
	v_or_b32_e32 v25, 0x10000, v24
	s_waitcnt vmcnt(1)
	v_cmp_eq_u32_sdwa vcc, v24, v26 src0_sel:WORD_0 src1_sel:DWORD
	v_cndmask_b32_e32 v56, v25, v24, vcc
.LBB12_4891:                            ;   in Loop: Header=BB12_4523 Depth=3
	s_or_b64 exec, exec, s[94:95]
	v_and_b32_e32 v24, 0xffff0000, v57
	v_mul_f32_e32 v24, v61, v24
	v_and_b32_e32 v25, 0x7f800000, v24
	v_cmp_ne_u32_e32 vcc, s97, v25
                                        ; implicit-def: $vgpr25
                                        ; kill: killed $vgpr25
	s_and_saveexec_b64 s[94:95], vcc
	s_xor_b64 s[94:95], exec, s[94:95]
	s_cbranch_execz .LBB12_4893
; %bb.4892:                             ;   in Loop: Header=BB12_4523 Depth=3
	v_bfe_u32 v25, v24, 16, 1
	v_add3_u32 v24, v24, v25, s46
	buffer_store_dword v24, off, s[0:3], s33 offset:332 ; 4-byte Folded Spill
                                        ; implicit-def: $vgpr24
.LBB12_4893:                            ;   in Loop: Header=BB12_4523 Depth=3
	s_andn2_saveexec_b64 s[94:95], s[94:95]
	s_cbranch_execz .LBB12_4895
; %bb.4894:                             ;   in Loop: Header=BB12_4523 Depth=3
	buffer_load_dword v26, off, s[0:3], s33 offset:128 ; 4-byte Folded Reload
	buffer_load_dword v27, off, s[0:3], s33 offset:132 ; 4-byte Folded Reload
	v_or_b32_e32 v25, 0x10000, v24
	s_waitcnt vmcnt(1)
	v_cmp_eq_u32_sdwa vcc, v24, v26 src0_sel:WORD_0 src1_sel:DWORD
	v_cndmask_b32_e32 v24, v25, v24, vcc
	buffer_store_dword v24, off, s[0:3], s33 offset:332 ; 4-byte Folded Spill
.LBB12_4895:                            ;   in Loop: Header=BB12_4523 Depth=3
	s_or_b64 exec, exec, s[94:95]
	v_lshlrev_b32_e32 v24, 16, v58
	v_mul_f32_e32 v24, v61, v24
	v_and_b32_e32 v25, 0x7f800000, v24
	v_cmp_ne_u32_e32 vcc, s97, v25
                                        ; implicit-def: $vgpr57
	s_and_saveexec_b64 s[94:95], vcc
	s_xor_b64 s[94:95], exec, s[94:95]
; %bb.4896:                             ;   in Loop: Header=BB12_4523 Depth=3
	v_bfe_u32 v25, v24, 16, 1
	v_add3_u32 v57, v24, v25, s46
                                        ; implicit-def: $vgpr24
; %bb.4897:                             ;   in Loop: Header=BB12_4523 Depth=3
	s_andn2_saveexec_b64 s[94:95], s[94:95]
	s_cbranch_execz .LBB12_4899
; %bb.4898:                             ;   in Loop: Header=BB12_4523 Depth=3
	buffer_load_dword v26, off, s[0:3], s33 offset:128 ; 4-byte Folded Reload
	buffer_load_dword v27, off, s[0:3], s33 offset:132 ; 4-byte Folded Reload
	v_or_b32_e32 v25, 0x10000, v24
	s_waitcnt vmcnt(1)
	v_cmp_eq_u32_sdwa vcc, v24, v26 src0_sel:WORD_0 src1_sel:DWORD
	v_cndmask_b32_e32 v57, v25, v24, vcc
.LBB12_4899:                            ;   in Loop: Header=BB12_4523 Depth=3
	s_or_b64 exec, exec, s[94:95]
	v_and_b32_e32 v24, 0xffff0000, v58
	v_mul_f32_e32 v24, v61, v24
	v_and_b32_e32 v25, 0x7f800000, v24
	v_cmp_ne_u32_e32 vcc, s97, v25
                                        ; implicit-def: $vgpr58
	s_and_saveexec_b64 s[94:95], vcc
	s_xor_b64 s[94:95], exec, s[94:95]
; %bb.4900:                             ;   in Loop: Header=BB12_4523 Depth=3
	v_bfe_u32 v25, v24, 16, 1
	v_add3_u32 v58, v24, v25, s46
                                        ; implicit-def: $vgpr24
; %bb.4901:                             ;   in Loop: Header=BB12_4523 Depth=3
	s_andn2_saveexec_b64 s[94:95], s[94:95]
	s_cbranch_execz .LBB12_4903
; %bb.4902:                             ;   in Loop: Header=BB12_4523 Depth=3
	buffer_load_dword v26, off, s[0:3], s33 offset:128 ; 4-byte Folded Reload
	buffer_load_dword v27, off, s[0:3], s33 offset:132 ; 4-byte Folded Reload
	v_or_b32_e32 v25, 0x10000, v24
	s_waitcnt vmcnt(1)
	v_cmp_eq_u32_sdwa vcc, v24, v26 src0_sel:WORD_0 src1_sel:DWORD
	v_cndmask_b32_e32 v58, v25, v24, vcc
.LBB12_4903:                            ;   in Loop: Header=BB12_4523 Depth=3
	s_or_b64 exec, exec, s[94:95]
	v_lshlrev_b32_e32 v24, 16, v59
	v_mul_f32_e32 v24, v61, v24
	v_and_b32_e32 v25, 0x7f800000, v24
	v_cmp_ne_u32_e32 vcc, s97, v25
                                        ; implicit-def: $vgpr25
                                        ; kill: killed $vgpr25
	s_and_saveexec_b64 s[94:95], vcc
	s_xor_b64 s[94:95], exec, s[94:95]
	s_cbranch_execz .LBB12_4905
; %bb.4904:                             ;   in Loop: Header=BB12_4523 Depth=3
	v_bfe_u32 v25, v24, 16, 1
	v_add3_u32 v24, v24, v25, s46
	buffer_store_dword v24, off, s[0:3], s33 offset:300 ; 4-byte Folded Spill
                                        ; implicit-def: $vgpr24
.LBB12_4905:                            ;   in Loop: Header=BB12_4523 Depth=3
	s_andn2_saveexec_b64 s[94:95], s[94:95]
	s_cbranch_execz .LBB12_4907
; %bb.4906:                             ;   in Loop: Header=BB12_4523 Depth=3
	buffer_load_dword v26, off, s[0:3], s33 offset:128 ; 4-byte Folded Reload
	buffer_load_dword v27, off, s[0:3], s33 offset:132 ; 4-byte Folded Reload
	v_or_b32_e32 v25, 0x10000, v24
	s_waitcnt vmcnt(1)
	v_cmp_eq_u32_sdwa vcc, v24, v26 src0_sel:WORD_0 src1_sel:DWORD
	v_cndmask_b32_e32 v24, v25, v24, vcc
	buffer_store_dword v24, off, s[0:3], s33 offset:300 ; 4-byte Folded Spill
.LBB12_4907:                            ;   in Loop: Header=BB12_4523 Depth=3
	s_or_b64 exec, exec, s[94:95]
	v_and_b32_e32 v24, 0xffff0000, v59
	v_mul_f32_e32 v24, v61, v24
	v_and_b32_e32 v25, 0x7f800000, v24
	v_cmp_ne_u32_e32 vcc, s97, v25
                                        ; implicit-def: $vgpr59
	s_and_saveexec_b64 s[94:95], vcc
	s_xor_b64 s[94:95], exec, s[94:95]
; %bb.4908:                             ;   in Loop: Header=BB12_4523 Depth=3
	v_bfe_u32 v25, v24, 16, 1
	v_add3_u32 v59, v24, v25, s46
                                        ; implicit-def: $vgpr24
; %bb.4909:                             ;   in Loop: Header=BB12_4523 Depth=3
	s_andn2_saveexec_b64 s[94:95], s[94:95]
	s_cbranch_execz .LBB12_4911
; %bb.4910:                             ;   in Loop: Header=BB12_4523 Depth=3
	buffer_load_dword v26, off, s[0:3], s33 offset:128 ; 4-byte Folded Reload
	buffer_load_dword v27, off, s[0:3], s33 offset:132 ; 4-byte Folded Reload
	v_or_b32_e32 v25, 0x10000, v24
	s_waitcnt vmcnt(1)
	v_cmp_eq_u32_sdwa vcc, v24, v26 src0_sel:WORD_0 src1_sel:DWORD
	v_cndmask_b32_e32 v59, v25, v24, vcc
.LBB12_4911:                            ;   in Loop: Header=BB12_4523 Depth=3
	s_or_b64 exec, exec, s[94:95]
	v_and_b32_e32 v24, 0xffff0000, v60
	v_lshlrev_b32_e32 v25, 16, v40
	v_add_f32_e32 v24, v25, v24
	v_and_b32_e32 v25, 0x7f800000, v24
	v_cmp_ne_u32_e32 vcc, s97, v25
                                        ; implicit-def: $vgpr60
	s_and_saveexec_b64 s[94:95], vcc
	s_xor_b64 s[94:95], exec, s[94:95]
; %bb.4912:                             ;   in Loop: Header=BB12_4523 Depth=3
	v_bfe_u32 v25, v24, 16, 1
	v_add3_u32 v60, v24, v25, s46
                                        ; implicit-def: $vgpr24
; %bb.4913:                             ;   in Loop: Header=BB12_4523 Depth=3
	s_andn2_saveexec_b64 s[94:95], s[94:95]
	s_cbranch_execz .LBB12_4915
; %bb.4914:                             ;   in Loop: Header=BB12_4523 Depth=3
	buffer_load_dword v26, off, s[0:3], s33 offset:128 ; 4-byte Folded Reload
	buffer_load_dword v27, off, s[0:3], s33 offset:132 ; 4-byte Folded Reload
	v_or_b32_e32 v25, 0x10000, v24
	s_waitcnt vmcnt(1)
	v_cmp_eq_u32_sdwa vcc, v24, v26 src0_sel:WORD_0 src1_sel:DWORD
	v_cndmask_b32_e32 v60, v25, v24, vcc
.LBB12_4915:                            ;   in Loop: Header=BB12_4523 Depth=3
	s_or_b64 exec, exec, s[94:95]
	v_and_b32_e32 v24, 0xffff0000, v40
	v_and_b32_e32 v23, 0xffff0000, v23
	v_add_f32_e32 v23, v24, v23
	v_and_b32_e32 v24, 0x7f800000, v23
	v_cmp_ne_u32_e32 vcc, s97, v24
                                        ; implicit-def: $vgpr40
	s_and_saveexec_b64 s[94:95], vcc
	s_xor_b64 s[94:95], exec, s[94:95]
; %bb.4916:                             ;   in Loop: Header=BB12_4523 Depth=3
	v_bfe_u32 v24, v23, 16, 1
	v_add3_u32 v40, v23, v24, s46
                                        ; implicit-def: $vgpr23
; %bb.4917:                             ;   in Loop: Header=BB12_4523 Depth=3
	s_andn2_saveexec_b64 s[94:95], s[94:95]
	s_cbranch_execz .LBB12_4919
; %bb.4918:                             ;   in Loop: Header=BB12_4523 Depth=3
	buffer_load_dword v25, off, s[0:3], s33 offset:128 ; 4-byte Folded Reload
	buffer_load_dword v26, off, s[0:3], s33 offset:132 ; 4-byte Folded Reload
	v_or_b32_e32 v24, 0x10000, v23
	s_waitcnt vmcnt(1)
	v_cmp_eq_u32_sdwa vcc, v23, v25 src0_sel:WORD_0 src1_sel:DWORD
	v_cndmask_b32_e32 v40, v24, v23, vcc
.LBB12_4919:                            ;   in Loop: Header=BB12_4523 Depth=3
	s_or_b64 exec, exec, s[94:95]
	v_and_b32_e32 v10, 0xffff0000, v10
	v_lshlrev_b32_e32 v23, 16, v41
	v_add_f32_e32 v23, v23, v10
	v_and_b32_e32 v10, 0x7f800000, v23
	v_cmp_ne_u32_e32 vcc, s97, v10
                                        ; implicit-def: $vgpr10
	s_and_saveexec_b64 s[94:95], vcc
	s_xor_b64 s[94:95], exec, s[94:95]
; %bb.4920:                             ;   in Loop: Header=BB12_4523 Depth=3
	v_bfe_u32 v10, v23, 16, 1
	v_add3_u32 v10, v23, v10, s46
                                        ; implicit-def: $vgpr23
; %bb.4921:                             ;   in Loop: Header=BB12_4523 Depth=3
	s_andn2_saveexec_b64 s[94:95], s[94:95]
	s_cbranch_execz .LBB12_4923
; %bb.4922:                             ;   in Loop: Header=BB12_4523 Depth=3
	buffer_load_dword v24, off, s[0:3], s33 offset:128 ; 4-byte Folded Reload
	buffer_load_dword v25, off, s[0:3], s33 offset:132 ; 4-byte Folded Reload
	v_or_b32_e32 v10, 0x10000, v23
	s_waitcnt vmcnt(1)
	v_cmp_eq_u32_sdwa vcc, v23, v24 src0_sel:WORD_0 src1_sel:DWORD
	v_cndmask_b32_e32 v10, v10, v23, vcc
.LBB12_4923:                            ;   in Loop: Header=BB12_4523 Depth=3
	s_or_b64 exec, exec, s[94:95]
	v_and_b32_e32 v23, 0xffff0000, v41
	v_and_b32_e32 v21, 0xffff0000, v21
	v_add_f32_e32 v23, v23, v21
	v_and_b32_e32 v21, 0x7f800000, v23
	v_cmp_ne_u32_e32 vcc, s97, v21
                                        ; implicit-def: $vgpr21
	s_and_saveexec_b64 s[94:95], vcc
	s_xor_b64 s[94:95], exec, s[94:95]
; %bb.4924:                             ;   in Loop: Header=BB12_4523 Depth=3
	v_bfe_u32 v21, v23, 16, 1
	v_add3_u32 v21, v23, v21, s46
                                        ; implicit-def: $vgpr23
; %bb.4925:                             ;   in Loop: Header=BB12_4523 Depth=3
	s_andn2_saveexec_b64 s[94:95], s[94:95]
	s_cbranch_execz .LBB12_4927
; %bb.4926:                             ;   in Loop: Header=BB12_4523 Depth=3
	buffer_load_dword v24, off, s[0:3], s33 offset:128 ; 4-byte Folded Reload
	buffer_load_dword v25, off, s[0:3], s33 offset:132 ; 4-byte Folded Reload
	v_or_b32_e32 v21, 0x10000, v23
	s_waitcnt vmcnt(1)
	v_cmp_eq_u32_sdwa vcc, v23, v24 src0_sel:WORD_0 src1_sel:DWORD
	v_cndmask_b32_e32 v21, v21, v23, vcc
.LBB12_4927:                            ;   in Loop: Header=BB12_4523 Depth=3
	s_or_b64 exec, exec, s[94:95]
	v_and_b32_e32 v22, 0xffff0000, v22
	v_lshlrev_b32_e32 v23, 16, v42
	v_add_f32_e32 v23, v23, v22
	v_and_b32_e32 v22, 0x7f800000, v23
	v_cmp_ne_u32_e32 vcc, s97, v22
                                        ; implicit-def: $vgpr22
	s_and_saveexec_b64 s[94:95], vcc
	s_xor_b64 s[94:95], exec, s[94:95]
; %bb.4928:                             ;   in Loop: Header=BB12_4523 Depth=3
	v_bfe_u32 v22, v23, 16, 1
	v_add3_u32 v22, v23, v22, s46
                                        ; implicit-def: $vgpr23
; %bb.4929:                             ;   in Loop: Header=BB12_4523 Depth=3
	s_andn2_saveexec_b64 s[94:95], s[94:95]
	s_cbranch_execz .LBB12_4931
; %bb.4930:                             ;   in Loop: Header=BB12_4523 Depth=3
	buffer_load_dword v24, off, s[0:3], s33 offset:128 ; 4-byte Folded Reload
	buffer_load_dword v25, off, s[0:3], s33 offset:132 ; 4-byte Folded Reload
	v_or_b32_e32 v22, 0x10000, v23
	s_waitcnt vmcnt(1)
	v_cmp_eq_u32_sdwa vcc, v23, v24 src0_sel:WORD_0 src1_sel:DWORD
	v_cndmask_b32_e32 v22, v22, v23, vcc
.LBB12_4931:                            ;   in Loop: Header=BB12_4523 Depth=3
	s_or_b64 exec, exec, s[94:95]
	v_and_b32_e32 v23, 0xffff0000, v42
	v_and_b32_e32 v19, 0xffff0000, v19
	v_add_f32_e32 v23, v23, v19
	v_and_b32_e32 v19, 0x7f800000, v23
	v_cmp_ne_u32_e32 vcc, s97, v19
                                        ; implicit-def: $vgpr19
	s_and_saveexec_b64 s[94:95], vcc
	s_xor_b64 s[94:95], exec, s[94:95]
; %bb.4932:                             ;   in Loop: Header=BB12_4523 Depth=3
	v_bfe_u32 v19, v23, 16, 1
	v_add3_u32 v19, v23, v19, s46
                                        ; implicit-def: $vgpr23
; %bb.4933:                             ;   in Loop: Header=BB12_4523 Depth=3
	s_andn2_saveexec_b64 s[94:95], s[94:95]
	s_cbranch_execz .LBB12_4935
; %bb.4934:                             ;   in Loop: Header=BB12_4523 Depth=3
	buffer_load_dword v24, off, s[0:3], s33 offset:128 ; 4-byte Folded Reload
	buffer_load_dword v25, off, s[0:3], s33 offset:132 ; 4-byte Folded Reload
	v_or_b32_e32 v19, 0x10000, v23
	s_waitcnt vmcnt(1)
	v_cmp_eq_u32_sdwa vcc, v23, v24 src0_sel:WORD_0 src1_sel:DWORD
	v_cndmask_b32_e32 v19, v19, v23, vcc
.LBB12_4935:                            ;   in Loop: Header=BB12_4523 Depth=3
	s_or_b64 exec, exec, s[94:95]
	v_and_b32_e32 v20, 0xffff0000, v20
	v_lshlrev_b32_e32 v23, 16, v43
	v_add_f32_e32 v23, v23, v20
	v_and_b32_e32 v20, 0x7f800000, v23
	v_cmp_ne_u32_e32 vcc, s97, v20
                                        ; implicit-def: $vgpr20
	s_and_saveexec_b64 s[94:95], vcc
	s_xor_b64 s[94:95], exec, s[94:95]
; %bb.4936:                             ;   in Loop: Header=BB12_4523 Depth=3
	v_bfe_u32 v20, v23, 16, 1
	v_add3_u32 v20, v23, v20, s46
                                        ; implicit-def: $vgpr23
; %bb.4937:                             ;   in Loop: Header=BB12_4523 Depth=3
	s_andn2_saveexec_b64 s[94:95], s[94:95]
	s_cbranch_execz .LBB12_4939
; %bb.4938:                             ;   in Loop: Header=BB12_4523 Depth=3
	buffer_load_dword v24, off, s[0:3], s33 offset:128 ; 4-byte Folded Reload
	buffer_load_dword v25, off, s[0:3], s33 offset:132 ; 4-byte Folded Reload
	v_or_b32_e32 v20, 0x10000, v23
	s_waitcnt vmcnt(1)
	v_cmp_eq_u32_sdwa vcc, v23, v24 src0_sel:WORD_0 src1_sel:DWORD
	v_cndmask_b32_e32 v20, v20, v23, vcc
.LBB12_4939:                            ;   in Loop: Header=BB12_4523 Depth=3
	s_or_b64 exec, exec, s[94:95]
	v_and_b32_e32 v23, 0xffff0000, v43
	v_and_b32_e32 v13, 0xffff0000, v13
	v_add_f32_e32 v23, v23, v13
	v_and_b32_e32 v13, 0x7f800000, v23
	v_cmp_ne_u32_e32 vcc, s97, v13
                                        ; implicit-def: $vgpr13
	s_and_saveexec_b64 s[94:95], vcc
	s_xor_b64 s[94:95], exec, s[94:95]
; %bb.4940:                             ;   in Loop: Header=BB12_4523 Depth=3
	v_bfe_u32 v13, v23, 16, 1
	v_add3_u32 v13, v23, v13, s46
                                        ; implicit-def: $vgpr23
; %bb.4941:                             ;   in Loop: Header=BB12_4523 Depth=3
	s_andn2_saveexec_b64 s[94:95], s[94:95]
	s_cbranch_execz .LBB12_4943
; %bb.4942:                             ;   in Loop: Header=BB12_4523 Depth=3
	buffer_load_dword v24, off, s[0:3], s33 offset:128 ; 4-byte Folded Reload
	buffer_load_dword v25, off, s[0:3], s33 offset:132 ; 4-byte Folded Reload
	v_or_b32_e32 v13, 0x10000, v23
	s_waitcnt vmcnt(1)
	v_cmp_eq_u32_sdwa vcc, v23, v24 src0_sel:WORD_0 src1_sel:DWORD
	v_cndmask_b32_e32 v13, v13, v23, vcc
.LBB12_4943:                            ;   in Loop: Header=BB12_4523 Depth=3
	s_or_b64 exec, exec, s[94:95]
	v_and_b32_e32 v18, 0xffff0000, v18
	v_lshlrev_b32_e32 v23, 16, v52
	v_add_f32_e32 v23, v23, v18
	v_and_b32_e32 v18, 0x7f800000, v23
	v_cmp_ne_u32_e32 vcc, s97, v18
                                        ; implicit-def: $vgpr18
	s_and_saveexec_b64 s[94:95], vcc
	s_xor_b64 s[94:95], exec, s[94:95]
; %bb.4944:                             ;   in Loop: Header=BB12_4523 Depth=3
	v_bfe_u32 v18, v23, 16, 1
	v_add3_u32 v18, v23, v18, s46
                                        ; implicit-def: $vgpr23
; %bb.4945:                             ;   in Loop: Header=BB12_4523 Depth=3
	s_andn2_saveexec_b64 s[94:95], s[94:95]
	s_cbranch_execz .LBB12_4947
; %bb.4946:                             ;   in Loop: Header=BB12_4523 Depth=3
	buffer_load_dword v24, off, s[0:3], s33 offset:128 ; 4-byte Folded Reload
	buffer_load_dword v25, off, s[0:3], s33 offset:132 ; 4-byte Folded Reload
	v_or_b32_e32 v18, 0x10000, v23
	s_waitcnt vmcnt(1)
	v_cmp_eq_u32_sdwa vcc, v23, v24 src0_sel:WORD_0 src1_sel:DWORD
	v_cndmask_b32_e32 v18, v18, v23, vcc
.LBB12_4947:                            ;   in Loop: Header=BB12_4523 Depth=3
	s_or_b64 exec, exec, s[94:95]
	v_and_b32_e32 v23, 0xffff0000, v52
	v_and_b32_e32 v11, 0xffff0000, v11
	v_add_f32_e32 v23, v23, v11
	v_and_b32_e32 v11, 0x7f800000, v23
	v_cmp_ne_u32_e32 vcc, s97, v11
                                        ; implicit-def: $vgpr11
	s_and_saveexec_b64 s[94:95], vcc
	s_xor_b64 s[94:95], exec, s[94:95]
; %bb.4948:                             ;   in Loop: Header=BB12_4523 Depth=3
	v_bfe_u32 v11, v23, 16, 1
	v_add3_u32 v11, v23, v11, s46
                                        ; implicit-def: $vgpr23
; %bb.4949:                             ;   in Loop: Header=BB12_4523 Depth=3
	s_andn2_saveexec_b64 s[94:95], s[94:95]
	s_cbranch_execz .LBB12_4951
; %bb.4950:                             ;   in Loop: Header=BB12_4523 Depth=3
	buffer_load_dword v24, off, s[0:3], s33 offset:128 ; 4-byte Folded Reload
	buffer_load_dword v25, off, s[0:3], s33 offset:132 ; 4-byte Folded Reload
	v_or_b32_e32 v11, 0x10000, v23
	s_waitcnt vmcnt(1)
	v_cmp_eq_u32_sdwa vcc, v23, v24 src0_sel:WORD_0 src1_sel:DWORD
	v_cndmask_b32_e32 v11, v11, v23, vcc
.LBB12_4951:                            ;   in Loop: Header=BB12_4523 Depth=3
	s_or_b64 exec, exec, s[94:95]
	v_and_b32_e32 v12, 0xffff0000, v12
	v_lshlrev_b32_e32 v23, 16, v53
	v_add_f32_e32 v23, v23, v12
	v_and_b32_e32 v12, 0x7f800000, v23
	v_cmp_ne_u32_e32 vcc, s97, v12
                                        ; implicit-def: $vgpr12
	s_and_saveexec_b64 s[94:95], vcc
	s_xor_b64 s[94:95], exec, s[94:95]
; %bb.4952:                             ;   in Loop: Header=BB12_4523 Depth=3
	v_bfe_u32 v12, v23, 16, 1
	v_add3_u32 v12, v23, v12, s46
                                        ; implicit-def: $vgpr23
; %bb.4953:                             ;   in Loop: Header=BB12_4523 Depth=3
	s_andn2_saveexec_b64 s[94:95], s[94:95]
	s_cbranch_execz .LBB12_4955
; %bb.4954:                             ;   in Loop: Header=BB12_4523 Depth=3
	buffer_load_dword v24, off, s[0:3], s33 offset:128 ; 4-byte Folded Reload
	buffer_load_dword v25, off, s[0:3], s33 offset:132 ; 4-byte Folded Reload
	v_or_b32_e32 v12, 0x10000, v23
	s_waitcnt vmcnt(1)
	v_cmp_eq_u32_sdwa vcc, v23, v24 src0_sel:WORD_0 src1_sel:DWORD
	v_cndmask_b32_e32 v12, v12, v23, vcc
.LBB12_4955:                            ;   in Loop: Header=BB12_4523 Depth=3
	s_or_b64 exec, exec, s[94:95]
	v_and_b32_e32 v23, 0xffff0000, v53
	v_and_b32_e32 v7, 0xffff0000, v7
	v_add_f32_e32 v23, v23, v7
	v_and_b32_e32 v7, 0x7f800000, v23
	v_cmp_ne_u32_e32 vcc, s97, v7
                                        ; implicit-def: $vgpr7
	s_and_saveexec_b64 s[94:95], vcc
	s_xor_b64 s[94:95], exec, s[94:95]
; %bb.4956:                             ;   in Loop: Header=BB12_4523 Depth=3
	v_bfe_u32 v7, v23, 16, 1
	v_add3_u32 v7, v23, v7, s46
                                        ; implicit-def: $vgpr23
; %bb.4957:                             ;   in Loop: Header=BB12_4523 Depth=3
	s_andn2_saveexec_b64 s[94:95], s[94:95]
	s_cbranch_execz .LBB12_4959
; %bb.4958:                             ;   in Loop: Header=BB12_4523 Depth=3
	buffer_load_dword v24, off, s[0:3], s33 offset:128 ; 4-byte Folded Reload
	buffer_load_dword v25, off, s[0:3], s33 offset:132 ; 4-byte Folded Reload
	v_or_b32_e32 v7, 0x10000, v23
	s_waitcnt vmcnt(1)
	v_cmp_eq_u32_sdwa vcc, v23, v24 src0_sel:WORD_0 src1_sel:DWORD
	v_cndmask_b32_e32 v7, v7, v23, vcc
.LBB12_4959:                            ;   in Loop: Header=BB12_4523 Depth=3
	s_or_b64 exec, exec, s[94:95]
	v_and_b32_e32 v6, 0xffff0000, v6
	v_lshlrev_b32_e32 v23, 16, v54
	v_add_f32_e32 v23, v23, v6
	v_and_b32_e32 v6, 0x7f800000, v23
	v_cmp_ne_u32_e32 vcc, s97, v6
                                        ; implicit-def: $vgpr6
	s_and_saveexec_b64 s[94:95], vcc
	s_xor_b64 s[94:95], exec, s[94:95]
; %bb.4960:                             ;   in Loop: Header=BB12_4523 Depth=3
	v_bfe_u32 v6, v23, 16, 1
	v_add3_u32 v6, v23, v6, s46
                                        ; implicit-def: $vgpr23
; %bb.4961:                             ;   in Loop: Header=BB12_4523 Depth=3
	s_andn2_saveexec_b64 s[94:95], s[94:95]
	s_cbranch_execz .LBB12_4963
; %bb.4962:                             ;   in Loop: Header=BB12_4523 Depth=3
	buffer_load_dword v24, off, s[0:3], s33 offset:128 ; 4-byte Folded Reload
	buffer_load_dword v25, off, s[0:3], s33 offset:132 ; 4-byte Folded Reload
	v_or_b32_e32 v6, 0x10000, v23
	s_waitcnt vmcnt(1)
	v_cmp_eq_u32_sdwa vcc, v23, v24 src0_sel:WORD_0 src1_sel:DWORD
	v_cndmask_b32_e32 v6, v6, v23, vcc
.LBB12_4963:                            ;   in Loop: Header=BB12_4523 Depth=3
	s_or_b64 exec, exec, s[94:95]
	v_and_b32_e32 v23, 0xffff0000, v54
	v_and_b32_e32 v8, 0xffff0000, v8
	v_add_f32_e32 v23, v23, v8
	v_and_b32_e32 v8, 0x7f800000, v23
	v_cmp_ne_u32_e32 vcc, s97, v8
                                        ; implicit-def: $vgpr8
	s_and_saveexec_b64 s[94:95], vcc
	s_xor_b64 s[94:95], exec, s[94:95]
; %bb.4964:                             ;   in Loop: Header=BB12_4523 Depth=3
	v_bfe_u32 v8, v23, 16, 1
	v_add3_u32 v8, v23, v8, s46
                                        ; implicit-def: $vgpr23
; %bb.4965:                             ;   in Loop: Header=BB12_4523 Depth=3
	s_andn2_saveexec_b64 s[94:95], s[94:95]
	s_cbranch_execz .LBB12_4967
; %bb.4966:                             ;   in Loop: Header=BB12_4523 Depth=3
	buffer_load_dword v24, off, s[0:3], s33 offset:128 ; 4-byte Folded Reload
	buffer_load_dword v25, off, s[0:3], s33 offset:132 ; 4-byte Folded Reload
	v_or_b32_e32 v8, 0x10000, v23
	s_waitcnt vmcnt(1)
	v_cmp_eq_u32_sdwa vcc, v23, v24 src0_sel:WORD_0 src1_sel:DWORD
	v_cndmask_b32_e32 v8, v8, v23, vcc
.LBB12_4967:                            ;   in Loop: Header=BB12_4523 Depth=3
	s_or_b64 exec, exec, s[94:95]
	buffer_load_dword v23, off, s[0:3], s33 offset:368 ; 4-byte Folded Reload
	v_lshlrev_b32_e32 v24, 16, v55
	s_waitcnt vmcnt(0)
	v_and_b32_e32 v23, 0xffff0000, v23
	v_add_f32_e32 v24, v24, v23
	v_and_b32_e32 v23, 0x7f800000, v24
	v_cmp_ne_u32_e32 vcc, s97, v23
                                        ; implicit-def: $vgpr23
	s_and_saveexec_b64 s[94:95], vcc
	s_xor_b64 s[94:95], exec, s[94:95]
; %bb.4968:                             ;   in Loop: Header=BB12_4523 Depth=3
	v_bfe_u32 v23, v24, 16, 1
	v_add3_u32 v23, v24, v23, s46
                                        ; implicit-def: $vgpr24
; %bb.4969:                             ;   in Loop: Header=BB12_4523 Depth=3
	s_andn2_saveexec_b64 s[94:95], s[94:95]
	s_cbranch_execz .LBB12_4971
; %bb.4970:                             ;   in Loop: Header=BB12_4523 Depth=3
	buffer_load_dword v25, off, s[0:3], s33 offset:128 ; 4-byte Folded Reload
	buffer_load_dword v26, off, s[0:3], s33 offset:132 ; 4-byte Folded Reload
	v_or_b32_e32 v23, 0x10000, v24
	s_waitcnt vmcnt(1)
	v_cmp_eq_u32_sdwa vcc, v24, v25 src0_sel:WORD_0 src1_sel:DWORD
	v_cndmask_b32_e32 v23, v23, v24, vcc
.LBB12_4971:                            ;   in Loop: Header=BB12_4523 Depth=3
	s_or_b64 exec, exec, s[94:95]
	v_and_b32_e32 v24, 0xffff0000, v55
	v_and_b32_e32 v9, 0xffff0000, v9
	v_add_f32_e32 v24, v24, v9
	v_and_b32_e32 v9, 0x7f800000, v24
	v_cmp_ne_u32_e32 vcc, s97, v9
                                        ; implicit-def: $vgpr9
	s_and_saveexec_b64 s[94:95], vcc
	s_xor_b64 s[94:95], exec, s[94:95]
; %bb.4972:                             ;   in Loop: Header=BB12_4523 Depth=3
	v_bfe_u32 v9, v24, 16, 1
	v_add3_u32 v9, v24, v9, s46
                                        ; implicit-def: $vgpr24
; %bb.4973:                             ;   in Loop: Header=BB12_4523 Depth=3
	s_andn2_saveexec_b64 s[94:95], s[94:95]
	s_cbranch_execz .LBB12_4975
; %bb.4974:                             ;   in Loop: Header=BB12_4523 Depth=3
	buffer_load_dword v25, off, s[0:3], s33 offset:128 ; 4-byte Folded Reload
	buffer_load_dword v26, off, s[0:3], s33 offset:132 ; 4-byte Folded Reload
	v_or_b32_e32 v9, 0x10000, v24
	s_waitcnt vmcnt(1)
	v_cmp_eq_u32_sdwa vcc, v24, v25 src0_sel:WORD_0 src1_sel:DWORD
	v_cndmask_b32_e32 v9, v9, v24, vcc
.LBB12_4975:                            ;   in Loop: Header=BB12_4523 Depth=3
	s_or_b64 exec, exec, s[94:95]
	buffer_load_dword v24, off, s[0:3], s33 offset:364 ; 4-byte Folded Reload
	v_lshlrev_b32_e32 v25, 16, v36
                                        ; implicit-def: $vgpr52
	s_waitcnt vmcnt(0)
	v_and_b32_e32 v24, 0xffff0000, v24
	v_add_f32_e32 v24, v25, v24
	v_and_b32_e32 v25, 0x7f800000, v24
	v_cmp_ne_u32_e32 vcc, s97, v25
	s_and_saveexec_b64 s[94:95], vcc
	s_xor_b64 s[94:95], exec, s[94:95]
; %bb.4976:                             ;   in Loop: Header=BB12_4523 Depth=3
	v_bfe_u32 v25, v24, 16, 1
	v_add3_u32 v52, v24, v25, s46
                                        ; implicit-def: $vgpr24
; %bb.4977:                             ;   in Loop: Header=BB12_4523 Depth=3
	s_andn2_saveexec_b64 s[94:95], s[94:95]
	s_cbranch_execz .LBB12_4979
; %bb.4978:                             ;   in Loop: Header=BB12_4523 Depth=3
	buffer_load_dword v26, off, s[0:3], s33 offset:128 ; 4-byte Folded Reload
	buffer_load_dword v27, off, s[0:3], s33 offset:132 ; 4-byte Folded Reload
	v_or_b32_e32 v25, 0x10000, v24
	s_waitcnt vmcnt(1)
	v_cmp_eq_u32_sdwa vcc, v24, v26 src0_sel:WORD_0 src1_sel:DWORD
	v_cndmask_b32_e32 v52, v25, v24, vcc
.LBB12_4979:                            ;   in Loop: Header=BB12_4523 Depth=3
	s_or_b64 exec, exec, s[94:95]
	buffer_load_dword v25, off, s[0:3], s33 offset:360 ; 4-byte Folded Reload
	v_and_b32_e32 v24, 0xffff0000, v36
                                        ; implicit-def: $vgpr36
	s_waitcnt vmcnt(0)
	v_and_b32_e32 v25, 0xffff0000, v25
	v_add_f32_e32 v24, v24, v25
	v_and_b32_e32 v25, 0x7f800000, v24
	v_cmp_ne_u32_e32 vcc, s97, v25
	s_and_saveexec_b64 s[94:95], vcc
	s_xor_b64 s[94:95], exec, s[94:95]
; %bb.4980:                             ;   in Loop: Header=BB12_4523 Depth=3
	v_bfe_u32 v25, v24, 16, 1
	v_add3_u32 v36, v24, v25, s46
                                        ; implicit-def: $vgpr24
; %bb.4981:                             ;   in Loop: Header=BB12_4523 Depth=3
	s_andn2_saveexec_b64 s[94:95], s[94:95]
	s_cbranch_execz .LBB12_4983
; %bb.4982:                             ;   in Loop: Header=BB12_4523 Depth=3
	buffer_load_dword v26, off, s[0:3], s33 offset:128 ; 4-byte Folded Reload
	buffer_load_dword v27, off, s[0:3], s33 offset:132 ; 4-byte Folded Reload
	v_or_b32_e32 v25, 0x10000, v24
	s_waitcnt vmcnt(1)
	v_cmp_eq_u32_sdwa vcc, v24, v26 src0_sel:WORD_0 src1_sel:DWORD
	v_cndmask_b32_e32 v36, v25, v24, vcc
.LBB12_4983:                            ;   in Loop: Header=BB12_4523 Depth=3
	s_or_b64 exec, exec, s[94:95]
	v_and_b32_e32 v2, 0xffff0000, v2
	v_lshlrev_b32_e32 v24, 16, v37
	v_add_f32_e32 v24, v24, v2
	v_and_b32_e32 v2, 0x7f800000, v24
	v_cmp_ne_u32_e32 vcc, s97, v2
                                        ; implicit-def: $vgpr2
	s_and_saveexec_b64 s[94:95], vcc
	s_xor_b64 s[94:95], exec, s[94:95]
; %bb.4984:                             ;   in Loop: Header=BB12_4523 Depth=3
	v_bfe_u32 v2, v24, 16, 1
	v_add3_u32 v2, v24, v2, s46
                                        ; implicit-def: $vgpr24
; %bb.4985:                             ;   in Loop: Header=BB12_4523 Depth=3
	s_andn2_saveexec_b64 s[94:95], s[94:95]
	s_cbranch_execz .LBB12_4987
; %bb.4986:                             ;   in Loop: Header=BB12_4523 Depth=3
	buffer_load_dword v25, off, s[0:3], s33 offset:128 ; 4-byte Folded Reload
	buffer_load_dword v26, off, s[0:3], s33 offset:132 ; 4-byte Folded Reload
	v_or_b32_e32 v2, 0x10000, v24
	s_waitcnt vmcnt(1)
	v_cmp_eq_u32_sdwa vcc, v24, v25 src0_sel:WORD_0 src1_sel:DWORD
	v_cndmask_b32_e32 v2, v2, v24, vcc
.LBB12_4987:                            ;   in Loop: Header=BB12_4523 Depth=3
	s_or_b64 exec, exec, s[94:95]
	v_and_b32_e32 v24, 0xffff0000, v37
	v_and_b32_e32 v3, 0xffff0000, v3
	v_add_f32_e32 v24, v24, v3
	v_and_b32_e32 v3, 0x7f800000, v24
	v_cmp_ne_u32_e32 vcc, s97, v3
                                        ; implicit-def: $vgpr3
	s_and_saveexec_b64 s[94:95], vcc
	s_xor_b64 s[94:95], exec, s[94:95]
; %bb.4988:                             ;   in Loop: Header=BB12_4523 Depth=3
	v_bfe_u32 v3, v24, 16, 1
	v_add3_u32 v3, v24, v3, s46
                                        ; implicit-def: $vgpr24
; %bb.4989:                             ;   in Loop: Header=BB12_4523 Depth=3
	s_andn2_saveexec_b64 s[94:95], s[94:95]
	s_cbranch_execz .LBB12_4991
; %bb.4990:                             ;   in Loop: Header=BB12_4523 Depth=3
	buffer_load_dword v25, off, s[0:3], s33 offset:128 ; 4-byte Folded Reload
	buffer_load_dword v26, off, s[0:3], s33 offset:132 ; 4-byte Folded Reload
	v_or_b32_e32 v3, 0x10000, v24
	s_waitcnt vmcnt(1)
	v_cmp_eq_u32_sdwa vcc, v24, v25 src0_sel:WORD_0 src1_sel:DWORD
	v_cndmask_b32_e32 v3, v3, v24, vcc
.LBB12_4991:                            ;   in Loop: Header=BB12_4523 Depth=3
	s_or_b64 exec, exec, s[94:95]
	buffer_load_dword v24, off, s[0:3], s33 offset:356 ; 4-byte Folded Reload
	v_lshlrev_b32_e32 v25, 16, v38
                                        ; implicit-def: $vgpr37
	s_waitcnt vmcnt(0)
	v_and_b32_e32 v24, 0xffff0000, v24
	v_add_f32_e32 v24, v25, v24
	v_and_b32_e32 v25, 0x7f800000, v24
	v_cmp_ne_u32_e32 vcc, s97, v25
	s_and_saveexec_b64 s[94:95], vcc
	s_xor_b64 s[94:95], exec, s[94:95]
; %bb.4992:                             ;   in Loop: Header=BB12_4523 Depth=3
	v_bfe_u32 v25, v24, 16, 1
	v_add3_u32 v37, v24, v25, s46
                                        ; implicit-def: $vgpr24
; %bb.4993:                             ;   in Loop: Header=BB12_4523 Depth=3
	s_andn2_saveexec_b64 s[94:95], s[94:95]
	s_cbranch_execz .LBB12_4995
; %bb.4994:                             ;   in Loop: Header=BB12_4523 Depth=3
	buffer_load_dword v26, off, s[0:3], s33 offset:128 ; 4-byte Folded Reload
	buffer_load_dword v27, off, s[0:3], s33 offset:132 ; 4-byte Folded Reload
	v_or_b32_e32 v25, 0x10000, v24
	s_waitcnt vmcnt(1)
	v_cmp_eq_u32_sdwa vcc, v24, v26 src0_sel:WORD_0 src1_sel:DWORD
	v_cndmask_b32_e32 v37, v25, v24, vcc
.LBB12_4995:                            ;   in Loop: Header=BB12_4523 Depth=3
	s_or_b64 exec, exec, s[94:95]
	v_and_b32_e32 v24, 0xffff0000, v38
	v_and_b32_e32 v4, 0xffff0000, v4
	v_add_f32_e32 v24, v24, v4
	v_and_b32_e32 v4, 0x7f800000, v24
	v_cmp_ne_u32_e32 vcc, s97, v4
                                        ; implicit-def: $vgpr4
	s_and_saveexec_b64 s[94:95], vcc
	s_xor_b64 s[94:95], exec, s[94:95]
; %bb.4996:                             ;   in Loop: Header=BB12_4523 Depth=3
	v_bfe_u32 v4, v24, 16, 1
	v_add3_u32 v4, v24, v4, s46
                                        ; implicit-def: $vgpr24
; %bb.4997:                             ;   in Loop: Header=BB12_4523 Depth=3
	s_andn2_saveexec_b64 s[94:95], s[94:95]
	s_cbranch_execz .LBB12_4999
; %bb.4998:                             ;   in Loop: Header=BB12_4523 Depth=3
	buffer_load_dword v25, off, s[0:3], s33 offset:128 ; 4-byte Folded Reload
	buffer_load_dword v26, off, s[0:3], s33 offset:132 ; 4-byte Folded Reload
	v_or_b32_e32 v4, 0x10000, v24
	s_waitcnt vmcnt(1)
	v_cmp_eq_u32_sdwa vcc, v24, v25 src0_sel:WORD_0 src1_sel:DWORD
	v_cndmask_b32_e32 v4, v4, v24, vcc
.LBB12_4999:                            ;   in Loop: Header=BB12_4523 Depth=3
	s_or_b64 exec, exec, s[94:95]
	buffer_load_dword v24, off, s[0:3], s33 offset:352 ; 4-byte Folded Reload
	v_lshlrev_b32_e32 v25, 16, v39
                                        ; implicit-def: $vgpr38
	s_waitcnt vmcnt(0)
	v_and_b32_e32 v24, 0xffff0000, v24
	v_add_f32_e32 v24, v25, v24
	v_and_b32_e32 v25, 0x7f800000, v24
	v_cmp_ne_u32_e32 vcc, s97, v25
	s_and_saveexec_b64 s[94:95], vcc
	s_xor_b64 s[94:95], exec, s[94:95]
; %bb.5000:                             ;   in Loop: Header=BB12_4523 Depth=3
	v_bfe_u32 v25, v24, 16, 1
	v_add3_u32 v38, v24, v25, s46
                                        ; implicit-def: $vgpr24
; %bb.5001:                             ;   in Loop: Header=BB12_4523 Depth=3
	s_andn2_saveexec_b64 s[94:95], s[94:95]
	s_cbranch_execz .LBB12_5003
; %bb.5002:                             ;   in Loop: Header=BB12_4523 Depth=3
	buffer_load_dword v26, off, s[0:3], s33 offset:128 ; 4-byte Folded Reload
	buffer_load_dword v27, off, s[0:3], s33 offset:132 ; 4-byte Folded Reload
	v_or_b32_e32 v25, 0x10000, v24
	s_waitcnt vmcnt(1)
	v_cmp_eq_u32_sdwa vcc, v24, v26 src0_sel:WORD_0 src1_sel:DWORD
	v_cndmask_b32_e32 v38, v25, v24, vcc
.LBB12_5003:                            ;   in Loop: Header=BB12_4523 Depth=3
	s_or_b64 exec, exec, s[94:95]
	v_and_b32_e32 v24, 0xffff0000, v39
	v_and_b32_e32 v5, 0xffff0000, v5
	v_add_f32_e32 v24, v24, v5
	v_and_b32_e32 v5, 0x7f800000, v24
	v_cmp_ne_u32_e32 vcc, s97, v5
                                        ; implicit-def: $vgpr5
	s_and_saveexec_b64 s[94:95], vcc
	s_xor_b64 s[94:95], exec, s[94:95]
; %bb.5004:                             ;   in Loop: Header=BB12_4523 Depth=3
	v_bfe_u32 v5, v24, 16, 1
	v_add3_u32 v5, v24, v5, s46
                                        ; implicit-def: $vgpr24
; %bb.5005:                             ;   in Loop: Header=BB12_4523 Depth=3
	s_andn2_saveexec_b64 s[94:95], s[94:95]
	s_cbranch_execz .LBB12_5007
; %bb.5006:                             ;   in Loop: Header=BB12_4523 Depth=3
	buffer_load_dword v25, off, s[0:3], s33 offset:128 ; 4-byte Folded Reload
	buffer_load_dword v26, off, s[0:3], s33 offset:132 ; 4-byte Folded Reload
	v_or_b32_e32 v5, 0x10000, v24
	s_waitcnt vmcnt(1)
	v_cmp_eq_u32_sdwa vcc, v24, v25 src0_sel:WORD_0 src1_sel:DWORD
	v_cndmask_b32_e32 v5, v5, v24, vcc
.LBB12_5007:                            ;   in Loop: Header=BB12_4523 Depth=3
	s_or_b64 exec, exec, s[94:95]
	buffer_load_dword v24, off, s[0:3], s33 offset:344 ; 4-byte Folded Reload
	v_lshlrev_b32_e32 v25, 16, v32
                                        ; implicit-def: $vgpr39
	s_waitcnt vmcnt(0)
	v_and_b32_e32 v24, 0xffff0000, v24
	v_add_f32_e32 v24, v25, v24
	v_and_b32_e32 v25, 0x7f800000, v24
	v_cmp_ne_u32_e32 vcc, s97, v25
	s_and_saveexec_b64 s[94:95], vcc
	s_xor_b64 s[94:95], exec, s[94:95]
; %bb.5008:                             ;   in Loop: Header=BB12_4523 Depth=3
	v_bfe_u32 v25, v24, 16, 1
	v_add3_u32 v39, v24, v25, s46
                                        ; implicit-def: $vgpr24
; %bb.5009:                             ;   in Loop: Header=BB12_4523 Depth=3
	s_andn2_saveexec_b64 s[94:95], s[94:95]
	s_cbranch_execz .LBB12_5011
; %bb.5010:                             ;   in Loop: Header=BB12_4523 Depth=3
	buffer_load_dword v26, off, s[0:3], s33 offset:128 ; 4-byte Folded Reload
	buffer_load_dword v27, off, s[0:3], s33 offset:132 ; 4-byte Folded Reload
	v_or_b32_e32 v25, 0x10000, v24
	s_waitcnt vmcnt(1)
	v_cmp_eq_u32_sdwa vcc, v24, v26 src0_sel:WORD_0 src1_sel:DWORD
	v_cndmask_b32_e32 v39, v25, v24, vcc
.LBB12_5011:                            ;   in Loop: Header=BB12_4523 Depth=3
	s_or_b64 exec, exec, s[94:95]
	buffer_load_dword v25, off, s[0:3], s33 offset:340 ; 4-byte Folded Reload
	v_and_b32_e32 v24, 0xffff0000, v32
                                        ; implicit-def: $vgpr32
	s_waitcnt vmcnt(0)
	v_and_b32_e32 v25, 0xffff0000, v25
	v_add_f32_e32 v24, v24, v25
	v_and_b32_e32 v25, 0x7f800000, v24
	v_cmp_ne_u32_e32 vcc, s97, v25
	s_and_saveexec_b64 s[94:95], vcc
	s_xor_b64 s[94:95], exec, s[94:95]
; %bb.5012:                             ;   in Loop: Header=BB12_4523 Depth=3
	v_bfe_u32 v25, v24, 16, 1
	v_add3_u32 v32, v24, v25, s46
                                        ; implicit-def: $vgpr24
; %bb.5013:                             ;   in Loop: Header=BB12_4523 Depth=3
	s_andn2_saveexec_b64 s[94:95], s[94:95]
	s_cbranch_execz .LBB12_5015
; %bb.5014:                             ;   in Loop: Header=BB12_4523 Depth=3
	buffer_load_dword v26, off, s[0:3], s33 offset:128 ; 4-byte Folded Reload
	buffer_load_dword v27, off, s[0:3], s33 offset:132 ; 4-byte Folded Reload
	v_or_b32_e32 v25, 0x10000, v24
	s_waitcnt vmcnt(1)
	v_cmp_eq_u32_sdwa vcc, v24, v26 src0_sel:WORD_0 src1_sel:DWORD
	v_cndmask_b32_e32 v32, v25, v24, vcc
.LBB12_5015:                            ;   in Loop: Header=BB12_4523 Depth=3
	s_or_b64 exec, exec, s[94:95]
	v_and_b32_e32 v24, 0xffff0000, v56
	v_lshlrev_b32_e32 v25, 16, v33
	v_add_f32_e32 v24, v25, v24
	v_and_b32_e32 v25, 0x7f800000, v24
	v_cmp_ne_u32_e32 vcc, s97, v25
                                        ; implicit-def: $vgpr53
	s_and_saveexec_b64 s[94:95], vcc
	s_xor_b64 s[94:95], exec, s[94:95]
; %bb.5016:                             ;   in Loop: Header=BB12_4523 Depth=3
	v_bfe_u32 v25, v24, 16, 1
	v_add3_u32 v53, v24, v25, s46
                                        ; implicit-def: $vgpr24
; %bb.5017:                             ;   in Loop: Header=BB12_4523 Depth=3
	s_andn2_saveexec_b64 s[94:95], s[94:95]
	s_cbranch_execz .LBB12_5019
; %bb.5018:                             ;   in Loop: Header=BB12_4523 Depth=3
	buffer_load_dword v26, off, s[0:3], s33 offset:128 ; 4-byte Folded Reload
	buffer_load_dword v27, off, s[0:3], s33 offset:132 ; 4-byte Folded Reload
	v_or_b32_e32 v25, 0x10000, v24
	s_waitcnt vmcnt(1)
	v_cmp_eq_u32_sdwa vcc, v24, v26 src0_sel:WORD_0 src1_sel:DWORD
	v_cndmask_b32_e32 v53, v25, v24, vcc
.LBB12_5019:                            ;   in Loop: Header=BB12_4523 Depth=3
	s_or_b64 exec, exec, s[94:95]
	buffer_load_dword v25, off, s[0:3], s33 offset:332 ; 4-byte Folded Reload
	v_and_b32_e32 v24, 0xffff0000, v33
                                        ; implicit-def: $vgpr33
	s_waitcnt vmcnt(0)
	v_and_b32_e32 v25, 0xffff0000, v25
	v_add_f32_e32 v24, v24, v25
	v_and_b32_e32 v25, 0x7f800000, v24
	v_cmp_ne_u32_e32 vcc, s97, v25
	s_and_saveexec_b64 s[94:95], vcc
	s_xor_b64 s[94:95], exec, s[94:95]
; %bb.5020:                             ;   in Loop: Header=BB12_4523 Depth=3
	v_bfe_u32 v25, v24, 16, 1
	v_add3_u32 v33, v24, v25, s46
                                        ; implicit-def: $vgpr24
; %bb.5021:                             ;   in Loop: Header=BB12_4523 Depth=3
	s_andn2_saveexec_b64 s[94:95], s[94:95]
	s_cbranch_execz .LBB12_5023
; %bb.5022:                             ;   in Loop: Header=BB12_4523 Depth=3
	buffer_load_dword v26, off, s[0:3], s33 offset:128 ; 4-byte Folded Reload
	buffer_load_dword v27, off, s[0:3], s33 offset:132 ; 4-byte Folded Reload
	v_or_b32_e32 v25, 0x10000, v24
	s_waitcnt vmcnt(1)
	v_cmp_eq_u32_sdwa vcc, v24, v26 src0_sel:WORD_0 src1_sel:DWORD
	v_cndmask_b32_e32 v33, v25, v24, vcc
.LBB12_5023:                            ;   in Loop: Header=BB12_4523 Depth=3
	s_or_b64 exec, exec, s[94:95]
	v_and_b32_e32 v24, 0xffff0000, v57
	v_lshlrev_b32_e32 v25, 16, v34
	v_add_f32_e32 v24, v25, v24
	v_and_b32_e32 v25, 0x7f800000, v24
	v_cmp_ne_u32_e32 vcc, s97, v25
                                        ; implicit-def: $vgpr54
	s_and_saveexec_b64 s[94:95], vcc
	s_xor_b64 s[94:95], exec, s[94:95]
; %bb.5024:                             ;   in Loop: Header=BB12_4523 Depth=3
	v_bfe_u32 v25, v24, 16, 1
	v_add3_u32 v54, v24, v25, s46
                                        ; implicit-def: $vgpr24
; %bb.5025:                             ;   in Loop: Header=BB12_4523 Depth=3
	s_andn2_saveexec_b64 s[94:95], s[94:95]
	s_cbranch_execz .LBB12_5027
; %bb.5026:                             ;   in Loop: Header=BB12_4523 Depth=3
	buffer_load_dword v26, off, s[0:3], s33 offset:128 ; 4-byte Folded Reload
	buffer_load_dword v27, off, s[0:3], s33 offset:132 ; 4-byte Folded Reload
	v_or_b32_e32 v25, 0x10000, v24
	s_waitcnt vmcnt(1)
	v_cmp_eq_u32_sdwa vcc, v24, v26 src0_sel:WORD_0 src1_sel:DWORD
	v_cndmask_b32_e32 v54, v25, v24, vcc
.LBB12_5027:                            ;   in Loop: Header=BB12_4523 Depth=3
	s_or_b64 exec, exec, s[94:95]
	v_and_b32_e32 v24, 0xffff0000, v34
	v_and_b32_e32 v25, 0xffff0000, v58
	v_add_f32_e32 v24, v24, v25
	v_and_b32_e32 v25, 0x7f800000, v24
	v_cmp_ne_u32_e32 vcc, s97, v25
                                        ; implicit-def: $vgpr34
	s_and_saveexec_b64 s[94:95], vcc
	s_xor_b64 s[94:95], exec, s[94:95]
; %bb.5028:                             ;   in Loop: Header=BB12_4523 Depth=3
	v_bfe_u32 v25, v24, 16, 1
	v_add3_u32 v34, v24, v25, s46
                                        ; implicit-def: $vgpr24
; %bb.5029:                             ;   in Loop: Header=BB12_4523 Depth=3
	s_andn2_saveexec_b64 s[94:95], s[94:95]
	s_cbranch_execz .LBB12_5031
; %bb.5030:                             ;   in Loop: Header=BB12_4523 Depth=3
	buffer_load_dword v26, off, s[0:3], s33 offset:128 ; 4-byte Folded Reload
	buffer_load_dword v27, off, s[0:3], s33 offset:132 ; 4-byte Folded Reload
	v_or_b32_e32 v25, 0x10000, v24
	s_waitcnt vmcnt(1)
	v_cmp_eq_u32_sdwa vcc, v24, v26 src0_sel:WORD_0 src1_sel:DWORD
	v_cndmask_b32_e32 v34, v25, v24, vcc
.LBB12_5031:                            ;   in Loop: Header=BB12_4523 Depth=3
	s_or_b64 exec, exec, s[94:95]
	buffer_load_dword v24, off, s[0:3], s33 offset:300 ; 4-byte Folded Reload
	v_lshlrev_b32_e32 v25, 16, v35
                                        ; implicit-def: $vgpr55
	s_waitcnt vmcnt(0)
	v_and_b32_e32 v24, 0xffff0000, v24
	v_add_f32_e32 v24, v25, v24
	v_and_b32_e32 v25, 0x7f800000, v24
	v_cmp_ne_u32_e32 vcc, s97, v25
	s_and_saveexec_b64 s[94:95], vcc
	s_xor_b64 s[94:95], exec, s[94:95]
; %bb.5032:                             ;   in Loop: Header=BB12_4523 Depth=3
	v_bfe_u32 v25, v24, 16, 1
	v_add3_u32 v55, v24, v25, s46
                                        ; implicit-def: $vgpr24
; %bb.5033:                             ;   in Loop: Header=BB12_4523 Depth=3
	s_andn2_saveexec_b64 s[94:95], s[94:95]
	s_cbranch_execz .LBB12_5035
; %bb.5034:                             ;   in Loop: Header=BB12_4523 Depth=3
	buffer_load_dword v26, off, s[0:3], s33 offset:128 ; 4-byte Folded Reload
	buffer_load_dword v27, off, s[0:3], s33 offset:132 ; 4-byte Folded Reload
	v_or_b32_e32 v25, 0x10000, v24
	s_waitcnt vmcnt(1)
	v_cmp_eq_u32_sdwa vcc, v24, v26 src0_sel:WORD_0 src1_sel:DWORD
	v_cndmask_b32_e32 v55, v25, v24, vcc
.LBB12_5035:                            ;   in Loop: Header=BB12_4523 Depth=3
	s_or_b64 exec, exec, s[94:95]
	v_and_b32_e32 v24, 0xffff0000, v35
	v_and_b32_e32 v25, 0xffff0000, v59
	v_add_f32_e32 v25, v24, v25
	v_and_b32_e32 v24, 0x7f800000, v25
	v_cmp_ne_u32_e32 vcc, s97, v24
                                        ; implicit-def: $vgpr24
	s_and_saveexec_b64 s[94:95], vcc
	s_xor_b64 s[94:95], exec, s[94:95]
; %bb.5036:                             ;   in Loop: Header=BB12_4523 Depth=3
	v_bfe_u32 v24, v25, 16, 1
	v_add3_u32 v24, v25, v24, s46
                                        ; implicit-def: $vgpr25
; %bb.5037:                             ;   in Loop: Header=BB12_4523 Depth=3
	s_andn2_saveexec_b64 s[94:95], s[94:95]
	s_cbranch_execz .LBB12_5039
; %bb.5038:                             ;   in Loop: Header=BB12_4523 Depth=3
	buffer_load_dword v26, off, s[0:3], s33 offset:128 ; 4-byte Folded Reload
	buffer_load_dword v27, off, s[0:3], s33 offset:132 ; 4-byte Folded Reload
	v_or_b32_e32 v24, 0x10000, v25
	s_waitcnt vmcnt(1)
	v_cmp_eq_u32_sdwa vcc, v25, v26 src0_sel:WORD_0 src1_sel:DWORD
	v_cndmask_b32_e32 v24, v24, v25, vcc
.LBB12_5039:                            ;   in Loop: Header=BB12_4523 Depth=3
	s_or_b64 exec, exec, s[94:95]
	v_lshrrev_b32_e32 v2, 16, v2
	v_lshrrev_b32_e32 v6, 16, v6
	v_and_or_b32 v3, v3, s47, v2
	v_lshrrev_b32_e32 v2, 16, v52
	v_lshrrev_b32_e32 v25, 16, v37
	;; [unrolled: 1-line block ×3, first 2 shown]
	v_and_or_b32 v37, v8, s47, v6
	v_lshrrev_b32_e32 v6, 16, v23
	v_and_or_b32 v2, v36, s47, v2
	v_and_or_b32 v4, v4, s47, v25
	v_lshrrev_b32_e32 v25, 16, v38
	v_and_or_b32 v36, v7, s47, v12
	v_lshrrev_b32_e32 v7, 16, v18
	;; [unrolled: 2-line block ×3, first 2 shown]
	v_and_or_b32 v35, v11, s47, v7
	v_and_or_b32 v7, v21, s47, v6
	v_lshrrev_b32_e32 v6, 16, v60
	v_lshrrev_b32_e32 v8, 16, v22
	;; [unrolled: 1-line block ×4, first 2 shown]
	v_and_or_b32 v6, v40, s47, v6
	v_and_or_b32 v8, v19, s47, v8
	;; [unrolled: 1-line block ×4, first 2 shown]
	v_lshrrev_b32_e32 v10, 16, v39
	v_lshrrev_b32_e32 v12, 16, v54
	;; [unrolled: 1-line block ×3, first 2 shown]
	v_and_or_b32 v5, v5, s47, v25
	v_and_or_b32 v10, v32, s47, v10
	;; [unrolled: 1-line block ×4, first 2 shown]
	global_store_dwordx4 v[14:15], v[6:9], off glc slc
	global_store_dwordx4 v[14:15], v[35:38], off offset:1024 glc slc
	global_store_dwordx4 v[14:15], v[2:5], off offset:2048 glc slc
	;; [unrolled: 1-line block ×3, first 2 shown]
	v_add_co_u32_e32 v14, vcc, 0x1000, v14
	v_addc_co_u32_e32 v15, vcc, 0, v15, vcc
	s_and_saveexec_b64 s[94:95], s[92:93]
	s_cbranch_execz .LBB12_4522
; %bb.5040:                             ;   in Loop: Header=BB12_4523 Depth=3
	buffer_load_dword v2, off, s[0:3], s33 offset:152 ; 4-byte Folded Reload
	buffer_load_dword v3, off, s[0:3], s33 offset:284 ; 4-byte Folded Reload
	s_waitcnt vmcnt(0)
	v_sub_u32_e32 v3, v3, v2
	buffer_store_dword v3, off, s[0:3], s33 offset:284 ; 4-byte Folded Spill
	buffer_load_dword v2, off, s[0:3], s33 offset:404 ; 4-byte Folded Reload
	s_nop 0
	buffer_load_dword v3, off, s[0:3], s33 offset:408 ; 4-byte Folded Reload
	s_waitcnt vmcnt(1)
	v_add_co_u32_e32 v14, vcc, v14, v2
	s_waitcnt vmcnt(0)
	v_addc_co_u32_e32 v15, vcc, v15, v3, vcc
	v_add_co_u32_e32 v0, vcc, v0, v2
	v_addc_co_u32_e32 v1, vcc, v1, v3, vcc
	v_add_co_u32_e32 v16, vcc, v16, v2
	v_addc_co_u32_e32 v17, vcc, v17, v3, vcc
	s_branch .LBB12_4522
.LBB12_5041:                            ;   in Loop: Header=BB12_2997 Depth=2
	s_mov_b64 s[42:43], 0
	s_andn2_b64 vcc, exec, s[40:41]
	v_mov_b32_e32 v6, 0
	s_cbranch_vccz .LBB12_4520
.LBB12_5042:                            ;   in Loop: Header=BB12_2997 Depth=2
	buffer_load_dword v0, off, s[0:3], s33 offset:596 ; 4-byte Folded Reload
	buffer_load_dword v7, off, s[0:3], s33 offset:580 ; 4-byte Folded Reload
	s_and_saveexec_b64 s[40:41], s[42:43]
	s_cbranch_execnz .LBB12_5514
	s_branch .LBB12_5945
.LBB12_5043:                            ;   in Loop: Header=BB12_2997 Depth=2
	s_or_b64 exec, exec, s[40:41]
	buffer_load_dword v39, off, s[0:3], s33 offset:652 ; 4-byte Folded Reload
	s_and_b64 s[40:41], s[90:91], exec
.LBB12_5044:                            ;   in Loop: Header=BB12_2997 Depth=2
	s_or_b64 exec, exec, s[28:29]
	s_and_saveexec_b64 s[28:29], s[40:41]
	s_cbranch_execz .LBB12_5302
; %bb.5045:                             ;   in Loop: Header=BB12_2997 Depth=2
	s_trap 2
	ds_read_b32 v0, v0
	s_waitcnt lgkmcnt(0)
	v_lshlrev_b32_e32 v1, 16, v0
	v_lshlrev_b32_e32 v0, 16, v28
	v_mul_f32_e32 v2, v0, v1
	v_and_b32_e32 v0, 0x7f800000, v2
	v_cmp_ne_u32_e32 vcc, s97, v0
                                        ; implicit-def: $vgpr0
	s_and_saveexec_b64 s[40:41], vcc
	s_xor_b64 s[40:41], exec, s[40:41]
; %bb.5046:                             ;   in Loop: Header=BB12_2997 Depth=2
	v_bfe_u32 v0, v2, 16, 1
	v_add3_u32 v0, v2, v0, s46
                                        ; implicit-def: $vgpr2
; %bb.5047:                             ;   in Loop: Header=BB12_2997 Depth=2
	s_andn2_saveexec_b64 s[40:41], s[40:41]
	s_cbranch_execz .LBB12_5049
; %bb.5048:                             ;   in Loop: Header=BB12_2997 Depth=2
	buffer_load_dword v3, off, s[0:3], s33 offset:128 ; 4-byte Folded Reload
	buffer_load_dword v4, off, s[0:3], s33 offset:132 ; 4-byte Folded Reload
	v_or_b32_e32 v0, 0x10000, v2
	s_waitcnt vmcnt(1)
	v_cmp_eq_u32_sdwa vcc, v2, v3 src0_sel:WORD_0 src1_sel:DWORD
	v_cndmask_b32_e32 v0, v0, v2, vcc
.LBB12_5049:                            ;   in Loop: Header=BB12_2997 Depth=2
	s_or_b64 exec, exec, s[40:41]
	v_and_b32_e32 v2, 0xffff0000, v28
	v_mul_f32_e32 v2, v2, v1
	v_and_b32_e32 v3, 0x7f800000, v2
	v_cmp_ne_u32_e32 vcc, s97, v3
                                        ; implicit-def: $vgpr22
	s_and_saveexec_b64 s[40:41], vcc
	s_xor_b64 s[40:41], exec, s[40:41]
; %bb.5050:                             ;   in Loop: Header=BB12_2997 Depth=2
	v_bfe_u32 v3, v2, 16, 1
	v_add3_u32 v22, v2, v3, s46
                                        ; implicit-def: $vgpr2
; %bb.5051:                             ;   in Loop: Header=BB12_2997 Depth=2
	s_andn2_saveexec_b64 s[40:41], s[40:41]
	s_cbranch_execz .LBB12_5053
; %bb.5052:                             ;   in Loop: Header=BB12_2997 Depth=2
	buffer_load_dword v4, off, s[0:3], s33 offset:128 ; 4-byte Folded Reload
	buffer_load_dword v5, off, s[0:3], s33 offset:132 ; 4-byte Folded Reload
	v_or_b32_e32 v3, 0x10000, v2
	s_waitcnt vmcnt(1)
	v_cmp_eq_u32_sdwa vcc, v2, v4 src0_sel:WORD_0 src1_sel:DWORD
	v_cndmask_b32_e32 v22, v3, v2, vcc
.LBB12_5053:                            ;   in Loop: Header=BB12_2997 Depth=2
	s_or_b64 exec, exec, s[40:41]
	v_lshlrev_b32_e32 v2, 16, v29
	v_mul_f32_e32 v2, v2, v1
	v_and_b32_e32 v3, 0x7f800000, v2
	v_cmp_ne_u32_e32 vcc, s97, v3
                                        ; implicit-def: $vgpr37
	s_and_saveexec_b64 s[40:41], vcc
	s_xor_b64 s[40:41], exec, s[40:41]
; %bb.5054:                             ;   in Loop: Header=BB12_2997 Depth=2
	v_bfe_u32 v3, v2, 16, 1
	v_add3_u32 v37, v2, v3, s46
                                        ; implicit-def: $vgpr2
; %bb.5055:                             ;   in Loop: Header=BB12_2997 Depth=2
	s_andn2_saveexec_b64 s[40:41], s[40:41]
	s_cbranch_execz .LBB12_5057
; %bb.5056:                             ;   in Loop: Header=BB12_2997 Depth=2
	buffer_load_dword v4, off, s[0:3], s33 offset:128 ; 4-byte Folded Reload
	buffer_load_dword v5, off, s[0:3], s33 offset:132 ; 4-byte Folded Reload
	v_or_b32_e32 v3, 0x10000, v2
	s_waitcnt vmcnt(1)
	v_cmp_eq_u32_sdwa vcc, v2, v4 src0_sel:WORD_0 src1_sel:DWORD
	v_cndmask_b32_e32 v37, v3, v2, vcc
.LBB12_5057:                            ;   in Loop: Header=BB12_2997 Depth=2
	s_or_b64 exec, exec, s[40:41]
	v_and_b32_e32 v2, 0xffff0000, v29
	v_mul_f32_e32 v2, v2, v1
	v_and_b32_e32 v3, 0x7f800000, v2
	v_cmp_ne_u32_e32 vcc, s97, v3
                                        ; implicit-def: $vgpr35
	s_and_saveexec_b64 s[40:41], vcc
	s_xor_b64 s[40:41], exec, s[40:41]
; %bb.5058:                             ;   in Loop: Header=BB12_2997 Depth=2
	v_bfe_u32 v3, v2, 16, 1
	v_add3_u32 v35, v2, v3, s46
                                        ; implicit-def: $vgpr2
; %bb.5059:                             ;   in Loop: Header=BB12_2997 Depth=2
	s_andn2_saveexec_b64 s[40:41], s[40:41]
	s_cbranch_execz .LBB12_5061
; %bb.5060:                             ;   in Loop: Header=BB12_2997 Depth=2
	buffer_load_dword v4, off, s[0:3], s33 offset:128 ; 4-byte Folded Reload
	buffer_load_dword v5, off, s[0:3], s33 offset:132 ; 4-byte Folded Reload
	v_or_b32_e32 v3, 0x10000, v2
	s_waitcnt vmcnt(1)
	v_cmp_eq_u32_sdwa vcc, v2, v4 src0_sel:WORD_0 src1_sel:DWORD
	v_cndmask_b32_e32 v35, v3, v2, vcc
.LBB12_5061:                            ;   in Loop: Header=BB12_2997 Depth=2
	s_or_b64 exec, exec, s[40:41]
	v_lshlrev_b32_e32 v2, 16, v30
	v_mul_f32_e32 v2, v2, v1
	v_and_b32_e32 v3, 0x7f800000, v2
	v_cmp_ne_u32_e32 vcc, s97, v3
                                        ; implicit-def: $vgpr36
	s_and_saveexec_b64 s[40:41], vcc
	s_xor_b64 s[40:41], exec, s[40:41]
; %bb.5062:                             ;   in Loop: Header=BB12_2997 Depth=2
	v_bfe_u32 v3, v2, 16, 1
	v_add3_u32 v36, v2, v3, s46
                                        ; implicit-def: $vgpr2
; %bb.5063:                             ;   in Loop: Header=BB12_2997 Depth=2
	s_andn2_saveexec_b64 s[40:41], s[40:41]
	s_cbranch_execz .LBB12_5065
; %bb.5064:                             ;   in Loop: Header=BB12_2997 Depth=2
	buffer_load_dword v4, off, s[0:3], s33 offset:128 ; 4-byte Folded Reload
	buffer_load_dword v5, off, s[0:3], s33 offset:132 ; 4-byte Folded Reload
	v_or_b32_e32 v3, 0x10000, v2
	s_waitcnt vmcnt(1)
	v_cmp_eq_u32_sdwa vcc, v2, v4 src0_sel:WORD_0 src1_sel:DWORD
	v_cndmask_b32_e32 v36, v3, v2, vcc
.LBB12_5065:                            ;   in Loop: Header=BB12_2997 Depth=2
	s_or_b64 exec, exec, s[40:41]
	v_and_b32_e32 v2, 0xffff0000, v30
	v_mul_f32_e32 v2, v2, v1
	v_and_b32_e32 v3, 0x7f800000, v2
	v_cmp_ne_u32_e32 vcc, s97, v3
                                        ; implicit-def: $vgpr33
	s_and_saveexec_b64 s[40:41], vcc
	s_xor_b64 s[40:41], exec, s[40:41]
; %bb.5066:                             ;   in Loop: Header=BB12_2997 Depth=2
	v_bfe_u32 v3, v2, 16, 1
	v_add3_u32 v33, v2, v3, s46
                                        ; implicit-def: $vgpr2
; %bb.5067:                             ;   in Loop: Header=BB12_2997 Depth=2
	s_andn2_saveexec_b64 s[40:41], s[40:41]
	s_cbranch_execz .LBB12_5069
; %bb.5068:                             ;   in Loop: Header=BB12_2997 Depth=2
	buffer_load_dword v4, off, s[0:3], s33 offset:128 ; 4-byte Folded Reload
	buffer_load_dword v5, off, s[0:3], s33 offset:132 ; 4-byte Folded Reload
	v_or_b32_e32 v3, 0x10000, v2
	s_waitcnt vmcnt(1)
	v_cmp_eq_u32_sdwa vcc, v2, v4 src0_sel:WORD_0 src1_sel:DWORD
	v_cndmask_b32_e32 v33, v3, v2, vcc
.LBB12_5069:                            ;   in Loop: Header=BB12_2997 Depth=2
	s_or_b64 exec, exec, s[40:41]
	v_lshlrev_b32_e32 v2, 16, v31
	v_mul_f32_e32 v2, v2, v1
	v_and_b32_e32 v3, 0x7f800000, v2
	v_cmp_ne_u32_e32 vcc, s97, v3
                                        ; implicit-def: $vgpr34
	s_and_saveexec_b64 s[40:41], vcc
	s_xor_b64 s[40:41], exec, s[40:41]
; %bb.5070:                             ;   in Loop: Header=BB12_2997 Depth=2
	v_bfe_u32 v3, v2, 16, 1
	v_add3_u32 v34, v2, v3, s46
                                        ; implicit-def: $vgpr2
; %bb.5071:                             ;   in Loop: Header=BB12_2997 Depth=2
	s_andn2_saveexec_b64 s[40:41], s[40:41]
	s_cbranch_execz .LBB12_5073
; %bb.5072:                             ;   in Loop: Header=BB12_2997 Depth=2
	buffer_load_dword v4, off, s[0:3], s33 offset:128 ; 4-byte Folded Reload
	buffer_load_dword v5, off, s[0:3], s33 offset:132 ; 4-byte Folded Reload
	v_or_b32_e32 v3, 0x10000, v2
	s_waitcnt vmcnt(1)
	v_cmp_eq_u32_sdwa vcc, v2, v4 src0_sel:WORD_0 src1_sel:DWORD
	v_cndmask_b32_e32 v34, v3, v2, vcc
.LBB12_5073:                            ;   in Loop: Header=BB12_2997 Depth=2
	s_or_b64 exec, exec, s[40:41]
	v_and_b32_e32 v2, 0xffff0000, v31
	v_mul_f32_e32 v2, v2, v1
	v_and_b32_e32 v3, 0x7f800000, v2
	v_cmp_ne_u32_e32 vcc, s97, v3
                                        ; implicit-def: $vgpr31
	s_and_saveexec_b64 s[40:41], vcc
	s_xor_b64 s[40:41], exec, s[40:41]
; %bb.5074:                             ;   in Loop: Header=BB12_2997 Depth=2
	v_bfe_u32 v3, v2, 16, 1
	v_add3_u32 v31, v2, v3, s46
                                        ; implicit-def: $vgpr2
; %bb.5075:                             ;   in Loop: Header=BB12_2997 Depth=2
	s_andn2_saveexec_b64 s[40:41], s[40:41]
	s_cbranch_execz .LBB12_5077
; %bb.5076:                             ;   in Loop: Header=BB12_2997 Depth=2
	buffer_load_dword v4, off, s[0:3], s33 offset:128 ; 4-byte Folded Reload
	buffer_load_dword v5, off, s[0:3], s33 offset:132 ; 4-byte Folded Reload
	v_or_b32_e32 v3, 0x10000, v2
	s_waitcnt vmcnt(1)
	v_cmp_eq_u32_sdwa vcc, v2, v4 src0_sel:WORD_0 src1_sel:DWORD
	v_cndmask_b32_e32 v31, v3, v2, vcc
.LBB12_5077:                            ;   in Loop: Header=BB12_2997 Depth=2
	s_or_b64 exec, exec, s[40:41]
	v_lshlrev_b32_e32 v2, 16, v44
	v_mul_f32_e32 v2, v2, v1
	v_and_b32_e32 v3, 0x7f800000, v2
	v_cmp_ne_u32_e32 vcc, s97, v3
                                        ; implicit-def: $vgpr32
	s_and_saveexec_b64 s[40:41], vcc
	s_xor_b64 s[40:41], exec, s[40:41]
; %bb.5078:                             ;   in Loop: Header=BB12_2997 Depth=2
	v_bfe_u32 v3, v2, 16, 1
	v_add3_u32 v32, v2, v3, s46
                                        ; implicit-def: $vgpr2
; %bb.5079:                             ;   in Loop: Header=BB12_2997 Depth=2
	s_andn2_saveexec_b64 s[40:41], s[40:41]
	s_cbranch_execz .LBB12_5081
; %bb.5080:                             ;   in Loop: Header=BB12_2997 Depth=2
	buffer_load_dword v4, off, s[0:3], s33 offset:128 ; 4-byte Folded Reload
	buffer_load_dword v5, off, s[0:3], s33 offset:132 ; 4-byte Folded Reload
	v_or_b32_e32 v3, 0x10000, v2
	s_waitcnt vmcnt(1)
	v_cmp_eq_u32_sdwa vcc, v2, v4 src0_sel:WORD_0 src1_sel:DWORD
	v_cndmask_b32_e32 v32, v3, v2, vcc
.LBB12_5081:                            ;   in Loop: Header=BB12_2997 Depth=2
	s_or_b64 exec, exec, s[40:41]
	v_and_b32_e32 v2, 0xffff0000, v44
	v_mul_f32_e32 v2, v2, v1
	v_and_b32_e32 v3, 0x7f800000, v2
	v_cmp_ne_u32_e32 vcc, s97, v3
                                        ; implicit-def: $vgpr29
	s_and_saveexec_b64 s[40:41], vcc
	s_xor_b64 s[40:41], exec, s[40:41]
; %bb.5082:                             ;   in Loop: Header=BB12_2997 Depth=2
	v_bfe_u32 v3, v2, 16, 1
	v_add3_u32 v29, v2, v3, s46
                                        ; implicit-def: $vgpr2
; %bb.5083:                             ;   in Loop: Header=BB12_2997 Depth=2
	s_andn2_saveexec_b64 s[40:41], s[40:41]
	s_cbranch_execz .LBB12_5085
; %bb.5084:                             ;   in Loop: Header=BB12_2997 Depth=2
	buffer_load_dword v4, off, s[0:3], s33 offset:128 ; 4-byte Folded Reload
	buffer_load_dword v5, off, s[0:3], s33 offset:132 ; 4-byte Folded Reload
	v_or_b32_e32 v3, 0x10000, v2
	s_waitcnt vmcnt(1)
	v_cmp_eq_u32_sdwa vcc, v2, v4 src0_sel:WORD_0 src1_sel:DWORD
	v_cndmask_b32_e32 v29, v3, v2, vcc
.LBB12_5085:                            ;   in Loop: Header=BB12_2997 Depth=2
	s_or_b64 exec, exec, s[40:41]
	v_lshlrev_b32_e32 v2, 16, v45
	v_mul_f32_e32 v2, v2, v1
	v_and_b32_e32 v3, 0x7f800000, v2
	v_cmp_ne_u32_e32 vcc, s97, v3
                                        ; implicit-def: $vgpr30
	s_and_saveexec_b64 s[40:41], vcc
	s_xor_b64 s[40:41], exec, s[40:41]
; %bb.5086:                             ;   in Loop: Header=BB12_2997 Depth=2
	v_bfe_u32 v3, v2, 16, 1
	v_add3_u32 v30, v2, v3, s46
                                        ; implicit-def: $vgpr2
; %bb.5087:                             ;   in Loop: Header=BB12_2997 Depth=2
	s_andn2_saveexec_b64 s[40:41], s[40:41]
	s_cbranch_execz .LBB12_5089
; %bb.5088:                             ;   in Loop: Header=BB12_2997 Depth=2
	buffer_load_dword v4, off, s[0:3], s33 offset:128 ; 4-byte Folded Reload
	buffer_load_dword v5, off, s[0:3], s33 offset:132 ; 4-byte Folded Reload
	v_or_b32_e32 v3, 0x10000, v2
	s_waitcnt vmcnt(1)
	v_cmp_eq_u32_sdwa vcc, v2, v4 src0_sel:WORD_0 src1_sel:DWORD
	v_cndmask_b32_e32 v30, v3, v2, vcc
.LBB12_5089:                            ;   in Loop: Header=BB12_2997 Depth=2
	s_or_b64 exec, exec, s[40:41]
	v_and_b32_e32 v2, 0xffff0000, v45
	v_mul_f32_e32 v2, v2, v1
	v_and_b32_e32 v3, 0x7f800000, v2
	v_cmp_ne_u32_e32 vcc, s97, v3
                                        ; implicit-def: $vgpr23
	s_and_saveexec_b64 s[40:41], vcc
	s_xor_b64 s[40:41], exec, s[40:41]
; %bb.5090:                             ;   in Loop: Header=BB12_2997 Depth=2
	v_bfe_u32 v3, v2, 16, 1
	v_add3_u32 v23, v2, v3, s46
                                        ; implicit-def: $vgpr2
; %bb.5091:                             ;   in Loop: Header=BB12_2997 Depth=2
	s_andn2_saveexec_b64 s[40:41], s[40:41]
	s_cbranch_execz .LBB12_5093
; %bb.5092:                             ;   in Loop: Header=BB12_2997 Depth=2
	buffer_load_dword v4, off, s[0:3], s33 offset:128 ; 4-byte Folded Reload
	buffer_load_dword v5, off, s[0:3], s33 offset:132 ; 4-byte Folded Reload
	v_or_b32_e32 v3, 0x10000, v2
	s_waitcnt vmcnt(1)
	v_cmp_eq_u32_sdwa vcc, v2, v4 src0_sel:WORD_0 src1_sel:DWORD
	v_cndmask_b32_e32 v23, v3, v2, vcc
.LBB12_5093:                            ;   in Loop: Header=BB12_2997 Depth=2
	s_or_b64 exec, exec, s[40:41]
	v_lshlrev_b32_e32 v2, 16, v46
	v_mul_f32_e32 v2, v2, v1
	v_and_b32_e32 v3, 0x7f800000, v2
	v_cmp_ne_u32_e32 vcc, s97, v3
                                        ; implicit-def: $vgpr28
	s_and_saveexec_b64 s[40:41], vcc
	s_xor_b64 s[40:41], exec, s[40:41]
; %bb.5094:                             ;   in Loop: Header=BB12_2997 Depth=2
	v_bfe_u32 v3, v2, 16, 1
	v_add3_u32 v28, v2, v3, s46
                                        ; implicit-def: $vgpr2
; %bb.5095:                             ;   in Loop: Header=BB12_2997 Depth=2
	s_andn2_saveexec_b64 s[40:41], s[40:41]
	s_cbranch_execz .LBB12_5097
; %bb.5096:                             ;   in Loop: Header=BB12_2997 Depth=2
	buffer_load_dword v4, off, s[0:3], s33 offset:128 ; 4-byte Folded Reload
	buffer_load_dword v5, off, s[0:3], s33 offset:132 ; 4-byte Folded Reload
	v_or_b32_e32 v3, 0x10000, v2
	s_waitcnt vmcnt(1)
	v_cmp_eq_u32_sdwa vcc, v2, v4 src0_sel:WORD_0 src1_sel:DWORD
	v_cndmask_b32_e32 v28, v3, v2, vcc
.LBB12_5097:                            ;   in Loop: Header=BB12_2997 Depth=2
	s_or_b64 exec, exec, s[40:41]
	v_and_b32_e32 v2, 0xffff0000, v46
	v_mul_f32_e32 v2, v2, v1
	v_and_b32_e32 v3, 0x7f800000, v2
	v_cmp_ne_u32_e32 vcc, s97, v3
                                        ; implicit-def: $vgpr20
	s_and_saveexec_b64 s[40:41], vcc
	s_xor_b64 s[40:41], exec, s[40:41]
; %bb.5098:                             ;   in Loop: Header=BB12_2997 Depth=2
	v_bfe_u32 v3, v2, 16, 1
	v_add3_u32 v20, v2, v3, s46
                                        ; implicit-def: $vgpr2
; %bb.5099:                             ;   in Loop: Header=BB12_2997 Depth=2
	s_andn2_saveexec_b64 s[40:41], s[40:41]
	s_cbranch_execz .LBB12_5101
; %bb.5100:                             ;   in Loop: Header=BB12_2997 Depth=2
	buffer_load_dword v4, off, s[0:3], s33 offset:128 ; 4-byte Folded Reload
	buffer_load_dword v5, off, s[0:3], s33 offset:132 ; 4-byte Folded Reload
	v_or_b32_e32 v3, 0x10000, v2
	s_waitcnt vmcnt(1)
	v_cmp_eq_u32_sdwa vcc, v2, v4 src0_sel:WORD_0 src1_sel:DWORD
	v_cndmask_b32_e32 v20, v3, v2, vcc
.LBB12_5101:                            ;   in Loop: Header=BB12_2997 Depth=2
	s_or_b64 exec, exec, s[40:41]
	v_lshlrev_b32_e32 v2, 16, v47
	v_mul_f32_e32 v2, v2, v1
	v_and_b32_e32 v3, 0x7f800000, v2
	v_cmp_ne_u32_e32 vcc, s97, v3
                                        ; implicit-def: $vgpr21
	s_and_saveexec_b64 s[40:41], vcc
	s_xor_b64 s[40:41], exec, s[40:41]
; %bb.5102:                             ;   in Loop: Header=BB12_2997 Depth=2
	v_bfe_u32 v3, v2, 16, 1
	v_add3_u32 v21, v2, v3, s46
                                        ; implicit-def: $vgpr2
; %bb.5103:                             ;   in Loop: Header=BB12_2997 Depth=2
	s_andn2_saveexec_b64 s[40:41], s[40:41]
	s_cbranch_execz .LBB12_5105
; %bb.5104:                             ;   in Loop: Header=BB12_2997 Depth=2
	buffer_load_dword v4, off, s[0:3], s33 offset:128 ; 4-byte Folded Reload
	buffer_load_dword v5, off, s[0:3], s33 offset:132 ; 4-byte Folded Reload
	v_or_b32_e32 v3, 0x10000, v2
	s_waitcnt vmcnt(1)
	v_cmp_eq_u32_sdwa vcc, v2, v4 src0_sel:WORD_0 src1_sel:DWORD
	v_cndmask_b32_e32 v21, v3, v2, vcc
.LBB12_5105:                            ;   in Loop: Header=BB12_2997 Depth=2
	s_or_b64 exec, exec, s[40:41]
	v_and_b32_e32 v2, 0xffff0000, v47
	v_mul_f32_e32 v2, v2, v1
	v_and_b32_e32 v3, 0x7f800000, v2
	v_cmp_ne_u32_e32 vcc, s97, v3
                                        ; implicit-def: $vgpr18
	s_and_saveexec_b64 s[40:41], vcc
	s_xor_b64 s[40:41], exec, s[40:41]
; %bb.5106:                             ;   in Loop: Header=BB12_2997 Depth=2
	v_bfe_u32 v3, v2, 16, 1
	v_add3_u32 v18, v2, v3, s46
                                        ; implicit-def: $vgpr2
; %bb.5107:                             ;   in Loop: Header=BB12_2997 Depth=2
	s_andn2_saveexec_b64 s[40:41], s[40:41]
	s_cbranch_execz .LBB12_5109
; %bb.5108:                             ;   in Loop: Header=BB12_2997 Depth=2
	buffer_load_dword v4, off, s[0:3], s33 offset:128 ; 4-byte Folded Reload
	buffer_load_dword v5, off, s[0:3], s33 offset:132 ; 4-byte Folded Reload
	v_or_b32_e32 v3, 0x10000, v2
	s_waitcnt vmcnt(1)
	v_cmp_eq_u32_sdwa vcc, v2, v4 src0_sel:WORD_0 src1_sel:DWORD
	v_cndmask_b32_e32 v18, v3, v2, vcc
.LBB12_5109:                            ;   in Loop: Header=BB12_2997 Depth=2
	s_or_b64 exec, exec, s[40:41]
	v_lshlrev_b32_e32 v2, 16, v48
	v_mul_f32_e32 v2, v2, v1
	v_and_b32_e32 v3, 0x7f800000, v2
	v_cmp_ne_u32_e32 vcc, s97, v3
                                        ; implicit-def: $vgpr19
	s_and_saveexec_b64 s[40:41], vcc
	s_xor_b64 s[40:41], exec, s[40:41]
; %bb.5110:                             ;   in Loop: Header=BB12_2997 Depth=2
	v_bfe_u32 v3, v2, 16, 1
	v_add3_u32 v19, v2, v3, s46
                                        ; implicit-def: $vgpr2
; %bb.5111:                             ;   in Loop: Header=BB12_2997 Depth=2
	s_andn2_saveexec_b64 s[40:41], s[40:41]
	s_cbranch_execz .LBB12_5113
; %bb.5112:                             ;   in Loop: Header=BB12_2997 Depth=2
	buffer_load_dword v4, off, s[0:3], s33 offset:128 ; 4-byte Folded Reload
	buffer_load_dword v5, off, s[0:3], s33 offset:132 ; 4-byte Folded Reload
	v_or_b32_e32 v3, 0x10000, v2
	s_waitcnt vmcnt(1)
	v_cmp_eq_u32_sdwa vcc, v2, v4 src0_sel:WORD_0 src1_sel:DWORD
	v_cndmask_b32_e32 v19, v3, v2, vcc
.LBB12_5113:                            ;   in Loop: Header=BB12_2997 Depth=2
	s_or_b64 exec, exec, s[40:41]
	v_and_b32_e32 v2, 0xffff0000, v48
	v_mul_f32_e32 v2, v2, v1
	v_and_b32_e32 v3, 0x7f800000, v2
	v_cmp_ne_u32_e32 vcc, s97, v3
                                        ; implicit-def: $vgpr16
	s_and_saveexec_b64 s[40:41], vcc
	s_xor_b64 s[40:41], exec, s[40:41]
; %bb.5114:                             ;   in Loop: Header=BB12_2997 Depth=2
	v_bfe_u32 v3, v2, 16, 1
	v_add3_u32 v16, v2, v3, s46
                                        ; implicit-def: $vgpr2
; %bb.5115:                             ;   in Loop: Header=BB12_2997 Depth=2
	s_andn2_saveexec_b64 s[40:41], s[40:41]
	s_cbranch_execz .LBB12_5117
; %bb.5116:                             ;   in Loop: Header=BB12_2997 Depth=2
	buffer_load_dword v4, off, s[0:3], s33 offset:128 ; 4-byte Folded Reload
	buffer_load_dword v5, off, s[0:3], s33 offset:132 ; 4-byte Folded Reload
	v_or_b32_e32 v3, 0x10000, v2
	s_waitcnt vmcnt(1)
	v_cmp_eq_u32_sdwa vcc, v2, v4 src0_sel:WORD_0 src1_sel:DWORD
	v_cndmask_b32_e32 v16, v3, v2, vcc
.LBB12_5117:                            ;   in Loop: Header=BB12_2997 Depth=2
	s_or_b64 exec, exec, s[40:41]
	v_lshlrev_b32_e32 v2, 16, v49
	v_mul_f32_e32 v2, v2, v1
	v_and_b32_e32 v3, 0x7f800000, v2
	v_cmp_ne_u32_e32 vcc, s97, v3
                                        ; implicit-def: $vgpr17
	s_and_saveexec_b64 s[40:41], vcc
	s_xor_b64 s[40:41], exec, s[40:41]
; %bb.5118:                             ;   in Loop: Header=BB12_2997 Depth=2
	v_bfe_u32 v3, v2, 16, 1
	v_add3_u32 v17, v2, v3, s46
                                        ; implicit-def: $vgpr2
; %bb.5119:                             ;   in Loop: Header=BB12_2997 Depth=2
	s_andn2_saveexec_b64 s[40:41], s[40:41]
	s_cbranch_execz .LBB12_5121
; %bb.5120:                             ;   in Loop: Header=BB12_2997 Depth=2
	buffer_load_dword v4, off, s[0:3], s33 offset:128 ; 4-byte Folded Reload
	buffer_load_dword v5, off, s[0:3], s33 offset:132 ; 4-byte Folded Reload
	v_or_b32_e32 v3, 0x10000, v2
	s_waitcnt vmcnt(1)
	v_cmp_eq_u32_sdwa vcc, v2, v4 src0_sel:WORD_0 src1_sel:DWORD
	v_cndmask_b32_e32 v17, v3, v2, vcc
.LBB12_5121:                            ;   in Loop: Header=BB12_2997 Depth=2
	s_or_b64 exec, exec, s[40:41]
	v_and_b32_e32 v2, 0xffff0000, v49
	v_mul_f32_e32 v2, v2, v1
	v_and_b32_e32 v3, 0x7f800000, v2
	v_cmp_ne_u32_e32 vcc, s97, v3
                                        ; implicit-def: $vgpr12
	s_and_saveexec_b64 s[40:41], vcc
	s_xor_b64 s[40:41], exec, s[40:41]
; %bb.5122:                             ;   in Loop: Header=BB12_2997 Depth=2
	v_bfe_u32 v3, v2, 16, 1
	v_add3_u32 v12, v2, v3, s46
                                        ; implicit-def: $vgpr2
; %bb.5123:                             ;   in Loop: Header=BB12_2997 Depth=2
	s_andn2_saveexec_b64 s[40:41], s[40:41]
	s_cbranch_execz .LBB12_5125
; %bb.5124:                             ;   in Loop: Header=BB12_2997 Depth=2
	buffer_load_dword v4, off, s[0:3], s33 offset:128 ; 4-byte Folded Reload
	buffer_load_dword v5, off, s[0:3], s33 offset:132 ; 4-byte Folded Reload
	v_or_b32_e32 v3, 0x10000, v2
	s_waitcnt vmcnt(1)
	v_cmp_eq_u32_sdwa vcc, v2, v4 src0_sel:WORD_0 src1_sel:DWORD
	v_cndmask_b32_e32 v12, v3, v2, vcc
.LBB12_5125:                            ;   in Loop: Header=BB12_2997 Depth=2
	s_or_b64 exec, exec, s[40:41]
	v_lshlrev_b32_e32 v2, 16, v50
	v_mul_f32_e32 v2, v2, v1
	v_and_b32_e32 v3, 0x7f800000, v2
	v_cmp_ne_u32_e32 vcc, s97, v3
                                        ; implicit-def: $vgpr13
	s_and_saveexec_b64 s[40:41], vcc
	s_xor_b64 s[40:41], exec, s[40:41]
; %bb.5126:                             ;   in Loop: Header=BB12_2997 Depth=2
	v_bfe_u32 v3, v2, 16, 1
	v_add3_u32 v13, v2, v3, s46
                                        ; implicit-def: $vgpr2
; %bb.5127:                             ;   in Loop: Header=BB12_2997 Depth=2
	s_andn2_saveexec_b64 s[40:41], s[40:41]
	s_cbranch_execz .LBB12_5129
; %bb.5128:                             ;   in Loop: Header=BB12_2997 Depth=2
	buffer_load_dword v4, off, s[0:3], s33 offset:128 ; 4-byte Folded Reload
	buffer_load_dword v5, off, s[0:3], s33 offset:132 ; 4-byte Folded Reload
	v_or_b32_e32 v3, 0x10000, v2
	s_waitcnt vmcnt(1)
	v_cmp_eq_u32_sdwa vcc, v2, v4 src0_sel:WORD_0 src1_sel:DWORD
	v_cndmask_b32_e32 v13, v3, v2, vcc
.LBB12_5129:                            ;   in Loop: Header=BB12_2997 Depth=2
	s_or_b64 exec, exec, s[40:41]
	v_and_b32_e32 v2, 0xffff0000, v50
	v_mul_f32_e32 v2, v2, v1
	v_and_b32_e32 v3, 0x7f800000, v2
	v_cmp_ne_u32_e32 vcc, s97, v3
                                        ; implicit-def: $vgpr10
	s_and_saveexec_b64 s[40:41], vcc
	s_xor_b64 s[40:41], exec, s[40:41]
; %bb.5130:                             ;   in Loop: Header=BB12_2997 Depth=2
	v_bfe_u32 v3, v2, 16, 1
	v_add3_u32 v10, v2, v3, s46
                                        ; implicit-def: $vgpr2
; %bb.5131:                             ;   in Loop: Header=BB12_2997 Depth=2
	s_andn2_saveexec_b64 s[40:41], s[40:41]
	s_cbranch_execz .LBB12_5133
; %bb.5132:                             ;   in Loop: Header=BB12_2997 Depth=2
	buffer_load_dword v4, off, s[0:3], s33 offset:128 ; 4-byte Folded Reload
	buffer_load_dword v5, off, s[0:3], s33 offset:132 ; 4-byte Folded Reload
	v_or_b32_e32 v3, 0x10000, v2
	s_waitcnt vmcnt(1)
	v_cmp_eq_u32_sdwa vcc, v2, v4 src0_sel:WORD_0 src1_sel:DWORD
	v_cndmask_b32_e32 v10, v3, v2, vcc
.LBB12_5133:                            ;   in Loop: Header=BB12_2997 Depth=2
	s_or_b64 exec, exec, s[40:41]
	v_lshlrev_b32_e32 v2, 16, v51
	v_mul_f32_e32 v2, v2, v1
	v_and_b32_e32 v3, 0x7f800000, v2
	v_cmp_ne_u32_e32 vcc, s97, v3
                                        ; implicit-def: $vgpr11
	s_and_saveexec_b64 s[40:41], vcc
	s_xor_b64 s[40:41], exec, s[40:41]
; %bb.5134:                             ;   in Loop: Header=BB12_2997 Depth=2
	v_bfe_u32 v3, v2, 16, 1
	v_add3_u32 v11, v2, v3, s46
                                        ; implicit-def: $vgpr2
; %bb.5135:                             ;   in Loop: Header=BB12_2997 Depth=2
	s_andn2_saveexec_b64 s[40:41], s[40:41]
	s_cbranch_execz .LBB12_5137
; %bb.5136:                             ;   in Loop: Header=BB12_2997 Depth=2
	buffer_load_dword v4, off, s[0:3], s33 offset:128 ; 4-byte Folded Reload
	buffer_load_dword v5, off, s[0:3], s33 offset:132 ; 4-byte Folded Reload
	v_or_b32_e32 v3, 0x10000, v2
	s_waitcnt vmcnt(1)
	v_cmp_eq_u32_sdwa vcc, v2, v4 src0_sel:WORD_0 src1_sel:DWORD
	v_cndmask_b32_e32 v11, v3, v2, vcc
.LBB12_5137:                            ;   in Loop: Header=BB12_2997 Depth=2
	s_or_b64 exec, exec, s[40:41]
	v_and_b32_e32 v2, 0xffff0000, v51
	v_mul_f32_e32 v2, v2, v1
	v_and_b32_e32 v3, 0x7f800000, v2
	v_cmp_ne_u32_e32 vcc, s97, v3
                                        ; implicit-def: $vgpr8
	s_and_saveexec_b64 s[40:41], vcc
	s_xor_b64 s[40:41], exec, s[40:41]
; %bb.5138:                             ;   in Loop: Header=BB12_2997 Depth=2
	v_bfe_u32 v3, v2, 16, 1
	v_add3_u32 v8, v2, v3, s46
                                        ; implicit-def: $vgpr2
; %bb.5139:                             ;   in Loop: Header=BB12_2997 Depth=2
	s_andn2_saveexec_b64 s[40:41], s[40:41]
	s_cbranch_execz .LBB12_5141
; %bb.5140:                             ;   in Loop: Header=BB12_2997 Depth=2
	buffer_load_dword v4, off, s[0:3], s33 offset:128 ; 4-byte Folded Reload
	buffer_load_dword v5, off, s[0:3], s33 offset:132 ; 4-byte Folded Reload
	v_or_b32_e32 v3, 0x10000, v2
	s_waitcnt vmcnt(1)
	v_cmp_eq_u32_sdwa vcc, v2, v4 src0_sel:WORD_0 src1_sel:DWORD
	v_cndmask_b32_e32 v8, v3, v2, vcc
.LBB12_5141:                            ;   in Loop: Header=BB12_2997 Depth=2
	s_or_b64 exec, exec, s[40:41]
	buffer_load_dword v2, off, s[0:3], s33 offset:168 ; 4-byte Folded Reload
	buffer_load_dword v3, off, s[0:3], s33 offset:172 ; 4-byte Folded Reload
	buffer_load_dword v4, off, s[0:3], s33 offset:176 ; 4-byte Folded Reload
	buffer_load_dword v5, off, s[0:3], s33 offset:180 ; 4-byte Folded Reload
                                        ; implicit-def: $vgpr9
	s_waitcnt vmcnt(3)
	v_lshlrev_b32_e32 v2, 16, v2
	v_mul_f32_e32 v2, v2, v1
	s_waitcnt vmcnt(2)
	v_and_b32_e32 v3, 0x7f800000, v2
	v_cmp_ne_u32_e32 vcc, s97, v3
	s_and_saveexec_b64 s[40:41], vcc
	s_xor_b64 s[40:41], exec, s[40:41]
; %bb.5142:                             ;   in Loop: Header=BB12_2997 Depth=2
	v_bfe_u32 v3, v2, 16, 1
	v_add3_u32 v9, v2, v3, s46
                                        ; implicit-def: $vgpr2
; %bb.5143:                             ;   in Loop: Header=BB12_2997 Depth=2
	s_andn2_saveexec_b64 s[40:41], s[40:41]
	s_cbranch_execz .LBB12_5145
; %bb.5144:                             ;   in Loop: Header=BB12_2997 Depth=2
	buffer_load_dword v4, off, s[0:3], s33 offset:128 ; 4-byte Folded Reload
	buffer_load_dword v5, off, s[0:3], s33 offset:132 ; 4-byte Folded Reload
	v_or_b32_e32 v3, 0x10000, v2
	s_waitcnt vmcnt(1)
	v_cmp_eq_u32_sdwa vcc, v2, v4 src0_sel:WORD_0 src1_sel:DWORD
	v_cndmask_b32_e32 v9, v3, v2, vcc
.LBB12_5145:                            ;   in Loop: Header=BB12_2997 Depth=2
	s_or_b64 exec, exec, s[40:41]
	buffer_load_dword v2, off, s[0:3], s33 offset:168 ; 4-byte Folded Reload
	buffer_load_dword v3, off, s[0:3], s33 offset:172 ; 4-byte Folded Reload
	;; [unrolled: 1-line block ×4, first 2 shown]
                                        ; implicit-def: $vgpr6
	s_waitcnt vmcnt(3)
	v_and_b32_e32 v2, 0xffff0000, v2
	v_mul_f32_e32 v2, v2, v1
	s_waitcnt vmcnt(2)
	v_and_b32_e32 v3, 0x7f800000, v2
	v_cmp_ne_u32_e32 vcc, s97, v3
	s_and_saveexec_b64 s[40:41], vcc
	s_xor_b64 s[40:41], exec, s[40:41]
; %bb.5146:                             ;   in Loop: Header=BB12_2997 Depth=2
	v_bfe_u32 v3, v2, 16, 1
	v_add3_u32 v6, v2, v3, s46
                                        ; implicit-def: $vgpr2
; %bb.5147:                             ;   in Loop: Header=BB12_2997 Depth=2
	s_andn2_saveexec_b64 s[40:41], s[40:41]
	s_cbranch_execz .LBB12_5149
; %bb.5148:                             ;   in Loop: Header=BB12_2997 Depth=2
	buffer_load_dword v4, off, s[0:3], s33 offset:128 ; 4-byte Folded Reload
	buffer_load_dword v5, off, s[0:3], s33 offset:132 ; 4-byte Folded Reload
	v_or_b32_e32 v3, 0x10000, v2
	s_waitcnt vmcnt(1)
	v_cmp_eq_u32_sdwa vcc, v2, v4 src0_sel:WORD_0 src1_sel:DWORD
	v_cndmask_b32_e32 v6, v3, v2, vcc
.LBB12_5149:                            ;   in Loop: Header=BB12_2997 Depth=2
	s_or_b64 exec, exec, s[40:41]
	buffer_load_dword v2, off, s[0:3], s33 offset:168 ; 4-byte Folded Reload
	buffer_load_dword v3, off, s[0:3], s33 offset:172 ; 4-byte Folded Reload
	;; [unrolled: 1-line block ×4, first 2 shown]
                                        ; implicit-def: $vgpr7
	s_waitcnt vmcnt(2)
	v_lshlrev_b32_e32 v2, 16, v3
	v_mul_f32_e32 v2, v2, v1
	v_and_b32_e32 v3, 0x7f800000, v2
	v_cmp_ne_u32_e32 vcc, s97, v3
	s_and_saveexec_b64 s[40:41], vcc
	s_xor_b64 s[40:41], exec, s[40:41]
; %bb.5150:                             ;   in Loop: Header=BB12_2997 Depth=2
	v_bfe_u32 v3, v2, 16, 1
	v_add3_u32 v7, v2, v3, s46
                                        ; implicit-def: $vgpr2
; %bb.5151:                             ;   in Loop: Header=BB12_2997 Depth=2
	s_andn2_saveexec_b64 s[40:41], s[40:41]
	s_cbranch_execz .LBB12_5153
; %bb.5152:                             ;   in Loop: Header=BB12_2997 Depth=2
	buffer_load_dword v4, off, s[0:3], s33 offset:128 ; 4-byte Folded Reload
	buffer_load_dword v5, off, s[0:3], s33 offset:132 ; 4-byte Folded Reload
	v_or_b32_e32 v3, 0x10000, v2
	s_waitcnt vmcnt(1)
	v_cmp_eq_u32_sdwa vcc, v2, v4 src0_sel:WORD_0 src1_sel:DWORD
	v_cndmask_b32_e32 v7, v3, v2, vcc
.LBB12_5153:                            ;   in Loop: Header=BB12_2997 Depth=2
	s_or_b64 exec, exec, s[40:41]
	buffer_load_dword v2, off, s[0:3], s33 offset:168 ; 4-byte Folded Reload
	buffer_load_dword v3, off, s[0:3], s33 offset:172 ; 4-byte Folded Reload
	buffer_load_dword v4, off, s[0:3], s33 offset:176 ; 4-byte Folded Reload
	buffer_load_dword v5, off, s[0:3], s33 offset:180 ; 4-byte Folded Reload
                                        ; implicit-def: $vgpr4
	s_waitcnt vmcnt(2)
	v_and_b32_e32 v2, 0xffff0000, v3
	v_mul_f32_e32 v2, v2, v1
	v_and_b32_e32 v3, 0x7f800000, v2
	v_cmp_ne_u32_e32 vcc, s97, v3
	s_and_saveexec_b64 s[40:41], vcc
	s_xor_b64 s[40:41], exec, s[40:41]
	s_cbranch_execz .LBB12_5155
; %bb.5154:                             ;   in Loop: Header=BB12_2997 Depth=2
	v_bfe_u32 v3, v2, 16, 1
	s_waitcnt vmcnt(1)
	v_add3_u32 v4, v2, v3, s46
                                        ; implicit-def: $vgpr2
.LBB12_5155:                            ;   in Loop: Header=BB12_2997 Depth=2
	s_andn2_saveexec_b64 s[40:41], s[40:41]
	s_cbranch_execz .LBB12_5157
; %bb.5156:                             ;   in Loop: Header=BB12_2997 Depth=2
	buffer_load_dword v4, off, s[0:3], s33 offset:128 ; 4-byte Folded Reload
	buffer_load_dword v5, off, s[0:3], s33 offset:132 ; 4-byte Folded Reload
	v_or_b32_e32 v3, 0x10000, v2
	s_waitcnt vmcnt(1)
	v_cmp_eq_u32_sdwa vcc, v2, v4 src0_sel:WORD_0 src1_sel:DWORD
	v_cndmask_b32_e32 v4, v3, v2, vcc
.LBB12_5157:                            ;   in Loop: Header=BB12_2997 Depth=2
	s_or_b64 exec, exec, s[40:41]
	buffer_load_dword v24, off, s[0:3], s33 offset:168 ; 4-byte Folded Reload
	buffer_load_dword v25, off, s[0:3], s33 offset:172 ; 4-byte Folded Reload
	;; [unrolled: 1-line block ×4, first 2 shown]
                                        ; implicit-def: $vgpr5
	s_waitcnt vmcnt(1)
	v_lshlrev_b32_e32 v2, 16, v26
	v_mul_f32_e32 v2, v2, v1
	v_and_b32_e32 v3, 0x7f800000, v2
	v_cmp_ne_u32_e32 vcc, s97, v3
	s_and_saveexec_b64 s[40:41], vcc
	s_xor_b64 s[40:41], exec, s[40:41]
; %bb.5158:                             ;   in Loop: Header=BB12_2997 Depth=2
	v_bfe_u32 v3, v2, 16, 1
	v_add3_u32 v5, v2, v3, s46
                                        ; implicit-def: $vgpr2
; %bb.5159:                             ;   in Loop: Header=BB12_2997 Depth=2
	s_andn2_saveexec_b64 s[40:41], s[40:41]
	s_cbranch_execz .LBB12_5161
; %bb.5160:                             ;   in Loop: Header=BB12_2997 Depth=2
	buffer_load_dword v24, off, s[0:3], s33 offset:128 ; 4-byte Folded Reload
	buffer_load_dword v25, off, s[0:3], s33 offset:132 ; 4-byte Folded Reload
	v_or_b32_e32 v3, 0x10000, v2
	s_waitcnt vmcnt(1)
	v_cmp_eq_u32_sdwa vcc, v2, v24 src0_sel:WORD_0 src1_sel:DWORD
	v_cndmask_b32_e32 v5, v3, v2, vcc
.LBB12_5161:                            ;   in Loop: Header=BB12_2997 Depth=2
	s_or_b64 exec, exec, s[40:41]
	buffer_load_dword v24, off, s[0:3], s33 offset:168 ; 4-byte Folded Reload
	buffer_load_dword v25, off, s[0:3], s33 offset:172 ; 4-byte Folded Reload
	;; [unrolled: 1-line block ×4, first 2 shown]
	s_waitcnt vmcnt(1)
	v_and_b32_e32 v2, 0xffff0000, v26
	v_mul_f32_e32 v3, v2, v1
	v_and_b32_e32 v2, 0x7f800000, v3
	v_cmp_ne_u32_e32 vcc, s97, v2
                                        ; implicit-def: $vgpr2
	s_and_saveexec_b64 s[40:41], vcc
	s_xor_b64 s[40:41], exec, s[40:41]
; %bb.5162:                             ;   in Loop: Header=BB12_2997 Depth=2
	v_bfe_u32 v2, v3, 16, 1
	v_add3_u32 v2, v3, v2, s46
                                        ; implicit-def: $vgpr3
; %bb.5163:                             ;   in Loop: Header=BB12_2997 Depth=2
	s_andn2_saveexec_b64 s[40:41], s[40:41]
	s_cbranch_execz .LBB12_5165
; %bb.5164:                             ;   in Loop: Header=BB12_2997 Depth=2
	buffer_load_dword v24, off, s[0:3], s33 offset:128 ; 4-byte Folded Reload
	buffer_load_dword v25, off, s[0:3], s33 offset:132 ; 4-byte Folded Reload
	v_or_b32_e32 v2, 0x10000, v3
	s_waitcnt vmcnt(1)
	v_cmp_eq_u32_sdwa vcc, v3, v24 src0_sel:WORD_0 src1_sel:DWORD
	v_cndmask_b32_e32 v2, v2, v3, vcc
.LBB12_5165:                            ;   in Loop: Header=BB12_2997 Depth=2
	s_or_b64 exec, exec, s[40:41]
	buffer_load_dword v24, off, s[0:3], s33 offset:168 ; 4-byte Folded Reload
	buffer_load_dword v25, off, s[0:3], s33 offset:172 ; 4-byte Folded Reload
	;; [unrolled: 1-line block ×4, first 2 shown]
	s_waitcnt vmcnt(0)
	v_lshlrev_b32_e32 v3, 16, v27
	v_mul_f32_e32 v24, v3, v1
	v_and_b32_e32 v3, 0x7f800000, v24
	v_cmp_ne_u32_e32 vcc, s97, v3
                                        ; implicit-def: $vgpr3
	s_and_saveexec_b64 s[40:41], vcc
	s_xor_b64 s[40:41], exec, s[40:41]
; %bb.5166:                             ;   in Loop: Header=BB12_2997 Depth=2
	v_bfe_u32 v3, v24, 16, 1
	v_add3_u32 v3, v24, v3, s46
                                        ; implicit-def: $vgpr24
; %bb.5167:                             ;   in Loop: Header=BB12_2997 Depth=2
	s_andn2_saveexec_b64 s[40:41], s[40:41]
	s_cbranch_execz .LBB12_5169
; %bb.5168:                             ;   in Loop: Header=BB12_2997 Depth=2
	buffer_load_dword v25, off, s[0:3], s33 offset:128 ; 4-byte Folded Reload
	buffer_load_dword v26, off, s[0:3], s33 offset:132 ; 4-byte Folded Reload
	v_or_b32_e32 v3, 0x10000, v24
	s_waitcnt vmcnt(1)
	v_cmp_eq_u32_sdwa vcc, v24, v25 src0_sel:WORD_0 src1_sel:DWORD
	v_cndmask_b32_e32 v3, v3, v24, vcc
.LBB12_5169:                            ;   in Loop: Header=BB12_2997 Depth=2
	s_or_b64 exec, exec, s[40:41]
	buffer_load_dword v24, off, s[0:3], s33 offset:168 ; 4-byte Folded Reload
	buffer_load_dword v25, off, s[0:3], s33 offset:172 ; 4-byte Folded Reload
	;; [unrolled: 1-line block ×4, first 2 shown]
	s_waitcnt vmcnt(0)
	v_and_b32_e32 v24, 0xffff0000, v27
	v_mul_f32_e32 v24, v24, v1
	v_and_b32_e32 v1, 0x7f800000, v24
	v_cmp_ne_u32_e32 vcc, s97, v1
                                        ; implicit-def: $vgpr1
	s_and_saveexec_b64 s[40:41], vcc
	s_xor_b64 s[40:41], exec, s[40:41]
; %bb.5170:                             ;   in Loop: Header=BB12_2997 Depth=2
	v_bfe_u32 v1, v24, 16, 1
	v_add3_u32 v1, v24, v1, s46
                                        ; implicit-def: $vgpr24
; %bb.5171:                             ;   in Loop: Header=BB12_2997 Depth=2
	s_andn2_saveexec_b64 s[40:41], s[40:41]
	s_cbranch_execz .LBB12_5173
; %bb.5172:                             ;   in Loop: Header=BB12_2997 Depth=2
	buffer_load_dword v25, off, s[0:3], s33 offset:128 ; 4-byte Folded Reload
	buffer_load_dword v26, off, s[0:3], s33 offset:132 ; 4-byte Folded Reload
	v_or_b32_e32 v1, 0x10000, v24
	s_waitcnt vmcnt(1)
	v_cmp_eq_u32_sdwa vcc, v24, v25 src0_sel:WORD_0 src1_sel:DWORD
	v_cndmask_b32_e32 v1, v1, v24, vcc
.LBB12_5173:                            ;   in Loop: Header=BB12_2997 Depth=2
	s_or_b64 exec, exec, s[40:41]
	buffer_load_dword v24, off, s[0:3], s33 offset:240 ; 4-byte Folded Reload
	buffer_load_dword v25, off, s[0:3], s33 offset:244 ; 4-byte Folded Reload
	;; [unrolled: 1-line block ×4, first 2 shown]
	v_and_b32_e32 v0, 0xffff0000, v0
	s_waitcnt vmcnt(3)
	v_lshlrev_b32_e32 v24, 16, v24
	v_add_f32_e32 v24, v24, v0
	v_and_b32_e32 v0, 0x7f800000, v24
	v_cmp_ne_u32_e32 vcc, s97, v0
                                        ; implicit-def: $vgpr0
	s_and_saveexec_b64 s[40:41], vcc
	s_xor_b64 s[40:41], exec, s[40:41]
; %bb.5174:                             ;   in Loop: Header=BB12_2997 Depth=2
	v_bfe_u32 v0, v24, 16, 1
	v_add3_u32 v0, v24, v0, s46
                                        ; implicit-def: $vgpr24
; %bb.5175:                             ;   in Loop: Header=BB12_2997 Depth=2
	s_andn2_saveexec_b64 s[40:41], s[40:41]
	s_cbranch_execz .LBB12_5177
; %bb.5176:                             ;   in Loop: Header=BB12_2997 Depth=2
	buffer_load_dword v25, off, s[0:3], s33 offset:128 ; 4-byte Folded Reload
	buffer_load_dword v26, off, s[0:3], s33 offset:132 ; 4-byte Folded Reload
	v_or_b32_e32 v0, 0x10000, v24
	s_waitcnt vmcnt(1)
	v_cmp_eq_u32_sdwa vcc, v24, v25 src0_sel:WORD_0 src1_sel:DWORD
	v_cndmask_b32_e32 v0, v0, v24, vcc
.LBB12_5177:                            ;   in Loop: Header=BB12_2997 Depth=2
	s_or_b64 exec, exec, s[40:41]
	buffer_load_dword v24, off, s[0:3], s33 offset:240 ; 4-byte Folded Reload
	buffer_load_dword v25, off, s[0:3], s33 offset:244 ; 4-byte Folded Reload
	;; [unrolled: 1-line block ×4, first 2 shown]
	v_and_b32_e32 v22, 0xffff0000, v22
	s_waitcnt vmcnt(3)
	v_and_b32_e32 v24, 0xffff0000, v24
	v_add_f32_e32 v24, v24, v22
	v_and_b32_e32 v22, 0x7f800000, v24
	v_cmp_ne_u32_e32 vcc, s97, v22
                                        ; implicit-def: $vgpr22
	s_and_saveexec_b64 s[40:41], vcc
	s_xor_b64 s[40:41], exec, s[40:41]
; %bb.5178:                             ;   in Loop: Header=BB12_2997 Depth=2
	v_bfe_u32 v22, v24, 16, 1
	v_add3_u32 v22, v24, v22, s46
                                        ; implicit-def: $vgpr24
; %bb.5179:                             ;   in Loop: Header=BB12_2997 Depth=2
	s_andn2_saveexec_b64 s[40:41], s[40:41]
	s_cbranch_execz .LBB12_5181
; %bb.5180:                             ;   in Loop: Header=BB12_2997 Depth=2
	buffer_load_dword v25, off, s[0:3], s33 offset:128 ; 4-byte Folded Reload
	buffer_load_dword v26, off, s[0:3], s33 offset:132 ; 4-byte Folded Reload
	v_or_b32_e32 v22, 0x10000, v24
	s_waitcnt vmcnt(1)
	v_cmp_eq_u32_sdwa vcc, v24, v25 src0_sel:WORD_0 src1_sel:DWORD
	v_cndmask_b32_e32 v22, v22, v24, vcc
.LBB12_5181:                            ;   in Loop: Header=BB12_2997 Depth=2
	s_or_b64 exec, exec, s[40:41]
	buffer_load_dword v48, off, s[0:3], s33 offset:240 ; 4-byte Folded Reload
	buffer_load_dword v49, off, s[0:3], s33 offset:244 ; 4-byte Folded Reload
	;; [unrolled: 1-line block ×4, first 2 shown]
	v_and_b32_e32 v24, 0xffff0000, v37
	s_waitcnt vmcnt(2)
	v_lshlrev_b32_e32 v25, 16, v49
	v_add_f32_e32 v25, v25, v24
	v_and_b32_e32 v24, 0x7f800000, v25
	v_cmp_ne_u32_e32 vcc, s97, v24
                                        ; implicit-def: $vgpr24
	s_and_saveexec_b64 s[40:41], vcc
	s_xor_b64 s[40:41], exec, s[40:41]
; %bb.5182:                             ;   in Loop: Header=BB12_2997 Depth=2
	v_bfe_u32 v24, v25, 16, 1
	v_add3_u32 v24, v25, v24, s46
                                        ; implicit-def: $vgpr25
; %bb.5183:                             ;   in Loop: Header=BB12_2997 Depth=2
	s_andn2_saveexec_b64 s[40:41], s[40:41]
	s_cbranch_execz .LBB12_5185
; %bb.5184:                             ;   in Loop: Header=BB12_2997 Depth=2
	buffer_load_dword v26, off, s[0:3], s33 offset:128 ; 4-byte Folded Reload
	buffer_load_dword v27, off, s[0:3], s33 offset:132 ; 4-byte Folded Reload
	v_or_b32_e32 v24, 0x10000, v25
	s_waitcnt vmcnt(1)
	v_cmp_eq_u32_sdwa vcc, v25, v26 src0_sel:WORD_0 src1_sel:DWORD
	v_cndmask_b32_e32 v24, v24, v25, vcc
.LBB12_5185:                            ;   in Loop: Header=BB12_2997 Depth=2
	s_or_b64 exec, exec, s[40:41]
	buffer_load_dword v48, off, s[0:3], s33 offset:240 ; 4-byte Folded Reload
	buffer_load_dword v49, off, s[0:3], s33 offset:244 ; 4-byte Folded Reload
	;; [unrolled: 1-line block ×4, first 2 shown]
	v_and_b32_e32 v26, 0xffff0000, v35
	s_waitcnt vmcnt(2)
	v_and_b32_e32 v25, 0xffff0000, v49
	v_add_f32_e32 v26, v25, v26
	v_and_b32_e32 v25, 0x7f800000, v26
	v_cmp_ne_u32_e32 vcc, s97, v25
                                        ; implicit-def: $vgpr25
	s_and_saveexec_b64 s[40:41], vcc
	s_xor_b64 s[40:41], exec, s[40:41]
; %bb.5186:                             ;   in Loop: Header=BB12_2997 Depth=2
	v_bfe_u32 v25, v26, 16, 1
	v_add3_u32 v25, v26, v25, s46
                                        ; implicit-def: $vgpr26
; %bb.5187:                             ;   in Loop: Header=BB12_2997 Depth=2
	s_andn2_saveexec_b64 s[40:41], s[40:41]
	s_cbranch_execz .LBB12_5189
; %bb.5188:                             ;   in Loop: Header=BB12_2997 Depth=2
	buffer_load_dword v37, off, s[0:3], s33 offset:128 ; 4-byte Folded Reload
	buffer_load_dword v38, off, s[0:3], s33 offset:132 ; 4-byte Folded Reload
	v_or_b32_e32 v25, 0x10000, v26
	s_waitcnt vmcnt(1)
	v_cmp_eq_u32_sdwa vcc, v26, v37 src0_sel:WORD_0 src1_sel:DWORD
	v_cndmask_b32_e32 v25, v25, v26, vcc
.LBB12_5189:                            ;   in Loop: Header=BB12_2997 Depth=2
	s_or_b64 exec, exec, s[40:41]
	v_and_b32_e32 v26, 0xffff0000, v36
	buffer_load_dword v35, off, s[0:3], s33 offset:240 ; 4-byte Folded Reload
	buffer_load_dword v36, off, s[0:3], s33 offset:244 ; 4-byte Folded Reload
	;; [unrolled: 1-line block ×4, first 2 shown]
	s_waitcnt vmcnt(1)
	v_lshlrev_b32_e32 v27, 16, v37
	v_add_f32_e32 v27, v27, v26
	v_and_b32_e32 v26, 0x7f800000, v27
	v_cmp_ne_u32_e32 vcc, s97, v26
                                        ; implicit-def: $vgpr26
	s_and_saveexec_b64 s[40:41], vcc
	s_xor_b64 s[40:41], exec, s[40:41]
; %bb.5190:                             ;   in Loop: Header=BB12_2997 Depth=2
	v_bfe_u32 v26, v27, 16, 1
	v_add3_u32 v26, v27, v26, s46
                                        ; implicit-def: $vgpr27
; %bb.5191:                             ;   in Loop: Header=BB12_2997 Depth=2
	s_andn2_saveexec_b64 s[40:41], s[40:41]
	s_cbranch_execz .LBB12_5193
; %bb.5192:                             ;   in Loop: Header=BB12_2997 Depth=2
	buffer_load_dword v35, off, s[0:3], s33 offset:128 ; 4-byte Folded Reload
	buffer_load_dword v36, off, s[0:3], s33 offset:132 ; 4-byte Folded Reload
	v_or_b32_e32 v26, 0x10000, v27
	s_waitcnt vmcnt(1)
	v_cmp_eq_u32_sdwa vcc, v27, v35 src0_sel:WORD_0 src1_sel:DWORD
	v_cndmask_b32_e32 v26, v26, v27, vcc
.LBB12_5193:                            ;   in Loop: Header=BB12_2997 Depth=2
	s_or_b64 exec, exec, s[40:41]
	buffer_load_dword v35, off, s[0:3], s33 offset:240 ; 4-byte Folded Reload
	buffer_load_dword v36, off, s[0:3], s33 offset:244 ; 4-byte Folded Reload
	;; [unrolled: 1-line block ×4, first 2 shown]
	v_and_b32_e32 v33, 0xffff0000, v33
	s_waitcnt vmcnt(1)
	v_and_b32_e32 v27, 0xffff0000, v37
	v_add_f32_e32 v33, v27, v33
	v_and_b32_e32 v27, 0x7f800000, v33
	v_cmp_ne_u32_e32 vcc, s97, v27
                                        ; implicit-def: $vgpr27
	s_and_saveexec_b64 s[40:41], vcc
	s_xor_b64 s[40:41], exec, s[40:41]
; %bb.5194:                             ;   in Loop: Header=BB12_2997 Depth=2
	v_bfe_u32 v27, v33, 16, 1
	v_add3_u32 v27, v33, v27, s46
                                        ; implicit-def: $vgpr33
; %bb.5195:                             ;   in Loop: Header=BB12_2997 Depth=2
	s_andn2_saveexec_b64 s[40:41], s[40:41]
	s_cbranch_execz .LBB12_5197
; %bb.5196:                             ;   in Loop: Header=BB12_2997 Depth=2
	buffer_load_dword v35, off, s[0:3], s33 offset:128 ; 4-byte Folded Reload
	buffer_load_dword v36, off, s[0:3], s33 offset:132 ; 4-byte Folded Reload
	v_or_b32_e32 v27, 0x10000, v33
	s_waitcnt vmcnt(1)
	v_cmp_eq_u32_sdwa vcc, v33, v35 src0_sel:WORD_0 src1_sel:DWORD
	v_cndmask_b32_e32 v27, v27, v33, vcc
.LBB12_5197:                            ;   in Loop: Header=BB12_2997 Depth=2
	s_or_b64 exec, exec, s[40:41]
	v_and_b32_e32 v33, 0xffff0000, v34
	buffer_load_dword v34, off, s[0:3], s33 offset:240 ; 4-byte Folded Reload
	buffer_load_dword v35, off, s[0:3], s33 offset:244 ; 4-byte Folded Reload
	;; [unrolled: 1-line block ×4, first 2 shown]
	s_waitcnt vmcnt(0)
	v_lshlrev_b32_e32 v34, 16, v37
	v_add_f32_e32 v34, v34, v33
	v_and_b32_e32 v33, 0x7f800000, v34
	v_cmp_ne_u32_e32 vcc, s97, v33
                                        ; implicit-def: $vgpr33
	s_and_saveexec_b64 s[40:41], vcc
	s_xor_b64 s[40:41], exec, s[40:41]
; %bb.5198:                             ;   in Loop: Header=BB12_2997 Depth=2
	v_bfe_u32 v33, v34, 16, 1
	v_add3_u32 v33, v34, v33, s46
                                        ; implicit-def: $vgpr34
; %bb.5199:                             ;   in Loop: Header=BB12_2997 Depth=2
	s_andn2_saveexec_b64 s[40:41], s[40:41]
	s_cbranch_execz .LBB12_5201
; %bb.5200:                             ;   in Loop: Header=BB12_2997 Depth=2
	buffer_load_dword v35, off, s[0:3], s33 offset:128 ; 4-byte Folded Reload
	buffer_load_dword v36, off, s[0:3], s33 offset:132 ; 4-byte Folded Reload
	v_or_b32_e32 v33, 0x10000, v34
	s_waitcnt vmcnt(1)
	v_cmp_eq_u32_sdwa vcc, v34, v35 src0_sel:WORD_0 src1_sel:DWORD
	v_cndmask_b32_e32 v33, v33, v34, vcc
.LBB12_5201:                            ;   in Loop: Header=BB12_2997 Depth=2
	s_or_b64 exec, exec, s[40:41]
	buffer_load_dword v34, off, s[0:3], s33 offset:240 ; 4-byte Folded Reload
	buffer_load_dword v35, off, s[0:3], s33 offset:244 ; 4-byte Folded Reload
	;; [unrolled: 1-line block ×4, first 2 shown]
	v_and_b32_e32 v31, 0xffff0000, v31
	s_waitcnt vmcnt(0)
	v_and_b32_e32 v34, 0xffff0000, v37
	v_add_f32_e32 v34, v34, v31
	v_and_b32_e32 v31, 0x7f800000, v34
	v_cmp_ne_u32_e32 vcc, s97, v31
                                        ; implicit-def: $vgpr31
	s_and_saveexec_b64 s[40:41], vcc
	s_xor_b64 s[40:41], exec, s[40:41]
; %bb.5202:                             ;   in Loop: Header=BB12_2997 Depth=2
	v_bfe_u32 v31, v34, 16, 1
	v_add3_u32 v31, v34, v31, s46
                                        ; implicit-def: $vgpr34
; %bb.5203:                             ;   in Loop: Header=BB12_2997 Depth=2
	s_andn2_saveexec_b64 s[40:41], s[40:41]
	s_cbranch_execz .LBB12_5205
; %bb.5204:                             ;   in Loop: Header=BB12_2997 Depth=2
	buffer_load_dword v35, off, s[0:3], s33 offset:128 ; 4-byte Folded Reload
	buffer_load_dword v36, off, s[0:3], s33 offset:132 ; 4-byte Folded Reload
	v_or_b32_e32 v31, 0x10000, v34
	s_waitcnt vmcnt(1)
	v_cmp_eq_u32_sdwa vcc, v34, v35 src0_sel:WORD_0 src1_sel:DWORD
	v_cndmask_b32_e32 v31, v31, v34, vcc
.LBB12_5205:                            ;   in Loop: Header=BB12_2997 Depth=2
	s_or_b64 exec, exec, s[40:41]
	buffer_load_dword v34, off, s[0:3], s33 offset:216 ; 4-byte Folded Reload
	buffer_load_dword v35, off, s[0:3], s33 offset:220 ; 4-byte Folded Reload
	;; [unrolled: 1-line block ×4, first 2 shown]
	v_and_b32_e32 v32, 0xffff0000, v32
	s_waitcnt vmcnt(3)
	v_lshlrev_b32_e32 v34, 16, v34
	v_add_f32_e32 v34, v34, v32
	v_and_b32_e32 v32, 0x7f800000, v34
	v_cmp_ne_u32_e32 vcc, s97, v32
                                        ; implicit-def: $vgpr32
	s_and_saveexec_b64 s[40:41], vcc
	s_xor_b64 s[40:41], exec, s[40:41]
; %bb.5206:                             ;   in Loop: Header=BB12_2997 Depth=2
	v_bfe_u32 v32, v34, 16, 1
	v_add3_u32 v32, v34, v32, s46
                                        ; implicit-def: $vgpr34
; %bb.5207:                             ;   in Loop: Header=BB12_2997 Depth=2
	s_andn2_saveexec_b64 s[40:41], s[40:41]
	s_cbranch_execz .LBB12_5209
; %bb.5208:                             ;   in Loop: Header=BB12_2997 Depth=2
	buffer_load_dword v35, off, s[0:3], s33 offset:128 ; 4-byte Folded Reload
	buffer_load_dword v36, off, s[0:3], s33 offset:132 ; 4-byte Folded Reload
	v_or_b32_e32 v32, 0x10000, v34
	s_waitcnt vmcnt(1)
	v_cmp_eq_u32_sdwa vcc, v34, v35 src0_sel:WORD_0 src1_sel:DWORD
	v_cndmask_b32_e32 v32, v32, v34, vcc
.LBB12_5209:                            ;   in Loop: Header=BB12_2997 Depth=2
	s_or_b64 exec, exec, s[40:41]
	buffer_load_dword v34, off, s[0:3], s33 offset:216 ; 4-byte Folded Reload
	buffer_load_dword v35, off, s[0:3], s33 offset:220 ; 4-byte Folded Reload
	;; [unrolled: 1-line block ×4, first 2 shown]
	v_and_b32_e32 v29, 0xffff0000, v29
	s_waitcnt vmcnt(3)
	v_and_b32_e32 v34, 0xffff0000, v34
	v_add_f32_e32 v34, v34, v29
	v_and_b32_e32 v29, 0x7f800000, v34
	v_cmp_ne_u32_e32 vcc, s97, v29
                                        ; implicit-def: $vgpr29
	s_and_saveexec_b64 s[40:41], vcc
	s_xor_b64 s[40:41], exec, s[40:41]
; %bb.5210:                             ;   in Loop: Header=BB12_2997 Depth=2
	v_bfe_u32 v29, v34, 16, 1
	v_add3_u32 v29, v34, v29, s46
                                        ; implicit-def: $vgpr34
; %bb.5211:                             ;   in Loop: Header=BB12_2997 Depth=2
	s_andn2_saveexec_b64 s[40:41], s[40:41]
	s_cbranch_execz .LBB12_5213
; %bb.5212:                             ;   in Loop: Header=BB12_2997 Depth=2
	buffer_load_dword v35, off, s[0:3], s33 offset:128 ; 4-byte Folded Reload
	buffer_load_dword v36, off, s[0:3], s33 offset:132 ; 4-byte Folded Reload
	v_or_b32_e32 v29, 0x10000, v34
	s_waitcnt vmcnt(1)
	v_cmp_eq_u32_sdwa vcc, v34, v35 src0_sel:WORD_0 src1_sel:DWORD
	v_cndmask_b32_e32 v29, v29, v34, vcc
.LBB12_5213:                            ;   in Loop: Header=BB12_2997 Depth=2
	s_or_b64 exec, exec, s[40:41]
	buffer_load_dword v34, off, s[0:3], s33 offset:216 ; 4-byte Folded Reload
	buffer_load_dword v35, off, s[0:3], s33 offset:220 ; 4-byte Folded Reload
	;; [unrolled: 1-line block ×4, first 2 shown]
	v_and_b32_e32 v30, 0xffff0000, v30
	s_waitcnt vmcnt(2)
	v_lshlrev_b32_e32 v34, 16, v35
	v_add_f32_e32 v34, v34, v30
	v_and_b32_e32 v30, 0x7f800000, v34
	v_cmp_ne_u32_e32 vcc, s97, v30
                                        ; implicit-def: $vgpr30
	s_and_saveexec_b64 s[40:41], vcc
	s_xor_b64 s[40:41], exec, s[40:41]
; %bb.5214:                             ;   in Loop: Header=BB12_2997 Depth=2
	v_bfe_u32 v30, v34, 16, 1
	v_add3_u32 v30, v34, v30, s46
                                        ; implicit-def: $vgpr34
; %bb.5215:                             ;   in Loop: Header=BB12_2997 Depth=2
	s_andn2_saveexec_b64 s[40:41], s[40:41]
	s_cbranch_execz .LBB12_5217
; %bb.5216:                             ;   in Loop: Header=BB12_2997 Depth=2
	buffer_load_dword v35, off, s[0:3], s33 offset:128 ; 4-byte Folded Reload
	buffer_load_dword v36, off, s[0:3], s33 offset:132 ; 4-byte Folded Reload
	v_or_b32_e32 v30, 0x10000, v34
	s_waitcnt vmcnt(1)
	v_cmp_eq_u32_sdwa vcc, v34, v35 src0_sel:WORD_0 src1_sel:DWORD
	v_cndmask_b32_e32 v30, v30, v34, vcc
.LBB12_5217:                            ;   in Loop: Header=BB12_2997 Depth=2
	s_or_b64 exec, exec, s[40:41]
	buffer_load_dword v34, off, s[0:3], s33 offset:216 ; 4-byte Folded Reload
	buffer_load_dword v35, off, s[0:3], s33 offset:220 ; 4-byte Folded Reload
	;; [unrolled: 1-line block ×4, first 2 shown]
	v_and_b32_e32 v23, 0xffff0000, v23
	s_waitcnt vmcnt(2)
	v_and_b32_e32 v34, 0xffff0000, v35
	v_add_f32_e32 v34, v34, v23
	v_and_b32_e32 v23, 0x7f800000, v34
	v_cmp_ne_u32_e32 vcc, s97, v23
                                        ; implicit-def: $vgpr23
	s_and_saveexec_b64 s[40:41], vcc
	s_xor_b64 s[40:41], exec, s[40:41]
; %bb.5218:                             ;   in Loop: Header=BB12_2997 Depth=2
	v_bfe_u32 v23, v34, 16, 1
	v_add3_u32 v23, v34, v23, s46
                                        ; implicit-def: $vgpr34
; %bb.5219:                             ;   in Loop: Header=BB12_2997 Depth=2
	s_andn2_saveexec_b64 s[40:41], s[40:41]
	s_cbranch_execz .LBB12_5221
; %bb.5220:                             ;   in Loop: Header=BB12_2997 Depth=2
	buffer_load_dword v35, off, s[0:3], s33 offset:128 ; 4-byte Folded Reload
	buffer_load_dword v36, off, s[0:3], s33 offset:132 ; 4-byte Folded Reload
	v_or_b32_e32 v23, 0x10000, v34
	s_waitcnt vmcnt(1)
	v_cmp_eq_u32_sdwa vcc, v34, v35 src0_sel:WORD_0 src1_sel:DWORD
	v_cndmask_b32_e32 v23, v23, v34, vcc
.LBB12_5221:                            ;   in Loop: Header=BB12_2997 Depth=2
	s_or_b64 exec, exec, s[40:41]
	buffer_load_dword v34, off, s[0:3], s33 offset:216 ; 4-byte Folded Reload
	buffer_load_dword v35, off, s[0:3], s33 offset:220 ; 4-byte Folded Reload
	;; [unrolled: 1-line block ×4, first 2 shown]
	v_and_b32_e32 v28, 0xffff0000, v28
	s_waitcnt vmcnt(1)
	v_lshlrev_b32_e32 v34, 16, v36
	v_add_f32_e32 v34, v34, v28
	v_and_b32_e32 v28, 0x7f800000, v34
	v_cmp_ne_u32_e32 vcc, s97, v28
                                        ; implicit-def: $vgpr28
	s_and_saveexec_b64 s[40:41], vcc
	s_xor_b64 s[40:41], exec, s[40:41]
; %bb.5222:                             ;   in Loop: Header=BB12_2997 Depth=2
	v_bfe_u32 v28, v34, 16, 1
	v_add3_u32 v28, v34, v28, s46
                                        ; implicit-def: $vgpr34
; %bb.5223:                             ;   in Loop: Header=BB12_2997 Depth=2
	s_andn2_saveexec_b64 s[40:41], s[40:41]
	s_cbranch_execz .LBB12_5225
; %bb.5224:                             ;   in Loop: Header=BB12_2997 Depth=2
	buffer_load_dword v35, off, s[0:3], s33 offset:128 ; 4-byte Folded Reload
	buffer_load_dword v36, off, s[0:3], s33 offset:132 ; 4-byte Folded Reload
	v_or_b32_e32 v28, 0x10000, v34
	s_waitcnt vmcnt(1)
	v_cmp_eq_u32_sdwa vcc, v34, v35 src0_sel:WORD_0 src1_sel:DWORD
	v_cndmask_b32_e32 v28, v28, v34, vcc
.LBB12_5225:                            ;   in Loop: Header=BB12_2997 Depth=2
	s_or_b64 exec, exec, s[40:41]
	buffer_load_dword v34, off, s[0:3], s33 offset:216 ; 4-byte Folded Reload
	buffer_load_dword v35, off, s[0:3], s33 offset:220 ; 4-byte Folded Reload
	;; [unrolled: 1-line block ×4, first 2 shown]
	v_and_b32_e32 v20, 0xffff0000, v20
	s_waitcnt vmcnt(1)
	v_and_b32_e32 v34, 0xffff0000, v36
	v_add_f32_e32 v34, v34, v20
	v_and_b32_e32 v20, 0x7f800000, v34
	v_cmp_ne_u32_e32 vcc, s97, v20
                                        ; implicit-def: $vgpr20
	s_and_saveexec_b64 s[40:41], vcc
	s_xor_b64 s[40:41], exec, s[40:41]
; %bb.5226:                             ;   in Loop: Header=BB12_2997 Depth=2
	v_bfe_u32 v20, v34, 16, 1
	v_add3_u32 v20, v34, v20, s46
                                        ; implicit-def: $vgpr34
; %bb.5227:                             ;   in Loop: Header=BB12_2997 Depth=2
	s_andn2_saveexec_b64 s[40:41], s[40:41]
	s_cbranch_execz .LBB12_5229
; %bb.5228:                             ;   in Loop: Header=BB12_2997 Depth=2
	buffer_load_dword v35, off, s[0:3], s33 offset:128 ; 4-byte Folded Reload
	buffer_load_dword v36, off, s[0:3], s33 offset:132 ; 4-byte Folded Reload
	v_or_b32_e32 v20, 0x10000, v34
	s_waitcnt vmcnt(1)
	v_cmp_eq_u32_sdwa vcc, v34, v35 src0_sel:WORD_0 src1_sel:DWORD
	v_cndmask_b32_e32 v20, v20, v34, vcc
.LBB12_5229:                            ;   in Loop: Header=BB12_2997 Depth=2
	s_or_b64 exec, exec, s[40:41]
	buffer_load_dword v34, off, s[0:3], s33 offset:216 ; 4-byte Folded Reload
	buffer_load_dword v35, off, s[0:3], s33 offset:220 ; 4-byte Folded Reload
	;; [unrolled: 1-line block ×4, first 2 shown]
	v_and_b32_e32 v21, 0xffff0000, v21
	s_waitcnt vmcnt(0)
	v_lshlrev_b32_e32 v34, 16, v37
	v_add_f32_e32 v34, v34, v21
	v_and_b32_e32 v21, 0x7f800000, v34
	v_cmp_ne_u32_e32 vcc, s97, v21
                                        ; implicit-def: $vgpr21
	s_and_saveexec_b64 s[40:41], vcc
	s_xor_b64 s[40:41], exec, s[40:41]
; %bb.5230:                             ;   in Loop: Header=BB12_2997 Depth=2
	v_bfe_u32 v21, v34, 16, 1
	v_add3_u32 v21, v34, v21, s46
                                        ; implicit-def: $vgpr34
; %bb.5231:                             ;   in Loop: Header=BB12_2997 Depth=2
	s_andn2_saveexec_b64 s[40:41], s[40:41]
	s_cbranch_execz .LBB12_5233
; %bb.5232:                             ;   in Loop: Header=BB12_2997 Depth=2
	buffer_load_dword v35, off, s[0:3], s33 offset:128 ; 4-byte Folded Reload
	buffer_load_dword v36, off, s[0:3], s33 offset:132 ; 4-byte Folded Reload
	v_or_b32_e32 v21, 0x10000, v34
	s_waitcnt vmcnt(1)
	v_cmp_eq_u32_sdwa vcc, v34, v35 src0_sel:WORD_0 src1_sel:DWORD
	v_cndmask_b32_e32 v21, v21, v34, vcc
.LBB12_5233:                            ;   in Loop: Header=BB12_2997 Depth=2
	s_or_b64 exec, exec, s[40:41]
	buffer_load_dword v34, off, s[0:3], s33 offset:216 ; 4-byte Folded Reload
	buffer_load_dword v35, off, s[0:3], s33 offset:220 ; 4-byte Folded Reload
	;; [unrolled: 1-line block ×4, first 2 shown]
	v_and_b32_e32 v18, 0xffff0000, v18
	s_waitcnt vmcnt(0)
	v_and_b32_e32 v34, 0xffff0000, v37
	v_add_f32_e32 v34, v34, v18
	v_and_b32_e32 v18, 0x7f800000, v34
	v_cmp_ne_u32_e32 vcc, s97, v18
                                        ; implicit-def: $vgpr18
	s_and_saveexec_b64 s[40:41], vcc
	s_xor_b64 s[40:41], exec, s[40:41]
; %bb.5234:                             ;   in Loop: Header=BB12_2997 Depth=2
	v_bfe_u32 v18, v34, 16, 1
	v_add3_u32 v18, v34, v18, s46
                                        ; implicit-def: $vgpr34
; %bb.5235:                             ;   in Loop: Header=BB12_2997 Depth=2
	s_andn2_saveexec_b64 s[40:41], s[40:41]
	s_cbranch_execz .LBB12_5237
; %bb.5236:                             ;   in Loop: Header=BB12_2997 Depth=2
	buffer_load_dword v35, off, s[0:3], s33 offset:128 ; 4-byte Folded Reload
	buffer_load_dword v36, off, s[0:3], s33 offset:132 ; 4-byte Folded Reload
	v_or_b32_e32 v18, 0x10000, v34
	s_waitcnt vmcnt(1)
	v_cmp_eq_u32_sdwa vcc, v34, v35 src0_sel:WORD_0 src1_sel:DWORD
	v_cndmask_b32_e32 v18, v18, v34, vcc
.LBB12_5237:                            ;   in Loop: Header=BB12_2997 Depth=2
	s_or_b64 exec, exec, s[40:41]
	buffer_load_dword v34, off, s[0:3], s33 offset:200 ; 4-byte Folded Reload
	buffer_load_dword v35, off, s[0:3], s33 offset:204 ; 4-byte Folded Reload
	;; [unrolled: 1-line block ×4, first 2 shown]
	v_and_b32_e32 v19, 0xffff0000, v19
	s_waitcnt vmcnt(3)
	v_lshlrev_b32_e32 v34, 16, v34
	v_add_f32_e32 v34, v34, v19
	v_and_b32_e32 v19, 0x7f800000, v34
	v_cmp_ne_u32_e32 vcc, s97, v19
                                        ; implicit-def: $vgpr19
	s_and_saveexec_b64 s[40:41], vcc
	s_xor_b64 s[40:41], exec, s[40:41]
; %bb.5238:                             ;   in Loop: Header=BB12_2997 Depth=2
	v_bfe_u32 v19, v34, 16, 1
	v_add3_u32 v19, v34, v19, s46
                                        ; implicit-def: $vgpr34
; %bb.5239:                             ;   in Loop: Header=BB12_2997 Depth=2
	s_andn2_saveexec_b64 s[40:41], s[40:41]
	s_cbranch_execz .LBB12_5241
; %bb.5240:                             ;   in Loop: Header=BB12_2997 Depth=2
	buffer_load_dword v35, off, s[0:3], s33 offset:128 ; 4-byte Folded Reload
	buffer_load_dword v36, off, s[0:3], s33 offset:132 ; 4-byte Folded Reload
	v_or_b32_e32 v19, 0x10000, v34
	s_waitcnt vmcnt(1)
	v_cmp_eq_u32_sdwa vcc, v34, v35 src0_sel:WORD_0 src1_sel:DWORD
	v_cndmask_b32_e32 v19, v19, v34, vcc
.LBB12_5241:                            ;   in Loop: Header=BB12_2997 Depth=2
	s_or_b64 exec, exec, s[40:41]
	buffer_load_dword v34, off, s[0:3], s33 offset:200 ; 4-byte Folded Reload
	buffer_load_dword v35, off, s[0:3], s33 offset:204 ; 4-byte Folded Reload
	;; [unrolled: 1-line block ×4, first 2 shown]
	v_and_b32_e32 v16, 0xffff0000, v16
	s_waitcnt vmcnt(3)
	v_and_b32_e32 v34, 0xffff0000, v34
	v_add_f32_e32 v34, v34, v16
	v_and_b32_e32 v16, 0x7f800000, v34
	v_cmp_ne_u32_e32 vcc, s97, v16
                                        ; implicit-def: $vgpr16
	s_and_saveexec_b64 s[40:41], vcc
	s_xor_b64 s[40:41], exec, s[40:41]
; %bb.5242:                             ;   in Loop: Header=BB12_2997 Depth=2
	v_bfe_u32 v16, v34, 16, 1
	v_add3_u32 v16, v34, v16, s46
                                        ; implicit-def: $vgpr34
; %bb.5243:                             ;   in Loop: Header=BB12_2997 Depth=2
	s_andn2_saveexec_b64 s[40:41], s[40:41]
	s_cbranch_execz .LBB12_5245
; %bb.5244:                             ;   in Loop: Header=BB12_2997 Depth=2
	buffer_load_dword v35, off, s[0:3], s33 offset:128 ; 4-byte Folded Reload
	buffer_load_dword v36, off, s[0:3], s33 offset:132 ; 4-byte Folded Reload
	v_or_b32_e32 v16, 0x10000, v34
	s_waitcnt vmcnt(1)
	v_cmp_eq_u32_sdwa vcc, v34, v35 src0_sel:WORD_0 src1_sel:DWORD
	v_cndmask_b32_e32 v16, v16, v34, vcc
.LBB12_5245:                            ;   in Loop: Header=BB12_2997 Depth=2
	s_or_b64 exec, exec, s[40:41]
	buffer_load_dword v34, off, s[0:3], s33 offset:200 ; 4-byte Folded Reload
	buffer_load_dword v35, off, s[0:3], s33 offset:204 ; 4-byte Folded Reload
	;; [unrolled: 1-line block ×4, first 2 shown]
	v_and_b32_e32 v17, 0xffff0000, v17
	s_waitcnt vmcnt(2)
	v_lshlrev_b32_e32 v34, 16, v35
	v_add_f32_e32 v34, v34, v17
	v_and_b32_e32 v17, 0x7f800000, v34
	v_cmp_ne_u32_e32 vcc, s97, v17
                                        ; implicit-def: $vgpr17
	s_and_saveexec_b64 s[40:41], vcc
	s_xor_b64 s[40:41], exec, s[40:41]
; %bb.5246:                             ;   in Loop: Header=BB12_2997 Depth=2
	v_bfe_u32 v17, v34, 16, 1
	v_add3_u32 v17, v34, v17, s46
                                        ; implicit-def: $vgpr34
; %bb.5247:                             ;   in Loop: Header=BB12_2997 Depth=2
	s_andn2_saveexec_b64 s[40:41], s[40:41]
	s_cbranch_execz .LBB12_5249
; %bb.5248:                             ;   in Loop: Header=BB12_2997 Depth=2
	buffer_load_dword v35, off, s[0:3], s33 offset:128 ; 4-byte Folded Reload
	buffer_load_dword v36, off, s[0:3], s33 offset:132 ; 4-byte Folded Reload
	v_or_b32_e32 v17, 0x10000, v34
	s_waitcnt vmcnt(1)
	v_cmp_eq_u32_sdwa vcc, v34, v35 src0_sel:WORD_0 src1_sel:DWORD
	v_cndmask_b32_e32 v17, v17, v34, vcc
.LBB12_5249:                            ;   in Loop: Header=BB12_2997 Depth=2
	s_or_b64 exec, exec, s[40:41]
	buffer_load_dword v34, off, s[0:3], s33 offset:200 ; 4-byte Folded Reload
	buffer_load_dword v35, off, s[0:3], s33 offset:204 ; 4-byte Folded Reload
	;; [unrolled: 1-line block ×4, first 2 shown]
	v_and_b32_e32 v12, 0xffff0000, v12
	s_waitcnt vmcnt(2)
	v_and_b32_e32 v34, 0xffff0000, v35
	v_add_f32_e32 v34, v34, v12
	v_and_b32_e32 v12, 0x7f800000, v34
	v_cmp_ne_u32_e32 vcc, s97, v12
                                        ; implicit-def: $vgpr12
	s_and_saveexec_b64 s[40:41], vcc
	s_xor_b64 s[40:41], exec, s[40:41]
; %bb.5250:                             ;   in Loop: Header=BB12_2997 Depth=2
	v_bfe_u32 v12, v34, 16, 1
	v_add3_u32 v12, v34, v12, s46
                                        ; implicit-def: $vgpr34
; %bb.5251:                             ;   in Loop: Header=BB12_2997 Depth=2
	s_andn2_saveexec_b64 s[40:41], s[40:41]
	s_cbranch_execz .LBB12_5253
; %bb.5252:                             ;   in Loop: Header=BB12_2997 Depth=2
	buffer_load_dword v35, off, s[0:3], s33 offset:128 ; 4-byte Folded Reload
	buffer_load_dword v36, off, s[0:3], s33 offset:132 ; 4-byte Folded Reload
	v_or_b32_e32 v12, 0x10000, v34
	s_waitcnt vmcnt(1)
	v_cmp_eq_u32_sdwa vcc, v34, v35 src0_sel:WORD_0 src1_sel:DWORD
	v_cndmask_b32_e32 v12, v12, v34, vcc
.LBB12_5253:                            ;   in Loop: Header=BB12_2997 Depth=2
	s_or_b64 exec, exec, s[40:41]
	buffer_load_dword v34, off, s[0:3], s33 offset:200 ; 4-byte Folded Reload
	buffer_load_dword v35, off, s[0:3], s33 offset:204 ; 4-byte Folded Reload
	;; [unrolled: 1-line block ×4, first 2 shown]
	v_and_b32_e32 v13, 0xffff0000, v13
	s_waitcnt vmcnt(1)
	v_lshlrev_b32_e32 v34, 16, v36
	v_add_f32_e32 v34, v34, v13
	v_and_b32_e32 v13, 0x7f800000, v34
	v_cmp_ne_u32_e32 vcc, s97, v13
                                        ; implicit-def: $vgpr13
	s_and_saveexec_b64 s[40:41], vcc
	s_xor_b64 s[40:41], exec, s[40:41]
; %bb.5254:                             ;   in Loop: Header=BB12_2997 Depth=2
	v_bfe_u32 v13, v34, 16, 1
	v_add3_u32 v13, v34, v13, s46
                                        ; implicit-def: $vgpr34
; %bb.5255:                             ;   in Loop: Header=BB12_2997 Depth=2
	s_andn2_saveexec_b64 s[40:41], s[40:41]
	s_cbranch_execz .LBB12_5257
; %bb.5256:                             ;   in Loop: Header=BB12_2997 Depth=2
	buffer_load_dword v35, off, s[0:3], s33 offset:128 ; 4-byte Folded Reload
	buffer_load_dword v36, off, s[0:3], s33 offset:132 ; 4-byte Folded Reload
	v_or_b32_e32 v13, 0x10000, v34
	s_waitcnt vmcnt(1)
	v_cmp_eq_u32_sdwa vcc, v34, v35 src0_sel:WORD_0 src1_sel:DWORD
	v_cndmask_b32_e32 v13, v13, v34, vcc
.LBB12_5257:                            ;   in Loop: Header=BB12_2997 Depth=2
	s_or_b64 exec, exec, s[40:41]
	buffer_load_dword v34, off, s[0:3], s33 offset:200 ; 4-byte Folded Reload
	buffer_load_dword v35, off, s[0:3], s33 offset:204 ; 4-byte Folded Reload
	;; [unrolled: 1-line block ×4, first 2 shown]
	v_and_b32_e32 v10, 0xffff0000, v10
	s_waitcnt vmcnt(1)
	v_and_b32_e32 v34, 0xffff0000, v36
	v_add_f32_e32 v34, v34, v10
	v_and_b32_e32 v10, 0x7f800000, v34
	v_cmp_ne_u32_e32 vcc, s97, v10
                                        ; implicit-def: $vgpr10
	s_and_saveexec_b64 s[40:41], vcc
	s_xor_b64 s[40:41], exec, s[40:41]
; %bb.5258:                             ;   in Loop: Header=BB12_2997 Depth=2
	v_bfe_u32 v10, v34, 16, 1
	v_add3_u32 v10, v34, v10, s46
                                        ; implicit-def: $vgpr34
; %bb.5259:                             ;   in Loop: Header=BB12_2997 Depth=2
	s_andn2_saveexec_b64 s[40:41], s[40:41]
	s_cbranch_execz .LBB12_5261
; %bb.5260:                             ;   in Loop: Header=BB12_2997 Depth=2
	buffer_load_dword v35, off, s[0:3], s33 offset:128 ; 4-byte Folded Reload
	buffer_load_dword v36, off, s[0:3], s33 offset:132 ; 4-byte Folded Reload
	v_or_b32_e32 v10, 0x10000, v34
	s_waitcnt vmcnt(1)
	v_cmp_eq_u32_sdwa vcc, v34, v35 src0_sel:WORD_0 src1_sel:DWORD
	v_cndmask_b32_e32 v10, v10, v34, vcc
.LBB12_5261:                            ;   in Loop: Header=BB12_2997 Depth=2
	s_or_b64 exec, exec, s[40:41]
	buffer_load_dword v34, off, s[0:3], s33 offset:200 ; 4-byte Folded Reload
	buffer_load_dword v35, off, s[0:3], s33 offset:204 ; 4-byte Folded Reload
	buffer_load_dword v36, off, s[0:3], s33 offset:208 ; 4-byte Folded Reload
	buffer_load_dword v37, off, s[0:3], s33 offset:212 ; 4-byte Folded Reload
	v_and_b32_e32 v11, 0xffff0000, v11
	s_waitcnt vmcnt(0)
	v_lshlrev_b32_e32 v34, 16, v37
	v_add_f32_e32 v34, v34, v11
	v_and_b32_e32 v11, 0x7f800000, v34
	v_cmp_ne_u32_e32 vcc, s97, v11
                                        ; implicit-def: $vgpr11
	s_and_saveexec_b64 s[40:41], vcc
	s_xor_b64 s[40:41], exec, s[40:41]
; %bb.5262:                             ;   in Loop: Header=BB12_2997 Depth=2
	v_bfe_u32 v11, v34, 16, 1
	v_add3_u32 v11, v34, v11, s46
                                        ; implicit-def: $vgpr34
; %bb.5263:                             ;   in Loop: Header=BB12_2997 Depth=2
	s_andn2_saveexec_b64 s[40:41], s[40:41]
	s_cbranch_execz .LBB12_5265
; %bb.5264:                             ;   in Loop: Header=BB12_2997 Depth=2
	buffer_load_dword v35, off, s[0:3], s33 offset:128 ; 4-byte Folded Reload
	buffer_load_dword v36, off, s[0:3], s33 offset:132 ; 4-byte Folded Reload
	v_or_b32_e32 v11, 0x10000, v34
	s_waitcnt vmcnt(1)
	v_cmp_eq_u32_sdwa vcc, v34, v35 src0_sel:WORD_0 src1_sel:DWORD
	v_cndmask_b32_e32 v11, v11, v34, vcc
.LBB12_5265:                            ;   in Loop: Header=BB12_2997 Depth=2
	s_or_b64 exec, exec, s[40:41]
	buffer_load_dword v34, off, s[0:3], s33 offset:200 ; 4-byte Folded Reload
	buffer_load_dword v35, off, s[0:3], s33 offset:204 ; 4-byte Folded Reload
	;; [unrolled: 1-line block ×4, first 2 shown]
	v_and_b32_e32 v8, 0xffff0000, v8
	s_waitcnt vmcnt(0)
	v_and_b32_e32 v34, 0xffff0000, v37
	v_add_f32_e32 v34, v34, v8
	v_and_b32_e32 v8, 0x7f800000, v34
	v_cmp_ne_u32_e32 vcc, s97, v8
                                        ; implicit-def: $vgpr8
	s_and_saveexec_b64 s[40:41], vcc
	s_xor_b64 s[40:41], exec, s[40:41]
; %bb.5266:                             ;   in Loop: Header=BB12_2997 Depth=2
	v_bfe_u32 v8, v34, 16, 1
	v_add3_u32 v8, v34, v8, s46
                                        ; implicit-def: $vgpr34
; %bb.5267:                             ;   in Loop: Header=BB12_2997 Depth=2
	s_andn2_saveexec_b64 s[40:41], s[40:41]
	s_cbranch_execz .LBB12_5269
; %bb.5268:                             ;   in Loop: Header=BB12_2997 Depth=2
	buffer_load_dword v35, off, s[0:3], s33 offset:128 ; 4-byte Folded Reload
	buffer_load_dword v36, off, s[0:3], s33 offset:132 ; 4-byte Folded Reload
	v_or_b32_e32 v8, 0x10000, v34
	s_waitcnt vmcnt(1)
	v_cmp_eq_u32_sdwa vcc, v34, v35 src0_sel:WORD_0 src1_sel:DWORD
	v_cndmask_b32_e32 v8, v8, v34, vcc
.LBB12_5269:                            ;   in Loop: Header=BB12_2997 Depth=2
	s_or_b64 exec, exec, s[40:41]
	buffer_load_dword v34, off, s[0:3], s33 offset:184 ; 4-byte Folded Reload
	buffer_load_dword v35, off, s[0:3], s33 offset:188 ; 4-byte Folded Reload
	;; [unrolled: 1-line block ×4, first 2 shown]
	v_and_b32_e32 v9, 0xffff0000, v9
	s_waitcnt vmcnt(3)
	v_lshlrev_b32_e32 v34, 16, v34
	v_add_f32_e32 v34, v34, v9
	v_and_b32_e32 v9, 0x7f800000, v34
	v_cmp_ne_u32_e32 vcc, s97, v9
                                        ; implicit-def: $vgpr9
	s_and_saveexec_b64 s[40:41], vcc
	s_xor_b64 s[40:41], exec, s[40:41]
; %bb.5270:                             ;   in Loop: Header=BB12_2997 Depth=2
	v_bfe_u32 v9, v34, 16, 1
	v_add3_u32 v9, v34, v9, s46
                                        ; implicit-def: $vgpr34
; %bb.5271:                             ;   in Loop: Header=BB12_2997 Depth=2
	s_andn2_saveexec_b64 s[40:41], s[40:41]
	s_cbranch_execz .LBB12_5273
; %bb.5272:                             ;   in Loop: Header=BB12_2997 Depth=2
	buffer_load_dword v35, off, s[0:3], s33 offset:128 ; 4-byte Folded Reload
	buffer_load_dword v36, off, s[0:3], s33 offset:132 ; 4-byte Folded Reload
	v_or_b32_e32 v9, 0x10000, v34
	s_waitcnt vmcnt(1)
	v_cmp_eq_u32_sdwa vcc, v34, v35 src0_sel:WORD_0 src1_sel:DWORD
	v_cndmask_b32_e32 v9, v9, v34, vcc
.LBB12_5273:                            ;   in Loop: Header=BB12_2997 Depth=2
	s_or_b64 exec, exec, s[40:41]
	buffer_load_dword v34, off, s[0:3], s33 offset:184 ; 4-byte Folded Reload
	buffer_load_dword v35, off, s[0:3], s33 offset:188 ; 4-byte Folded Reload
	;; [unrolled: 1-line block ×4, first 2 shown]
	v_and_b32_e32 v6, 0xffff0000, v6
	s_waitcnt vmcnt(3)
	v_and_b32_e32 v34, 0xffff0000, v34
	v_add_f32_e32 v34, v34, v6
	v_and_b32_e32 v6, 0x7f800000, v34
	v_cmp_ne_u32_e32 vcc, s97, v6
                                        ; implicit-def: $vgpr6
	s_and_saveexec_b64 s[40:41], vcc
	s_xor_b64 s[40:41], exec, s[40:41]
; %bb.5274:                             ;   in Loop: Header=BB12_2997 Depth=2
	v_bfe_u32 v6, v34, 16, 1
	v_add3_u32 v6, v34, v6, s46
                                        ; implicit-def: $vgpr34
; %bb.5275:                             ;   in Loop: Header=BB12_2997 Depth=2
	s_andn2_saveexec_b64 s[40:41], s[40:41]
	s_cbranch_execz .LBB12_5277
; %bb.5276:                             ;   in Loop: Header=BB12_2997 Depth=2
	buffer_load_dword v35, off, s[0:3], s33 offset:128 ; 4-byte Folded Reload
	buffer_load_dword v36, off, s[0:3], s33 offset:132 ; 4-byte Folded Reload
	v_or_b32_e32 v6, 0x10000, v34
	s_waitcnt vmcnt(1)
	v_cmp_eq_u32_sdwa vcc, v34, v35 src0_sel:WORD_0 src1_sel:DWORD
	v_cndmask_b32_e32 v6, v6, v34, vcc
.LBB12_5277:                            ;   in Loop: Header=BB12_2997 Depth=2
	s_or_b64 exec, exec, s[40:41]
	buffer_load_dword v34, off, s[0:3], s33 offset:184 ; 4-byte Folded Reload
	buffer_load_dword v35, off, s[0:3], s33 offset:188 ; 4-byte Folded Reload
	;; [unrolled: 1-line block ×4, first 2 shown]
	v_and_b32_e32 v7, 0xffff0000, v7
	s_waitcnt vmcnt(2)
	v_lshlrev_b32_e32 v34, 16, v35
	v_add_f32_e32 v34, v34, v7
	v_and_b32_e32 v7, 0x7f800000, v34
	v_cmp_ne_u32_e32 vcc, s97, v7
                                        ; implicit-def: $vgpr7
	s_and_saveexec_b64 s[40:41], vcc
	s_xor_b64 s[40:41], exec, s[40:41]
; %bb.5278:                             ;   in Loop: Header=BB12_2997 Depth=2
	v_bfe_u32 v7, v34, 16, 1
	v_add3_u32 v7, v34, v7, s46
                                        ; implicit-def: $vgpr34
; %bb.5279:                             ;   in Loop: Header=BB12_2997 Depth=2
	s_andn2_saveexec_b64 s[40:41], s[40:41]
	s_cbranch_execz .LBB12_5281
; %bb.5280:                             ;   in Loop: Header=BB12_2997 Depth=2
	buffer_load_dword v35, off, s[0:3], s33 offset:128 ; 4-byte Folded Reload
	buffer_load_dword v36, off, s[0:3], s33 offset:132 ; 4-byte Folded Reload
	v_or_b32_e32 v7, 0x10000, v34
	s_waitcnt vmcnt(1)
	v_cmp_eq_u32_sdwa vcc, v34, v35 src0_sel:WORD_0 src1_sel:DWORD
	v_cndmask_b32_e32 v7, v7, v34, vcc
.LBB12_5281:                            ;   in Loop: Header=BB12_2997 Depth=2
	s_or_b64 exec, exec, s[40:41]
	buffer_load_dword v34, off, s[0:3], s33 offset:184 ; 4-byte Folded Reload
	buffer_load_dword v35, off, s[0:3], s33 offset:188 ; 4-byte Folded Reload
	;; [unrolled: 1-line block ×4, first 2 shown]
	v_and_b32_e32 v4, 0xffff0000, v4
	s_waitcnt vmcnt(2)
	v_and_b32_e32 v34, 0xffff0000, v35
	v_add_f32_e32 v34, v34, v4
	v_and_b32_e32 v4, 0x7f800000, v34
	v_cmp_ne_u32_e32 vcc, s97, v4
                                        ; implicit-def: $vgpr4
	s_and_saveexec_b64 s[40:41], vcc
	s_xor_b64 s[40:41], exec, s[40:41]
; %bb.5282:                             ;   in Loop: Header=BB12_2997 Depth=2
	v_bfe_u32 v4, v34, 16, 1
	v_add3_u32 v4, v34, v4, s46
                                        ; implicit-def: $vgpr34
; %bb.5283:                             ;   in Loop: Header=BB12_2997 Depth=2
	s_andn2_saveexec_b64 s[40:41], s[40:41]
	s_cbranch_execz .LBB12_5285
; %bb.5284:                             ;   in Loop: Header=BB12_2997 Depth=2
	buffer_load_dword v35, off, s[0:3], s33 offset:128 ; 4-byte Folded Reload
	buffer_load_dword v36, off, s[0:3], s33 offset:132 ; 4-byte Folded Reload
	v_or_b32_e32 v4, 0x10000, v34
	s_waitcnt vmcnt(1)
	v_cmp_eq_u32_sdwa vcc, v34, v35 src0_sel:WORD_0 src1_sel:DWORD
	v_cndmask_b32_e32 v4, v4, v34, vcc
.LBB12_5285:                            ;   in Loop: Header=BB12_2997 Depth=2
	s_or_b64 exec, exec, s[40:41]
	buffer_load_dword v34, off, s[0:3], s33 offset:184 ; 4-byte Folded Reload
	buffer_load_dword v35, off, s[0:3], s33 offset:188 ; 4-byte Folded Reload
	;; [unrolled: 1-line block ×4, first 2 shown]
	v_and_b32_e32 v5, 0xffff0000, v5
	s_waitcnt vmcnt(1)
	v_lshlrev_b32_e32 v34, 16, v36
	v_add_f32_e32 v34, v34, v5
	v_and_b32_e32 v5, 0x7f800000, v34
	v_cmp_ne_u32_e32 vcc, s97, v5
                                        ; implicit-def: $vgpr5
	s_and_saveexec_b64 s[40:41], vcc
	s_xor_b64 s[40:41], exec, s[40:41]
; %bb.5286:                             ;   in Loop: Header=BB12_2997 Depth=2
	v_bfe_u32 v5, v34, 16, 1
	v_add3_u32 v5, v34, v5, s46
                                        ; implicit-def: $vgpr34
; %bb.5287:                             ;   in Loop: Header=BB12_2997 Depth=2
	s_andn2_saveexec_b64 s[40:41], s[40:41]
	s_cbranch_execz .LBB12_5289
; %bb.5288:                             ;   in Loop: Header=BB12_2997 Depth=2
	buffer_load_dword v35, off, s[0:3], s33 offset:128 ; 4-byte Folded Reload
	buffer_load_dword v36, off, s[0:3], s33 offset:132 ; 4-byte Folded Reload
	v_or_b32_e32 v5, 0x10000, v34
	s_waitcnt vmcnt(1)
	v_cmp_eq_u32_sdwa vcc, v34, v35 src0_sel:WORD_0 src1_sel:DWORD
	v_cndmask_b32_e32 v5, v5, v34, vcc
.LBB12_5289:                            ;   in Loop: Header=BB12_2997 Depth=2
	s_or_b64 exec, exec, s[40:41]
	buffer_load_dword v34, off, s[0:3], s33 offset:184 ; 4-byte Folded Reload
	buffer_load_dword v35, off, s[0:3], s33 offset:188 ; 4-byte Folded Reload
	;; [unrolled: 1-line block ×4, first 2 shown]
	v_and_b32_e32 v2, 0xffff0000, v2
	s_waitcnt vmcnt(1)
	v_and_b32_e32 v34, 0xffff0000, v36
	v_add_f32_e32 v34, v34, v2
	v_and_b32_e32 v2, 0x7f800000, v34
	v_cmp_ne_u32_e32 vcc, s97, v2
                                        ; implicit-def: $vgpr2
	s_and_saveexec_b64 s[40:41], vcc
	s_xor_b64 s[40:41], exec, s[40:41]
; %bb.5290:                             ;   in Loop: Header=BB12_2997 Depth=2
	v_bfe_u32 v2, v34, 16, 1
	v_add3_u32 v2, v34, v2, s46
                                        ; implicit-def: $vgpr34
; %bb.5291:                             ;   in Loop: Header=BB12_2997 Depth=2
	s_andn2_saveexec_b64 s[40:41], s[40:41]
	s_cbranch_execz .LBB12_5293
; %bb.5292:                             ;   in Loop: Header=BB12_2997 Depth=2
	buffer_load_dword v35, off, s[0:3], s33 offset:128 ; 4-byte Folded Reload
	buffer_load_dword v36, off, s[0:3], s33 offset:132 ; 4-byte Folded Reload
	v_or_b32_e32 v2, 0x10000, v34
	s_waitcnt vmcnt(1)
	v_cmp_eq_u32_sdwa vcc, v34, v35 src0_sel:WORD_0 src1_sel:DWORD
	v_cndmask_b32_e32 v2, v2, v34, vcc
.LBB12_5293:                            ;   in Loop: Header=BB12_2997 Depth=2
	s_or_b64 exec, exec, s[40:41]
	buffer_load_dword v34, off, s[0:3], s33 offset:184 ; 4-byte Folded Reload
	buffer_load_dword v35, off, s[0:3], s33 offset:188 ; 4-byte Folded Reload
	;; [unrolled: 1-line block ×4, first 2 shown]
	v_and_b32_e32 v3, 0xffff0000, v3
	s_waitcnt vmcnt(0)
	v_lshlrev_b32_e32 v34, 16, v37
	v_add_f32_e32 v34, v34, v3
	v_and_b32_e32 v3, 0x7f800000, v34
	v_cmp_ne_u32_e32 vcc, s97, v3
                                        ; implicit-def: $vgpr3
	s_and_saveexec_b64 s[40:41], vcc
	s_xor_b64 s[40:41], exec, s[40:41]
; %bb.5294:                             ;   in Loop: Header=BB12_2997 Depth=2
	v_bfe_u32 v3, v34, 16, 1
	v_add3_u32 v3, v34, v3, s46
                                        ; implicit-def: $vgpr34
; %bb.5295:                             ;   in Loop: Header=BB12_2997 Depth=2
	s_andn2_saveexec_b64 s[40:41], s[40:41]
	s_cbranch_execz .LBB12_5297
; %bb.5296:                             ;   in Loop: Header=BB12_2997 Depth=2
	buffer_load_dword v35, off, s[0:3], s33 offset:128 ; 4-byte Folded Reload
	buffer_load_dword v36, off, s[0:3], s33 offset:132 ; 4-byte Folded Reload
	v_or_b32_e32 v3, 0x10000, v34
	s_waitcnt vmcnt(1)
	v_cmp_eq_u32_sdwa vcc, v34, v35 src0_sel:WORD_0 src1_sel:DWORD
	v_cndmask_b32_e32 v3, v3, v34, vcc
.LBB12_5297:                            ;   in Loop: Header=BB12_2997 Depth=2
	s_or_b64 exec, exec, s[40:41]
	buffer_load_dword v34, off, s[0:3], s33 offset:184 ; 4-byte Folded Reload
	buffer_load_dword v35, off, s[0:3], s33 offset:188 ; 4-byte Folded Reload
	;; [unrolled: 1-line block ×4, first 2 shown]
	v_and_b32_e32 v1, 0xffff0000, v1
	s_waitcnt vmcnt(0)
	v_and_b32_e32 v34, 0xffff0000, v37
	v_add_f32_e32 v34, v34, v1
	v_and_b32_e32 v1, 0x7f800000, v34
	v_cmp_ne_u32_e32 vcc, s97, v1
                                        ; implicit-def: $vgpr1
	s_and_saveexec_b64 s[40:41], vcc
	s_xor_b64 s[40:41], exec, s[40:41]
; %bb.5298:                             ;   in Loop: Header=BB12_2997 Depth=2
	v_bfe_u32 v1, v34, 16, 1
	v_add3_u32 v1, v34, v1, s46
                                        ; implicit-def: $vgpr34
; %bb.5299:                             ;   in Loop: Header=BB12_2997 Depth=2
	s_andn2_saveexec_b64 s[40:41], s[40:41]
	s_cbranch_execz .LBB12_5301
; %bb.5300:                             ;   in Loop: Header=BB12_2997 Depth=2
	buffer_load_dword v35, off, s[0:3], s33 offset:128 ; 4-byte Folded Reload
	buffer_load_dword v36, off, s[0:3], s33 offset:132 ; 4-byte Folded Reload
	v_or_b32_e32 v1, 0x10000, v34
	s_waitcnt vmcnt(1)
	v_cmp_eq_u32_sdwa vcc, v34, v35 src0_sel:WORD_0 src1_sel:DWORD
	v_cndmask_b32_e32 v1, v1, v34, vcc
.LBB12_5301:                            ;   in Loop: Header=BB12_2997 Depth=2
	s_or_b64 exec, exec, s[40:41]
	v_lshrrev_b32_e32 v17, 16, v17
	v_and_or_b32 v35, v12, s47, v17
	v_lshrrev_b32_e32 v12, 16, v19
	v_and_or_b32 v34, v16, s47, v12
	v_lshrrev_b32_e32 v12, 16, v13
	s_waitcnt vmcnt(0)
	v_and_or_b32 v36, v10, s47, v12
	v_lshrrev_b32_e32 v10, 16, v11
	v_and_or_b32 v37, v8, s47, v10
	v_lshrrev_b32_e32 v8, 16, v30
	;; [unrolled: 2-line block ×4, first 2 shown]
	v_lshrrev_b32_e32 v0, 16, v0
	v_and_or_b32 v12, v20, s47, v8
	v_lshrrev_b32_e32 v8, 16, v21
	v_and_or_b32 v16, v22, s47, v0
	;; [unrolled: 2-line block ×3, first 2 shown]
	v_and_or_b32 v18, v27, s47, v0
	v_lshrrev_b32_e32 v0, 16, v33
	v_and_or_b32 v19, v31, s47, v0
	v_lshrrev_b32_e32 v0, 16, v7
	;; [unrolled: 2-line block ×3, first 2 shown]
	v_lshrrev_b32_e32 v8, 16, v24
	v_and_or_b32 v6, v6, s47, v0
	v_lshrrev_b32_e32 v0, 16, v5
	v_and_or_b32 v17, v25, s47, v8
	v_and_or_b32 v8, v2, s47, v0
	v_lshrrev_b32_e32 v0, 16, v3
	v_and_or_b32 v9, v1, s47, v0
	global_store_dwordx4 v[14:15], v[16:19], off glc slc
	global_store_dwordx4 v[14:15], v[10:13], off offset:1024 glc slc
	global_store_dwordx4 v[14:15], v[34:37], off offset:2048 glc slc
	;; [unrolled: 1-line block ×3, first 2 shown]
.LBB12_5302:                            ;   in Loop: Header=BB12_2997 Depth=2
	s_or_b64 exec, exec, s[28:29]
	buffer_load_dword v0, off, s[0:3], s33 offset:612 ; 4-byte Folded Reload
	s_waitcnt vmcnt(0)
	v_lshlrev_b32_e32 v2, 12, v39
                                        ; implicit-def: $vgpr6
                                        ; implicit-def: $vgpr7
	v_cmp_ne_u32_e32 vcc, v0, v2
                                        ; implicit-def: $vgpr0
	s_and_saveexec_b64 s[90:91], vcc
	s_cbranch_execz .LBB12_5513
; %bb.5303:                             ;   in Loop: Header=BB12_2997 Depth=2
	buffer_load_dword v1, off, s[0:3], s33 offset:284 ; 4-byte Folded Reload
	buffer_load_dword v0, off, s[0:3], s33 offset:612 ; 4-byte Folded Reload
	;; [unrolled: 1-line block ×3, first 2 shown]
	s_mov_b64 s[94:95], 0
	s_waitcnt vmcnt(0)
	v_lshlrev_b32_e32 v1, 6, v1
	v_sub_u32_e32 v0, v0, v2
	v_sub_u32_e32 v1, v3, v1
	v_ashrrev_i32_e32 v3, 31, v1
	v_lshrrev_b32_e32 v3, 26, v3
	v_add_u32_e32 v3, v1, v3
	v_ashrrev_i32_e32 v7, 6, v3
	v_and_b32_e32 v3, 0xffffffc0, v3
	v_sub_u32_e32 v3, v1, v3
	v_lshlrev_b32_e32 v1, 4, v3
	v_lshl_add_u32 v1, v7, 10, v1
	v_add_u32_e32 v10, v1, v2
	v_sub_u32_e32 v6, v0, v1
	v_ashrrev_i32_e32 v1, 31, v0
	v_lshrrev_b32_e32 v1, 22, v1
	v_add_u32_e32 v1, v0, v1
	v_and_b32_e32 v4, 0xfffffc00, v1
	v_sub_u32_e32 v5, v0, v4
	v_ashrrev_i32_e32 v8, 10, v1
	v_cmp_lt_i32_e64 s[28:29], 15, v5
	v_addc_co_u32_e64 v0, vcc, 0, v8, s[28:29]
	v_sub_u32_e32 v8, v0, v7
	buffer_load_dword v0, off, s[0:3], s33 offset:620 ; 4-byte Folded Reload
	buffer_load_dword v1, off, s[0:3], s33 offset:624 ; 4-byte Folded Reload
	v_ashrrev_i32_e32 v11, 31, v10
	s_waitcnt vmcnt(0)
	v_add_co_u32_e32 v0, vcc, v10, v0
	v_addc_co_u32_e32 v1, vcc, v11, v1, vcc
	v_cmp_lt_i32_e32 vcc, 15, v6
	s_and_saveexec_b64 s[92:93], vcc
	s_cbranch_execz .LBB12_5444
; %bb.5304:                             ;   in Loop: Header=BB12_2997 Depth=2
	s_trap 2
	ds_read_b64 v[12:13], v0
	buffer_load_dword v14, off, s[0:3], s33 offset:636 ; 4-byte Folded Reload
	buffer_load_dword v15, off, s[0:3], s33 offset:640 ; 4-byte Folded Reload
	s_mov_b64 s[34:35], 0
                                        ; implicit-def: $sgpr30_sgpr31
	s_waitcnt vmcnt(0)
	v_add_co_u32_e32 v7, vcc, v10, v14
	v_addc_co_u32_e32 v9, vcc, v11, v15, vcc
	s_waitcnt lgkmcnt(0)
	v_add_co_u32_e32 v10, vcc, v12, v10
	ds_read_b32 v12, v0
	v_addc_co_u32_e32 v11, vcc, v13, v11, vcc
	s_waitcnt lgkmcnt(0)
	v_lshlrev_b32_e32 v12, 16, v12
	s_branch .LBB12_5306
.LBB12_5305:                            ;   in Loop: Header=BB12_5306 Depth=3
	s_or_b64 exec, exec, s[40:41]
	v_cmp_gt_i32_e32 vcc, 16, v6
	s_or_b64 s[94:95], vcc, s[94:95]
	s_andn2_b64 s[40:41], s[30:31], exec
	s_and_b64 vcc, s[34:35], exec
	s_or_b64 s[30:31], s[40:41], vcc
	s_andn2_b64 exec, exec, s[94:95]
	s_cbranch_execz .LBB12_5443
.LBB12_5306:                            ;   Parent Loop BB12_47 Depth=1
                                        ;     Parent Loop BB12_2997 Depth=2
                                        ; =>    This Loop Header: Depth=3
                                        ;         Child Loop BB12_5307 Depth 4
                                        ;         Child Loop BB12_5376 Depth 4
	s_lshr_b32 s9, s33, 6
	s_add_i32 s9, s9, 64
	s_mov_b64 s[36:37], -1
	s_mov_b64 s[38:39], 0
.LBB12_5307:                            ;   Parent Loop BB12_47 Depth=1
                                        ;     Parent Loop BB12_2997 Depth=2
                                        ;       Parent Loop BB12_5306 Depth=3
                                        ; =>      This Inner Loop Header: Depth=4
	s_cmp_eq_u32 s38, 1
	s_cselect_b64 s[40:41], -1, 0
	v_cndmask_b32_e64 v18, v9, v11, s[40:41]
	v_cndmask_b32_e64 v17, v7, v10, s[40:41]
	global_load_dwordx4 v[13:16], v[17:18], off glc slc
	v_mov_b32_e32 v19, s9
	s_cmp_eq_u32 s38, 0
	s_mov_b64 s[38:39], 1
	s_mov_b32 s9, s85
	s_waitcnt vmcnt(0)
	buffer_store_dword v14, v19, s[0:3], 0 offen offset:4
	buffer_store_dword v13, v19, s[0:3], 0 offen
	buffer_store_dword v16, v19, s[0:3], 0 offen offset:12
	buffer_store_dword v15, v19, s[0:3], 0 offen offset:8
	v_add_co_u32_e32 v13, vcc, s55, v17
	v_addc_co_u32_e32 v14, vcc, 0, v18, vcc
	s_cselect_b64 vcc, -1, 0
	v_cndmask_b32_e32 v9, v9, v14, vcc
	v_cndmask_b32_e32 v7, v7, v13, vcc
	v_cndmask_b32_e64 v11, v11, v14, s[40:41]
	v_cndmask_b32_e64 v10, v10, v13, s[40:41]
	s_and_b64 vcc, exec, s[36:37]
	s_mov_b64 s[36:37], 0
	s_cbranch_vccnz .LBB12_5307
; %bb.5308:                             ;   in Loop: Header=BB12_5306 Depth=3
	s_and_saveexec_b64 s[40:41], s[34:35]
	s_cbranch_execz .LBB12_5374
; %bb.5309:                             ;   in Loop: Header=BB12_5306 Depth=3
	buffer_load_dword v17, off, s[0:3], s33 offset:96
	buffer_load_dword v15, off, s[0:3], s33 offset:100
	;; [unrolled: 1-line block ×4, first 2 shown]
	s_waitcnt vmcnt(3)
	v_lshlrev_b32_e32 v16, 16, v17
	v_mul_f32_e32 v18, v12, v16
	v_and_b32_e32 v16, 0x7f800000, v18
	v_cmp_ne_u32_e32 vcc, s97, v16
                                        ; implicit-def: $vgpr16
	s_and_saveexec_b64 s[34:35], vcc
	s_xor_b64 vcc, exec, s[34:35]
; %bb.5310:                             ;   in Loop: Header=BB12_5306 Depth=3
	v_bfe_u32 v16, v18, 16, 1
	v_add3_u32 v16, v18, v16, s46
                                        ; implicit-def: $vgpr18
; %bb.5311:                             ;   in Loop: Header=BB12_5306 Depth=3
	s_andn2_saveexec_b64 s[34:35], vcc
	s_cbranch_execz .LBB12_5313
; %bb.5312:                             ;   in Loop: Header=BB12_5306 Depth=3
	buffer_load_dword v19, off, s[0:3], s33 offset:128 ; 4-byte Folded Reload
	buffer_load_dword v20, off, s[0:3], s33 offset:132 ; 4-byte Folded Reload
	v_or_b32_e32 v16, 0x10000, v18
	s_waitcnt vmcnt(1)
	v_cmp_eq_u32_sdwa vcc, v18, v19 src0_sel:WORD_0 src1_sel:DWORD
	v_cndmask_b32_e32 v16, v16, v18, vcc
.LBB12_5313:                            ;   in Loop: Header=BB12_5306 Depth=3
	s_or_b64 exec, exec, s[34:35]
	v_and_b32_e32 v17, 0xffff0000, v17
	v_mul_f32_e32 v17, v12, v17
	v_and_b32_e32 v18, 0x7f800000, v17
	v_cmp_ne_u32_e32 vcc, s97, v18
                                        ; implicit-def: $vgpr20
	s_and_saveexec_b64 s[34:35], vcc
	s_xor_b64 vcc, exec, s[34:35]
	s_cbranch_execz .LBB12_5315
; %bb.5314:                             ;   in Loop: Header=BB12_5306 Depth=3
	v_bfe_u32 v18, v17, 16, 1
	s_waitcnt vmcnt(0)
	v_add3_u32 v20, v17, v18, s46
                                        ; implicit-def: $vgpr17
.LBB12_5315:                            ;   in Loop: Header=BB12_5306 Depth=3
	s_andn2_saveexec_b64 s[34:35], vcc
	s_cbranch_execz .LBB12_5317
; %bb.5316:                             ;   in Loop: Header=BB12_5306 Depth=3
	buffer_load_dword v19, off, s[0:3], s33 offset:128 ; 4-byte Folded Reload
	buffer_load_dword v20, off, s[0:3], s33 offset:132 ; 4-byte Folded Reload
	v_or_b32_e32 v18, 0x10000, v17
	s_waitcnt vmcnt(1)
	v_cmp_eq_u32_sdwa vcc, v17, v19 src0_sel:WORD_0 src1_sel:DWORD
	s_waitcnt vmcnt(0)
	v_cndmask_b32_e32 v20, v18, v17, vcc
.LBB12_5317:                            ;   in Loop: Header=BB12_5306 Depth=3
	s_or_b64 exec, exec, s[34:35]
	s_waitcnt vmcnt(2)
	v_lshlrev_b32_e32 v17, 16, v15
	v_mul_f32_e32 v17, v12, v17
	v_and_b32_e32 v18, 0x7f800000, v17
	v_cmp_ne_u32_e32 vcc, s97, v18
                                        ; implicit-def: $vgpr19
	s_and_saveexec_b64 s[34:35], vcc
	s_xor_b64 vcc, exec, s[34:35]
; %bb.5318:                             ;   in Loop: Header=BB12_5306 Depth=3
	v_bfe_u32 v18, v17, 16, 1
	v_add3_u32 v19, v17, v18, s46
                                        ; implicit-def: $vgpr17
; %bb.5319:                             ;   in Loop: Header=BB12_5306 Depth=3
	s_andn2_saveexec_b64 s[34:35], vcc
	s_cbranch_execz .LBB12_5321
; %bb.5320:                             ;   in Loop: Header=BB12_5306 Depth=3
	buffer_load_dword v21, off, s[0:3], s33 offset:128 ; 4-byte Folded Reload
	buffer_load_dword v22, off, s[0:3], s33 offset:132 ; 4-byte Folded Reload
	v_or_b32_e32 v18, 0x10000, v17
	s_waitcnt vmcnt(1)
	v_cmp_eq_u32_sdwa vcc, v17, v21 src0_sel:WORD_0 src1_sel:DWORD
	v_cndmask_b32_e32 v19, v18, v17, vcc
.LBB12_5321:                            ;   in Loop: Header=BB12_5306 Depth=3
	s_or_b64 exec, exec, s[34:35]
	v_and_b32_e32 v15, 0xffff0000, v15
	v_mul_f32_e32 v15, v12, v15
	v_and_b32_e32 v17, 0x7f800000, v15
	v_cmp_ne_u32_e32 vcc, s97, v17
                                        ; implicit-def: $vgpr17
	s_and_saveexec_b64 s[34:35], vcc
	s_xor_b64 vcc, exec, s[34:35]
; %bb.5322:                             ;   in Loop: Header=BB12_5306 Depth=3
	v_bfe_u32 v17, v15, 16, 1
	v_add3_u32 v17, v15, v17, s46
                                        ; implicit-def: $vgpr15
; %bb.5323:                             ;   in Loop: Header=BB12_5306 Depth=3
	s_andn2_saveexec_b64 s[34:35], vcc
	s_cbranch_execz .LBB12_5325
; %bb.5324:                             ;   in Loop: Header=BB12_5306 Depth=3
	buffer_load_dword v21, off, s[0:3], s33 offset:128 ; 4-byte Folded Reload
	buffer_load_dword v22, off, s[0:3], s33 offset:132 ; 4-byte Folded Reload
	v_or_b32_e32 v17, 0x10000, v15
	s_waitcnt vmcnt(1)
	v_cmp_eq_u32_sdwa vcc, v15, v21 src0_sel:WORD_0 src1_sel:DWORD
	v_cndmask_b32_e32 v17, v17, v15, vcc
.LBB12_5325:                            ;   in Loop: Header=BB12_5306 Depth=3
	s_or_b64 exec, exec, s[34:35]
	s_waitcnt vmcnt(1)
	v_lshlrev_b32_e32 v15, 16, v14
	v_mul_f32_e32 v15, v12, v15
	v_and_b32_e32 v18, 0x7f800000, v15
	v_cmp_ne_u32_e32 vcc, s97, v18
                                        ; implicit-def: $vgpr18
	s_and_saveexec_b64 s[34:35], vcc
	s_xor_b64 vcc, exec, s[34:35]
; %bb.5326:                             ;   in Loop: Header=BB12_5306 Depth=3
	v_bfe_u32 v18, v15, 16, 1
	v_add3_u32 v18, v15, v18, s46
                                        ; implicit-def: $vgpr15
; %bb.5327:                             ;   in Loop: Header=BB12_5306 Depth=3
	s_andn2_saveexec_b64 s[34:35], vcc
	s_cbranch_execz .LBB12_5329
; %bb.5328:                             ;   in Loop: Header=BB12_5306 Depth=3
	buffer_load_dword v21, off, s[0:3], s33 offset:128 ; 4-byte Folded Reload
	buffer_load_dword v22, off, s[0:3], s33 offset:132 ; 4-byte Folded Reload
	v_or_b32_e32 v18, 0x10000, v15
	s_waitcnt vmcnt(1)
	v_cmp_eq_u32_sdwa vcc, v15, v21 src0_sel:WORD_0 src1_sel:DWORD
	v_cndmask_b32_e32 v18, v18, v15, vcc
.LBB12_5329:                            ;   in Loop: Header=BB12_5306 Depth=3
	s_or_b64 exec, exec, s[34:35]
	v_and_b32_e32 v14, 0xffff0000, v14
	v_mul_f32_e32 v15, v12, v14
	v_and_b32_e32 v14, 0x7f800000, v15
	v_cmp_ne_u32_e32 vcc, s97, v14
                                        ; implicit-def: $vgpr14
	s_and_saveexec_b64 s[34:35], vcc
	s_xor_b64 vcc, exec, s[34:35]
; %bb.5330:                             ;   in Loop: Header=BB12_5306 Depth=3
	v_bfe_u32 v14, v15, 16, 1
	v_add3_u32 v14, v15, v14, s46
                                        ; implicit-def: $vgpr15
; %bb.5331:                             ;   in Loop: Header=BB12_5306 Depth=3
	s_andn2_saveexec_b64 s[34:35], vcc
	s_cbranch_execz .LBB12_5333
; %bb.5332:                             ;   in Loop: Header=BB12_5306 Depth=3
	buffer_load_dword v21, off, s[0:3], s33 offset:128 ; 4-byte Folded Reload
	buffer_load_dword v22, off, s[0:3], s33 offset:132 ; 4-byte Folded Reload
	v_or_b32_e32 v14, 0x10000, v15
	s_waitcnt vmcnt(1)
	v_cmp_eq_u32_sdwa vcc, v15, v21 src0_sel:WORD_0 src1_sel:DWORD
	v_cndmask_b32_e32 v14, v14, v15, vcc
.LBB12_5333:                            ;   in Loop: Header=BB12_5306 Depth=3
	s_or_b64 exec, exec, s[34:35]
	s_waitcnt vmcnt(0)
	v_lshlrev_b32_e32 v15, 16, v13
	v_mul_f32_e32 v21, v12, v15
	v_and_b32_e32 v15, 0x7f800000, v21
	v_cmp_ne_u32_e32 vcc, s97, v15
                                        ; implicit-def: $vgpr15
	s_and_saveexec_b64 s[34:35], vcc
	s_xor_b64 vcc, exec, s[34:35]
; %bb.5334:                             ;   in Loop: Header=BB12_5306 Depth=3
	v_bfe_u32 v15, v21, 16, 1
	v_add3_u32 v15, v21, v15, s46
                                        ; implicit-def: $vgpr21
; %bb.5335:                             ;   in Loop: Header=BB12_5306 Depth=3
	s_andn2_saveexec_b64 s[34:35], vcc
	s_cbranch_execz .LBB12_5337
; %bb.5336:                             ;   in Loop: Header=BB12_5306 Depth=3
	buffer_load_dword v22, off, s[0:3], s33 offset:128 ; 4-byte Folded Reload
	buffer_load_dword v23, off, s[0:3], s33 offset:132 ; 4-byte Folded Reload
	v_or_b32_e32 v15, 0x10000, v21
	s_waitcnt vmcnt(1)
	v_cmp_eq_u32_sdwa vcc, v21, v22 src0_sel:WORD_0 src1_sel:DWORD
	v_cndmask_b32_e32 v15, v15, v21, vcc
.LBB12_5337:                            ;   in Loop: Header=BB12_5306 Depth=3
	s_or_b64 exec, exec, s[34:35]
	v_and_b32_e32 v13, 0xffff0000, v13
	v_mul_f32_e32 v21, v12, v13
	v_and_b32_e32 v13, 0x7f800000, v21
	v_cmp_ne_u32_e32 vcc, s97, v13
                                        ; implicit-def: $vgpr13
	s_and_saveexec_b64 s[34:35], vcc
	s_xor_b64 vcc, exec, s[34:35]
; %bb.5338:                             ;   in Loop: Header=BB12_5306 Depth=3
	v_bfe_u32 v13, v21, 16, 1
	v_add3_u32 v13, v21, v13, s46
                                        ; implicit-def: $vgpr21
; %bb.5339:                             ;   in Loop: Header=BB12_5306 Depth=3
	s_andn2_saveexec_b64 s[34:35], vcc
	s_cbranch_execz .LBB12_5341
; %bb.5340:                             ;   in Loop: Header=BB12_5306 Depth=3
	buffer_load_dword v22, off, s[0:3], s33 offset:128 ; 4-byte Folded Reload
	buffer_load_dword v23, off, s[0:3], s33 offset:132 ; 4-byte Folded Reload
	v_or_b32_e32 v13, 0x10000, v21
	s_waitcnt vmcnt(1)
	v_cmp_eq_u32_sdwa vcc, v21, v22 src0_sel:WORD_0 src1_sel:DWORD
	v_cndmask_b32_e32 v13, v13, v21, vcc
.LBB12_5341:                            ;   in Loop: Header=BB12_5306 Depth=3
	s_or_b64 exec, exec, s[34:35]
	buffer_load_dword v24, off, s[0:3], s33 offset:112
	buffer_load_dword v23, off, s[0:3], s33 offset:116
	;; [unrolled: 1-line block ×4, first 2 shown]
	v_and_b32_e32 v16, 0xffff0000, v16
	s_waitcnt vmcnt(3)
	v_lshlrev_b32_e32 v25, 16, v24
	v_add_f32_e32 v25, v16, v25
	v_and_b32_e32 v16, 0x7f800000, v25
	v_cmp_ne_u32_e32 vcc, s97, v16
                                        ; implicit-def: $vgpr16
	s_and_saveexec_b64 s[34:35], vcc
	s_xor_b64 vcc, exec, s[34:35]
; %bb.5342:                             ;   in Loop: Header=BB12_5306 Depth=3
	v_bfe_u32 v16, v25, 16, 1
	v_add3_u32 v16, v25, v16, s46
                                        ; implicit-def: $vgpr25
; %bb.5343:                             ;   in Loop: Header=BB12_5306 Depth=3
	s_andn2_saveexec_b64 s[34:35], vcc
	s_cbranch_execz .LBB12_5345
; %bb.5344:                             ;   in Loop: Header=BB12_5306 Depth=3
	buffer_load_dword v26, off, s[0:3], s33 offset:128 ; 4-byte Folded Reload
	buffer_load_dword v27, off, s[0:3], s33 offset:132 ; 4-byte Folded Reload
	v_or_b32_e32 v16, 0x10000, v25
	s_waitcnt vmcnt(1)
	v_cmp_eq_u32_sdwa vcc, v25, v26 src0_sel:WORD_0 src1_sel:DWORD
	v_cndmask_b32_e32 v16, v16, v25, vcc
.LBB12_5345:                            ;   in Loop: Header=BB12_5306 Depth=3
	s_or_b64 exec, exec, s[34:35]
	v_and_b32_e32 v20, 0xffff0000, v20
	v_and_b32_e32 v24, 0xffff0000, v24
	v_add_f32_e32 v24, v20, v24
	v_and_b32_e32 v20, 0x7f800000, v24
	v_cmp_ne_u32_e32 vcc, s97, v20
                                        ; implicit-def: $vgpr20
	s_and_saveexec_b64 s[34:35], vcc
	s_xor_b64 vcc, exec, s[34:35]
; %bb.5346:                             ;   in Loop: Header=BB12_5306 Depth=3
	v_bfe_u32 v20, v24, 16, 1
	v_add3_u32 v20, v24, v20, s46
                                        ; implicit-def: $vgpr24
; %bb.5347:                             ;   in Loop: Header=BB12_5306 Depth=3
	s_andn2_saveexec_b64 s[34:35], vcc
	s_cbranch_execz .LBB12_5349
; %bb.5348:                             ;   in Loop: Header=BB12_5306 Depth=3
	buffer_load_dword v25, off, s[0:3], s33 offset:128 ; 4-byte Folded Reload
	buffer_load_dword v26, off, s[0:3], s33 offset:132 ; 4-byte Folded Reload
	v_or_b32_e32 v20, 0x10000, v24
	s_waitcnt vmcnt(1)
	v_cmp_eq_u32_sdwa vcc, v24, v25 src0_sel:WORD_0 src1_sel:DWORD
	v_cndmask_b32_e32 v20, v20, v24, vcc
.LBB12_5349:                            ;   in Loop: Header=BB12_5306 Depth=3
	s_or_b64 exec, exec, s[34:35]
	v_and_b32_e32 v19, 0xffff0000, v19
	s_waitcnt vmcnt(2)
	v_lshlrev_b32_e32 v24, 16, v23
	v_add_f32_e32 v24, v19, v24
	v_and_b32_e32 v19, 0x7f800000, v24
	v_cmp_ne_u32_e32 vcc, s97, v19
                                        ; implicit-def: $vgpr19
	s_and_saveexec_b64 s[34:35], vcc
	s_xor_b64 vcc, exec, s[34:35]
; %bb.5350:                             ;   in Loop: Header=BB12_5306 Depth=3
	v_bfe_u32 v19, v24, 16, 1
	v_add3_u32 v19, v24, v19, s46
                                        ; implicit-def: $vgpr24
; %bb.5351:                             ;   in Loop: Header=BB12_5306 Depth=3
	s_andn2_saveexec_b64 s[34:35], vcc
	s_cbranch_execz .LBB12_5353
; %bb.5352:                             ;   in Loop: Header=BB12_5306 Depth=3
	buffer_load_dword v25, off, s[0:3], s33 offset:128 ; 4-byte Folded Reload
	buffer_load_dword v26, off, s[0:3], s33 offset:132 ; 4-byte Folded Reload
	v_or_b32_e32 v19, 0x10000, v24
	s_waitcnt vmcnt(1)
	v_cmp_eq_u32_sdwa vcc, v24, v25 src0_sel:WORD_0 src1_sel:DWORD
	v_cndmask_b32_e32 v19, v19, v24, vcc
.LBB12_5353:                            ;   in Loop: Header=BB12_5306 Depth=3
	s_or_b64 exec, exec, s[34:35]
	v_and_b32_e32 v23, 0xffff0000, v23
	v_and_b32_e32 v17, 0xffff0000, v17
	v_add_f32_e32 v23, v17, v23
	v_and_b32_e32 v17, 0x7f800000, v23
	v_cmp_ne_u32_e32 vcc, s97, v17
                                        ; implicit-def: $vgpr17
	s_and_saveexec_b64 s[34:35], vcc
	s_xor_b64 vcc, exec, s[34:35]
; %bb.5354:                             ;   in Loop: Header=BB12_5306 Depth=3
	v_bfe_u32 v17, v23, 16, 1
	v_add3_u32 v17, v23, v17, s46
                                        ; implicit-def: $vgpr23
; %bb.5355:                             ;   in Loop: Header=BB12_5306 Depth=3
	s_andn2_saveexec_b64 s[34:35], vcc
	s_cbranch_execz .LBB12_5357
; %bb.5356:                             ;   in Loop: Header=BB12_5306 Depth=3
	buffer_load_dword v24, off, s[0:3], s33 offset:128 ; 4-byte Folded Reload
	buffer_load_dword v25, off, s[0:3], s33 offset:132 ; 4-byte Folded Reload
	v_or_b32_e32 v17, 0x10000, v23
	s_waitcnt vmcnt(1)
	v_cmp_eq_u32_sdwa vcc, v23, v24 src0_sel:WORD_0 src1_sel:DWORD
	v_cndmask_b32_e32 v17, v17, v23, vcc
.LBB12_5357:                            ;   in Loop: Header=BB12_5306 Depth=3
	s_or_b64 exec, exec, s[34:35]
	v_and_b32_e32 v18, 0xffff0000, v18
	s_waitcnt vmcnt(1)
	v_lshlrev_b32_e32 v23, 16, v22
	v_add_f32_e32 v23, v18, v23
	v_and_b32_e32 v18, 0x7f800000, v23
	v_cmp_ne_u32_e32 vcc, s97, v18
                                        ; implicit-def: $vgpr18
	s_and_saveexec_b64 s[34:35], vcc
	s_xor_b64 vcc, exec, s[34:35]
; %bb.5358:                             ;   in Loop: Header=BB12_5306 Depth=3
	v_bfe_u32 v18, v23, 16, 1
	v_add3_u32 v18, v23, v18, s46
                                        ; implicit-def: $vgpr23
; %bb.5359:                             ;   in Loop: Header=BB12_5306 Depth=3
	s_andn2_saveexec_b64 s[34:35], vcc
	s_cbranch_execz .LBB12_5361
; %bb.5360:                             ;   in Loop: Header=BB12_5306 Depth=3
	buffer_load_dword v24, off, s[0:3], s33 offset:128 ; 4-byte Folded Reload
	buffer_load_dword v25, off, s[0:3], s33 offset:132 ; 4-byte Folded Reload
	v_or_b32_e32 v18, 0x10000, v23
	s_waitcnt vmcnt(1)
	v_cmp_eq_u32_sdwa vcc, v23, v24 src0_sel:WORD_0 src1_sel:DWORD
	v_cndmask_b32_e32 v18, v18, v23, vcc
.LBB12_5361:                            ;   in Loop: Header=BB12_5306 Depth=3
	s_or_b64 exec, exec, s[34:35]
	v_and_b32_e32 v22, 0xffff0000, v22
	v_and_b32_e32 v14, 0xffff0000, v14
	v_add_f32_e32 v22, v14, v22
	v_and_b32_e32 v14, 0x7f800000, v22
	v_cmp_ne_u32_e32 vcc, s97, v14
                                        ; implicit-def: $vgpr14
	s_and_saveexec_b64 s[34:35], vcc
	s_xor_b64 vcc, exec, s[34:35]
; %bb.5362:                             ;   in Loop: Header=BB12_5306 Depth=3
	v_bfe_u32 v14, v22, 16, 1
	v_add3_u32 v14, v22, v14, s46
                                        ; implicit-def: $vgpr22
; %bb.5363:                             ;   in Loop: Header=BB12_5306 Depth=3
	s_andn2_saveexec_b64 s[34:35], vcc
	s_cbranch_execz .LBB12_5365
; %bb.5364:                             ;   in Loop: Header=BB12_5306 Depth=3
	buffer_load_dword v23, off, s[0:3], s33 offset:128 ; 4-byte Folded Reload
	buffer_load_dword v24, off, s[0:3], s33 offset:132 ; 4-byte Folded Reload
	v_or_b32_e32 v14, 0x10000, v22
	s_waitcnt vmcnt(1)
	v_cmp_eq_u32_sdwa vcc, v22, v23 src0_sel:WORD_0 src1_sel:DWORD
	v_cndmask_b32_e32 v14, v14, v22, vcc
.LBB12_5365:                            ;   in Loop: Header=BB12_5306 Depth=3
	s_or_b64 exec, exec, s[34:35]
	v_and_b32_e32 v15, 0xffff0000, v15
	s_waitcnt vmcnt(0)
	v_lshlrev_b32_e32 v22, 16, v21
	v_add_f32_e32 v22, v15, v22
	v_and_b32_e32 v15, 0x7f800000, v22
	v_cmp_ne_u32_e32 vcc, s97, v15
                                        ; implicit-def: $vgpr15
	s_and_saveexec_b64 s[34:35], vcc
	s_xor_b64 vcc, exec, s[34:35]
; %bb.5366:                             ;   in Loop: Header=BB12_5306 Depth=3
	v_bfe_u32 v15, v22, 16, 1
	v_add3_u32 v15, v22, v15, s46
                                        ; implicit-def: $vgpr22
; %bb.5367:                             ;   in Loop: Header=BB12_5306 Depth=3
	s_andn2_saveexec_b64 s[34:35], vcc
	s_cbranch_execz .LBB12_5369
; %bb.5368:                             ;   in Loop: Header=BB12_5306 Depth=3
	buffer_load_dword v23, off, s[0:3], s33 offset:128 ; 4-byte Folded Reload
	buffer_load_dword v24, off, s[0:3], s33 offset:132 ; 4-byte Folded Reload
	v_or_b32_e32 v15, 0x10000, v22
	s_waitcnt vmcnt(1)
	v_cmp_eq_u32_sdwa vcc, v22, v23 src0_sel:WORD_0 src1_sel:DWORD
	v_cndmask_b32_e32 v15, v15, v22, vcc
.LBB12_5369:                            ;   in Loop: Header=BB12_5306 Depth=3
	s_or_b64 exec, exec, s[34:35]
	v_and_b32_e32 v21, 0xffff0000, v21
	v_and_b32_e32 v13, 0xffff0000, v13
	v_add_f32_e32 v21, v13, v21
	v_and_b32_e32 v13, 0x7f800000, v21
	v_cmp_ne_u32_e32 vcc, s97, v13
                                        ; implicit-def: $vgpr13
	s_and_saveexec_b64 s[34:35], vcc
	s_xor_b64 vcc, exec, s[34:35]
; %bb.5370:                             ;   in Loop: Header=BB12_5306 Depth=3
	v_bfe_u32 v13, v21, 16, 1
	v_add3_u32 v13, v21, v13, s46
                                        ; implicit-def: $vgpr21
; %bb.5371:                             ;   in Loop: Header=BB12_5306 Depth=3
	s_andn2_saveexec_b64 s[34:35], vcc
	s_cbranch_execz .LBB12_5373
; %bb.5372:                             ;   in Loop: Header=BB12_5306 Depth=3
	buffer_load_dword v22, off, s[0:3], s33 offset:128 ; 4-byte Folded Reload
	buffer_load_dword v23, off, s[0:3], s33 offset:132 ; 4-byte Folded Reload
	v_or_b32_e32 v13, 0x10000, v21
	s_waitcnt vmcnt(1)
	v_cmp_eq_u32_sdwa vcc, v21, v22 src0_sel:WORD_0 src1_sel:DWORD
	v_cndmask_b32_e32 v13, v13, v21, vcc
.LBB12_5373:                            ;   in Loop: Header=BB12_5306 Depth=3
	s_or_b64 exec, exec, s[34:35]
	v_lshrrev_b32_e32 v19, 16, v19
	v_lshrrev_b32_e32 v18, 16, v18
	v_and_or_b32 v17, v17, s47, v19
	v_lshrrev_b32_e32 v16, 16, v16
	v_and_or_b32 v18, v14, s47, v18
	;; [unrolled: 2-line block ×3, first 2 shown]
	v_and_or_b32 v19, v13, s47, v14
	buffer_store_dword v17, off, s[0:3], s33 offset:100
	buffer_store_dword v16, off, s[0:3], s33 offset:96
	;; [unrolled: 1-line block ×4, first 2 shown]
	buffer_load_dword v13, off, s[0:3], s33 offset:420 ; 4-byte Folded Reload
	s_nop 0
	global_store_dwordx4 v[0:1], v[16:19], off glc slc
	s_waitcnt vmcnt(1)
	v_add_co_u32_e32 v0, vcc, v13, v0
	buffer_load_dword v13, off, s[0:3], s33 offset:424 ; 4-byte Folded Reload
	s_waitcnt vmcnt(0)
	v_addc_co_u32_e32 v1, vcc, v13, v1, vcc
.LBB12_5374:                            ;   in Loop: Header=BB12_5306 Depth=3
	s_or_b64 exec, exec, s[40:41]
	buffer_load_dword v13, off, s[0:3], s33 offset:412 ; 4-byte Folded Reload
	buffer_load_dword v14, off, s[0:3], s33 offset:416 ; 4-byte Folded Reload
	s_waitcnt vmcnt(1)
	v_add_co_u32_e32 v7, vcc, v7, v13
	s_waitcnt vmcnt(0)
	v_addc_co_u32_e32 v9, vcc, v9, v14, vcc
	v_add_co_u32_e32 v10, vcc, v10, v13
	buffer_load_dword v13, off, s[0:3], s33 offset:384 ; 4-byte Folded Reload
	v_addc_co_u32_e32 v11, vcc, v11, v14, vcc
	s_waitcnt vmcnt(0)
	v_sub_u32_e32 v6, v6, v13
	v_cmp_lt_i32_e64 s[34:35], 15, v6
	s_and_saveexec_b64 s[36:37], s[34:35]
	s_cbranch_execz .LBB12_5377
; %bb.5375:                             ;   in Loop: Header=BB12_5306 Depth=3
	s_lshr_b32 s9, s33, 6
	s_addk_i32 s9, 0x60
	s_mov_b64 s[48:49], 0
	s_mov_b64 s[38:39], -1
.LBB12_5376:                            ;   Parent Loop BB12_47 Depth=1
                                        ;     Parent Loop BB12_2997 Depth=2
                                        ;       Parent Loop BB12_5306 Depth=3
                                        ; =>      This Inner Loop Header: Depth=4
	s_cmp_eq_u32 s48, 1
	s_cselect_b64 s[40:41], -1, 0
	v_cndmask_b32_e64 v18, v9, v11, s[40:41]
	v_cndmask_b32_e64 v17, v7, v10, s[40:41]
	global_load_dwordx4 v[13:16], v[17:18], off glc slc
	v_mov_b32_e32 v19, s9
	s_cmp_eq_u32 s48, 0
	s_mov_b64 s[48:49], 1
	s_mov_b32 s9, s84
	s_waitcnt vmcnt(0)
	buffer_store_dword v14, v19, s[0:3], 0 offen offset:4
	buffer_store_dword v13, v19, s[0:3], 0 offen
	buffer_store_dword v16, v19, s[0:3], 0 offen offset:12
	buffer_store_dword v15, v19, s[0:3], 0 offen offset:8
	v_add_co_u32_e32 v13, vcc, s55, v17
	v_addc_co_u32_e32 v14, vcc, 0, v18, vcc
	s_cselect_b64 vcc, -1, 0
	v_cndmask_b32_e32 v9, v9, v14, vcc
	v_cndmask_b32_e32 v7, v7, v13, vcc
	v_cndmask_b32_e64 v11, v11, v14, s[40:41]
	v_cndmask_b32_e64 v10, v10, v13, s[40:41]
	s_and_b64 vcc, exec, s[38:39]
	s_mov_b64 s[38:39], 0
	s_cbranch_vccnz .LBB12_5376
.LBB12_5377:                            ;   in Loop: Header=BB12_5306 Depth=3
	s_or_b64 exec, exec, s[36:37]
	buffer_load_dword v17, off, s[0:3], s33 offset:64
	buffer_load_dword v15, off, s[0:3], s33 offset:68
	;; [unrolled: 1-line block ×4, first 2 shown]
	s_waitcnt vmcnt(3)
	v_lshlrev_b32_e32 v16, 16, v17
	v_mul_f32_e32 v18, v12, v16
	v_and_b32_e32 v16, 0x7f800000, v18
	v_cmp_ne_u32_e32 vcc, s97, v16
                                        ; implicit-def: $vgpr16
	s_and_saveexec_b64 s[40:41], vcc
	s_xor_b64 s[40:41], exec, s[40:41]
; %bb.5378:                             ;   in Loop: Header=BB12_5306 Depth=3
	v_bfe_u32 v16, v18, 16, 1
	v_add3_u32 v16, v18, v16, s46
                                        ; implicit-def: $vgpr18
; %bb.5379:                             ;   in Loop: Header=BB12_5306 Depth=3
	s_andn2_saveexec_b64 s[40:41], s[40:41]
	s_cbranch_execz .LBB12_5381
; %bb.5380:                             ;   in Loop: Header=BB12_5306 Depth=3
	buffer_load_dword v19, off, s[0:3], s33 offset:128 ; 4-byte Folded Reload
	buffer_load_dword v20, off, s[0:3], s33 offset:132 ; 4-byte Folded Reload
	v_or_b32_e32 v16, 0x10000, v18
	s_waitcnt vmcnt(1)
	v_cmp_eq_u32_sdwa vcc, v18, v19 src0_sel:WORD_0 src1_sel:DWORD
	v_cndmask_b32_e32 v16, v16, v18, vcc
.LBB12_5381:                            ;   in Loop: Header=BB12_5306 Depth=3
	s_or_b64 exec, exec, s[40:41]
	v_and_b32_e32 v17, 0xffff0000, v17
	v_mul_f32_e32 v17, v12, v17
	v_and_b32_e32 v18, 0x7f800000, v17
	v_cmp_ne_u32_e32 vcc, s97, v18
                                        ; implicit-def: $vgpr20
	s_and_saveexec_b64 s[40:41], vcc
	s_xor_b64 s[40:41], exec, s[40:41]
	s_cbranch_execz .LBB12_5383
; %bb.5382:                             ;   in Loop: Header=BB12_5306 Depth=3
	v_bfe_u32 v18, v17, 16, 1
	s_waitcnt vmcnt(0)
	v_add3_u32 v20, v17, v18, s46
                                        ; implicit-def: $vgpr17
.LBB12_5383:                            ;   in Loop: Header=BB12_5306 Depth=3
	s_andn2_saveexec_b64 s[40:41], s[40:41]
	s_cbranch_execz .LBB12_5385
; %bb.5384:                             ;   in Loop: Header=BB12_5306 Depth=3
	buffer_load_dword v19, off, s[0:3], s33 offset:128 ; 4-byte Folded Reload
	buffer_load_dword v20, off, s[0:3], s33 offset:132 ; 4-byte Folded Reload
	v_or_b32_e32 v18, 0x10000, v17
	s_waitcnt vmcnt(1)
	v_cmp_eq_u32_sdwa vcc, v17, v19 src0_sel:WORD_0 src1_sel:DWORD
	s_waitcnt vmcnt(0)
	v_cndmask_b32_e32 v20, v18, v17, vcc
.LBB12_5385:                            ;   in Loop: Header=BB12_5306 Depth=3
	s_or_b64 exec, exec, s[40:41]
	s_waitcnt vmcnt(2)
	v_lshlrev_b32_e32 v17, 16, v15
	v_mul_f32_e32 v17, v12, v17
	v_and_b32_e32 v18, 0x7f800000, v17
	v_cmp_ne_u32_e32 vcc, s97, v18
                                        ; implicit-def: $vgpr19
	s_and_saveexec_b64 s[40:41], vcc
	s_xor_b64 s[40:41], exec, s[40:41]
; %bb.5386:                             ;   in Loop: Header=BB12_5306 Depth=3
	v_bfe_u32 v18, v17, 16, 1
	v_add3_u32 v19, v17, v18, s46
                                        ; implicit-def: $vgpr17
; %bb.5387:                             ;   in Loop: Header=BB12_5306 Depth=3
	s_andn2_saveexec_b64 s[40:41], s[40:41]
	s_cbranch_execz .LBB12_5389
; %bb.5388:                             ;   in Loop: Header=BB12_5306 Depth=3
	buffer_load_dword v21, off, s[0:3], s33 offset:128 ; 4-byte Folded Reload
	buffer_load_dword v22, off, s[0:3], s33 offset:132 ; 4-byte Folded Reload
	v_or_b32_e32 v18, 0x10000, v17
	s_waitcnt vmcnt(1)
	v_cmp_eq_u32_sdwa vcc, v17, v21 src0_sel:WORD_0 src1_sel:DWORD
	v_cndmask_b32_e32 v19, v18, v17, vcc
.LBB12_5389:                            ;   in Loop: Header=BB12_5306 Depth=3
	s_or_b64 exec, exec, s[40:41]
	v_and_b32_e32 v15, 0xffff0000, v15
	v_mul_f32_e32 v15, v12, v15
	v_and_b32_e32 v17, 0x7f800000, v15
	v_cmp_ne_u32_e32 vcc, s97, v17
                                        ; implicit-def: $vgpr17
	s_and_saveexec_b64 s[40:41], vcc
	s_xor_b64 s[40:41], exec, s[40:41]
; %bb.5390:                             ;   in Loop: Header=BB12_5306 Depth=3
	v_bfe_u32 v17, v15, 16, 1
	v_add3_u32 v17, v15, v17, s46
                                        ; implicit-def: $vgpr15
; %bb.5391:                             ;   in Loop: Header=BB12_5306 Depth=3
	s_andn2_saveexec_b64 s[40:41], s[40:41]
	s_cbranch_execz .LBB12_5393
; %bb.5392:                             ;   in Loop: Header=BB12_5306 Depth=3
	buffer_load_dword v21, off, s[0:3], s33 offset:128 ; 4-byte Folded Reload
	buffer_load_dword v22, off, s[0:3], s33 offset:132 ; 4-byte Folded Reload
	v_or_b32_e32 v17, 0x10000, v15
	s_waitcnt vmcnt(1)
	v_cmp_eq_u32_sdwa vcc, v15, v21 src0_sel:WORD_0 src1_sel:DWORD
	v_cndmask_b32_e32 v17, v17, v15, vcc
.LBB12_5393:                            ;   in Loop: Header=BB12_5306 Depth=3
	s_or_b64 exec, exec, s[40:41]
	s_waitcnt vmcnt(1)
	v_lshlrev_b32_e32 v15, 16, v14
	v_mul_f32_e32 v15, v12, v15
	v_and_b32_e32 v18, 0x7f800000, v15
	v_cmp_ne_u32_e32 vcc, s97, v18
                                        ; implicit-def: $vgpr18
	s_and_saveexec_b64 s[40:41], vcc
	s_xor_b64 s[40:41], exec, s[40:41]
; %bb.5394:                             ;   in Loop: Header=BB12_5306 Depth=3
	v_bfe_u32 v18, v15, 16, 1
	v_add3_u32 v18, v15, v18, s46
                                        ; implicit-def: $vgpr15
; %bb.5395:                             ;   in Loop: Header=BB12_5306 Depth=3
	s_andn2_saveexec_b64 s[40:41], s[40:41]
	s_cbranch_execz .LBB12_5397
; %bb.5396:                             ;   in Loop: Header=BB12_5306 Depth=3
	buffer_load_dword v21, off, s[0:3], s33 offset:128 ; 4-byte Folded Reload
	buffer_load_dword v22, off, s[0:3], s33 offset:132 ; 4-byte Folded Reload
	v_or_b32_e32 v18, 0x10000, v15
	s_waitcnt vmcnt(1)
	v_cmp_eq_u32_sdwa vcc, v15, v21 src0_sel:WORD_0 src1_sel:DWORD
	v_cndmask_b32_e32 v18, v18, v15, vcc
.LBB12_5397:                            ;   in Loop: Header=BB12_5306 Depth=3
	s_or_b64 exec, exec, s[40:41]
	v_and_b32_e32 v14, 0xffff0000, v14
	v_mul_f32_e32 v15, v12, v14
	v_and_b32_e32 v14, 0x7f800000, v15
	v_cmp_ne_u32_e32 vcc, s97, v14
                                        ; implicit-def: $vgpr14
	s_and_saveexec_b64 s[40:41], vcc
	s_xor_b64 s[40:41], exec, s[40:41]
; %bb.5398:                             ;   in Loop: Header=BB12_5306 Depth=3
	v_bfe_u32 v14, v15, 16, 1
	v_add3_u32 v14, v15, v14, s46
                                        ; implicit-def: $vgpr15
; %bb.5399:                             ;   in Loop: Header=BB12_5306 Depth=3
	s_andn2_saveexec_b64 s[40:41], s[40:41]
	s_cbranch_execz .LBB12_5401
; %bb.5400:                             ;   in Loop: Header=BB12_5306 Depth=3
	buffer_load_dword v21, off, s[0:3], s33 offset:128 ; 4-byte Folded Reload
	buffer_load_dword v22, off, s[0:3], s33 offset:132 ; 4-byte Folded Reload
	v_or_b32_e32 v14, 0x10000, v15
	s_waitcnt vmcnt(1)
	v_cmp_eq_u32_sdwa vcc, v15, v21 src0_sel:WORD_0 src1_sel:DWORD
	v_cndmask_b32_e32 v14, v14, v15, vcc
.LBB12_5401:                            ;   in Loop: Header=BB12_5306 Depth=3
	s_or_b64 exec, exec, s[40:41]
	s_waitcnt vmcnt(0)
	v_lshlrev_b32_e32 v15, 16, v13
	v_mul_f32_e32 v21, v12, v15
	v_and_b32_e32 v15, 0x7f800000, v21
	v_cmp_ne_u32_e32 vcc, s97, v15
                                        ; implicit-def: $vgpr15
	s_and_saveexec_b64 s[40:41], vcc
	s_xor_b64 s[40:41], exec, s[40:41]
; %bb.5402:                             ;   in Loop: Header=BB12_5306 Depth=3
	v_bfe_u32 v15, v21, 16, 1
	v_add3_u32 v15, v21, v15, s46
                                        ; implicit-def: $vgpr21
; %bb.5403:                             ;   in Loop: Header=BB12_5306 Depth=3
	s_andn2_saveexec_b64 s[40:41], s[40:41]
	s_cbranch_execz .LBB12_5405
; %bb.5404:                             ;   in Loop: Header=BB12_5306 Depth=3
	buffer_load_dword v22, off, s[0:3], s33 offset:128 ; 4-byte Folded Reload
	buffer_load_dword v23, off, s[0:3], s33 offset:132 ; 4-byte Folded Reload
	v_or_b32_e32 v15, 0x10000, v21
	s_waitcnt vmcnt(1)
	v_cmp_eq_u32_sdwa vcc, v21, v22 src0_sel:WORD_0 src1_sel:DWORD
	v_cndmask_b32_e32 v15, v15, v21, vcc
.LBB12_5405:                            ;   in Loop: Header=BB12_5306 Depth=3
	s_or_b64 exec, exec, s[40:41]
	v_and_b32_e32 v13, 0xffff0000, v13
	v_mul_f32_e32 v21, v12, v13
	v_and_b32_e32 v13, 0x7f800000, v21
	v_cmp_ne_u32_e32 vcc, s97, v13
                                        ; implicit-def: $vgpr13
	s_and_saveexec_b64 s[40:41], vcc
	s_xor_b64 s[40:41], exec, s[40:41]
; %bb.5406:                             ;   in Loop: Header=BB12_5306 Depth=3
	v_bfe_u32 v13, v21, 16, 1
	v_add3_u32 v13, v21, v13, s46
                                        ; implicit-def: $vgpr21
; %bb.5407:                             ;   in Loop: Header=BB12_5306 Depth=3
	s_andn2_saveexec_b64 s[40:41], s[40:41]
	s_cbranch_execz .LBB12_5409
; %bb.5408:                             ;   in Loop: Header=BB12_5306 Depth=3
	buffer_load_dword v22, off, s[0:3], s33 offset:128 ; 4-byte Folded Reload
	buffer_load_dword v23, off, s[0:3], s33 offset:132 ; 4-byte Folded Reload
	v_or_b32_e32 v13, 0x10000, v21
	s_waitcnt vmcnt(1)
	v_cmp_eq_u32_sdwa vcc, v21, v22 src0_sel:WORD_0 src1_sel:DWORD
	v_cndmask_b32_e32 v13, v13, v21, vcc
.LBB12_5409:                            ;   in Loop: Header=BB12_5306 Depth=3
	s_or_b64 exec, exec, s[40:41]
	buffer_load_dword v24, off, s[0:3], s33 offset:80
	buffer_load_dword v23, off, s[0:3], s33 offset:84
	;; [unrolled: 1-line block ×4, first 2 shown]
	v_and_b32_e32 v16, 0xffff0000, v16
	s_waitcnt vmcnt(3)
	v_lshlrev_b32_e32 v25, 16, v24
	v_add_f32_e32 v25, v16, v25
	v_and_b32_e32 v16, 0x7f800000, v25
	v_cmp_ne_u32_e32 vcc, s97, v16
                                        ; implicit-def: $vgpr16
	s_and_saveexec_b64 s[40:41], vcc
	s_xor_b64 s[40:41], exec, s[40:41]
; %bb.5410:                             ;   in Loop: Header=BB12_5306 Depth=3
	v_bfe_u32 v16, v25, 16, 1
	v_add3_u32 v16, v25, v16, s46
                                        ; implicit-def: $vgpr25
; %bb.5411:                             ;   in Loop: Header=BB12_5306 Depth=3
	s_andn2_saveexec_b64 s[40:41], s[40:41]
	s_cbranch_execz .LBB12_5413
; %bb.5412:                             ;   in Loop: Header=BB12_5306 Depth=3
	buffer_load_dword v26, off, s[0:3], s33 offset:128 ; 4-byte Folded Reload
	buffer_load_dword v27, off, s[0:3], s33 offset:132 ; 4-byte Folded Reload
	v_or_b32_e32 v16, 0x10000, v25
	s_waitcnt vmcnt(1)
	v_cmp_eq_u32_sdwa vcc, v25, v26 src0_sel:WORD_0 src1_sel:DWORD
	v_cndmask_b32_e32 v16, v16, v25, vcc
.LBB12_5413:                            ;   in Loop: Header=BB12_5306 Depth=3
	s_or_b64 exec, exec, s[40:41]
	v_and_b32_e32 v20, 0xffff0000, v20
	v_and_b32_e32 v24, 0xffff0000, v24
	v_add_f32_e32 v24, v20, v24
	v_and_b32_e32 v20, 0x7f800000, v24
	v_cmp_ne_u32_e32 vcc, s97, v20
                                        ; implicit-def: $vgpr20
	s_and_saveexec_b64 s[40:41], vcc
	s_xor_b64 s[40:41], exec, s[40:41]
; %bb.5414:                             ;   in Loop: Header=BB12_5306 Depth=3
	v_bfe_u32 v20, v24, 16, 1
	v_add3_u32 v20, v24, v20, s46
                                        ; implicit-def: $vgpr24
; %bb.5415:                             ;   in Loop: Header=BB12_5306 Depth=3
	s_andn2_saveexec_b64 s[40:41], s[40:41]
	s_cbranch_execz .LBB12_5417
; %bb.5416:                             ;   in Loop: Header=BB12_5306 Depth=3
	buffer_load_dword v25, off, s[0:3], s33 offset:128 ; 4-byte Folded Reload
	buffer_load_dword v26, off, s[0:3], s33 offset:132 ; 4-byte Folded Reload
	v_or_b32_e32 v20, 0x10000, v24
	s_waitcnt vmcnt(1)
	v_cmp_eq_u32_sdwa vcc, v24, v25 src0_sel:WORD_0 src1_sel:DWORD
	v_cndmask_b32_e32 v20, v20, v24, vcc
.LBB12_5417:                            ;   in Loop: Header=BB12_5306 Depth=3
	s_or_b64 exec, exec, s[40:41]
	v_and_b32_e32 v19, 0xffff0000, v19
	s_waitcnt vmcnt(2)
	v_lshlrev_b32_e32 v24, 16, v23
	v_add_f32_e32 v24, v19, v24
	v_and_b32_e32 v19, 0x7f800000, v24
	v_cmp_ne_u32_e32 vcc, s97, v19
                                        ; implicit-def: $vgpr19
	s_and_saveexec_b64 s[40:41], vcc
	s_xor_b64 s[40:41], exec, s[40:41]
; %bb.5418:                             ;   in Loop: Header=BB12_5306 Depth=3
	v_bfe_u32 v19, v24, 16, 1
	v_add3_u32 v19, v24, v19, s46
                                        ; implicit-def: $vgpr24
; %bb.5419:                             ;   in Loop: Header=BB12_5306 Depth=3
	s_andn2_saveexec_b64 s[40:41], s[40:41]
	s_cbranch_execz .LBB12_5421
; %bb.5420:                             ;   in Loop: Header=BB12_5306 Depth=3
	buffer_load_dword v25, off, s[0:3], s33 offset:128 ; 4-byte Folded Reload
	buffer_load_dword v26, off, s[0:3], s33 offset:132 ; 4-byte Folded Reload
	v_or_b32_e32 v19, 0x10000, v24
	s_waitcnt vmcnt(1)
	v_cmp_eq_u32_sdwa vcc, v24, v25 src0_sel:WORD_0 src1_sel:DWORD
	v_cndmask_b32_e32 v19, v19, v24, vcc
.LBB12_5421:                            ;   in Loop: Header=BB12_5306 Depth=3
	s_or_b64 exec, exec, s[40:41]
	v_and_b32_e32 v23, 0xffff0000, v23
	v_and_b32_e32 v17, 0xffff0000, v17
	v_add_f32_e32 v23, v17, v23
	v_and_b32_e32 v17, 0x7f800000, v23
	v_cmp_ne_u32_e32 vcc, s97, v17
                                        ; implicit-def: $vgpr17
	s_and_saveexec_b64 s[40:41], vcc
	s_xor_b64 s[40:41], exec, s[40:41]
; %bb.5422:                             ;   in Loop: Header=BB12_5306 Depth=3
	v_bfe_u32 v17, v23, 16, 1
	v_add3_u32 v17, v23, v17, s46
                                        ; implicit-def: $vgpr23
; %bb.5423:                             ;   in Loop: Header=BB12_5306 Depth=3
	s_andn2_saveexec_b64 s[40:41], s[40:41]
	s_cbranch_execz .LBB12_5425
; %bb.5424:                             ;   in Loop: Header=BB12_5306 Depth=3
	buffer_load_dword v24, off, s[0:3], s33 offset:128 ; 4-byte Folded Reload
	buffer_load_dword v25, off, s[0:3], s33 offset:132 ; 4-byte Folded Reload
	v_or_b32_e32 v17, 0x10000, v23
	s_waitcnt vmcnt(1)
	v_cmp_eq_u32_sdwa vcc, v23, v24 src0_sel:WORD_0 src1_sel:DWORD
	v_cndmask_b32_e32 v17, v17, v23, vcc
.LBB12_5425:                            ;   in Loop: Header=BB12_5306 Depth=3
	s_or_b64 exec, exec, s[40:41]
	v_and_b32_e32 v18, 0xffff0000, v18
	s_waitcnt vmcnt(1)
	v_lshlrev_b32_e32 v23, 16, v22
	v_add_f32_e32 v23, v18, v23
	v_and_b32_e32 v18, 0x7f800000, v23
	v_cmp_ne_u32_e32 vcc, s97, v18
                                        ; implicit-def: $vgpr18
	s_and_saveexec_b64 s[40:41], vcc
	s_xor_b64 s[40:41], exec, s[40:41]
; %bb.5426:                             ;   in Loop: Header=BB12_5306 Depth=3
	v_bfe_u32 v18, v23, 16, 1
	v_add3_u32 v18, v23, v18, s46
                                        ; implicit-def: $vgpr23
; %bb.5427:                             ;   in Loop: Header=BB12_5306 Depth=3
	s_andn2_saveexec_b64 s[40:41], s[40:41]
	s_cbranch_execz .LBB12_5429
; %bb.5428:                             ;   in Loop: Header=BB12_5306 Depth=3
	buffer_load_dword v24, off, s[0:3], s33 offset:128 ; 4-byte Folded Reload
	buffer_load_dword v25, off, s[0:3], s33 offset:132 ; 4-byte Folded Reload
	v_or_b32_e32 v18, 0x10000, v23
	s_waitcnt vmcnt(1)
	v_cmp_eq_u32_sdwa vcc, v23, v24 src0_sel:WORD_0 src1_sel:DWORD
	v_cndmask_b32_e32 v18, v18, v23, vcc
.LBB12_5429:                            ;   in Loop: Header=BB12_5306 Depth=3
	s_or_b64 exec, exec, s[40:41]
	v_and_b32_e32 v22, 0xffff0000, v22
	v_and_b32_e32 v14, 0xffff0000, v14
	v_add_f32_e32 v22, v14, v22
	v_and_b32_e32 v14, 0x7f800000, v22
	v_cmp_ne_u32_e32 vcc, s97, v14
                                        ; implicit-def: $vgpr14
	s_and_saveexec_b64 s[40:41], vcc
	s_xor_b64 s[40:41], exec, s[40:41]
; %bb.5430:                             ;   in Loop: Header=BB12_5306 Depth=3
	v_bfe_u32 v14, v22, 16, 1
	v_add3_u32 v14, v22, v14, s46
                                        ; implicit-def: $vgpr22
; %bb.5431:                             ;   in Loop: Header=BB12_5306 Depth=3
	s_andn2_saveexec_b64 s[40:41], s[40:41]
	s_cbranch_execz .LBB12_5433
; %bb.5432:                             ;   in Loop: Header=BB12_5306 Depth=3
	buffer_load_dword v23, off, s[0:3], s33 offset:128 ; 4-byte Folded Reload
	buffer_load_dword v24, off, s[0:3], s33 offset:132 ; 4-byte Folded Reload
	v_or_b32_e32 v14, 0x10000, v22
	s_waitcnt vmcnt(1)
	v_cmp_eq_u32_sdwa vcc, v22, v23 src0_sel:WORD_0 src1_sel:DWORD
	v_cndmask_b32_e32 v14, v14, v22, vcc
.LBB12_5433:                            ;   in Loop: Header=BB12_5306 Depth=3
	s_or_b64 exec, exec, s[40:41]
	v_and_b32_e32 v15, 0xffff0000, v15
	s_waitcnt vmcnt(0)
	v_lshlrev_b32_e32 v22, 16, v21
	v_add_f32_e32 v22, v15, v22
	v_and_b32_e32 v15, 0x7f800000, v22
	v_cmp_ne_u32_e32 vcc, s97, v15
                                        ; implicit-def: $vgpr15
	s_and_saveexec_b64 s[40:41], vcc
	s_xor_b64 s[40:41], exec, s[40:41]
; %bb.5434:                             ;   in Loop: Header=BB12_5306 Depth=3
	v_bfe_u32 v15, v22, 16, 1
	v_add3_u32 v15, v22, v15, s46
                                        ; implicit-def: $vgpr22
; %bb.5435:                             ;   in Loop: Header=BB12_5306 Depth=3
	s_andn2_saveexec_b64 s[40:41], s[40:41]
	s_cbranch_execz .LBB12_5437
; %bb.5436:                             ;   in Loop: Header=BB12_5306 Depth=3
	buffer_load_dword v23, off, s[0:3], s33 offset:128 ; 4-byte Folded Reload
	buffer_load_dword v24, off, s[0:3], s33 offset:132 ; 4-byte Folded Reload
	v_or_b32_e32 v15, 0x10000, v22
	s_waitcnt vmcnt(1)
	v_cmp_eq_u32_sdwa vcc, v22, v23 src0_sel:WORD_0 src1_sel:DWORD
	v_cndmask_b32_e32 v15, v15, v22, vcc
.LBB12_5437:                            ;   in Loop: Header=BB12_5306 Depth=3
	s_or_b64 exec, exec, s[40:41]
	v_and_b32_e32 v21, 0xffff0000, v21
	v_and_b32_e32 v13, 0xffff0000, v13
	v_add_f32_e32 v21, v13, v21
	v_and_b32_e32 v13, 0x7f800000, v21
	v_cmp_ne_u32_e32 vcc, s97, v13
                                        ; implicit-def: $vgpr13
	s_and_saveexec_b64 s[40:41], vcc
	s_xor_b64 s[40:41], exec, s[40:41]
; %bb.5438:                             ;   in Loop: Header=BB12_5306 Depth=3
	v_bfe_u32 v13, v21, 16, 1
	v_add3_u32 v13, v21, v13, s46
                                        ; implicit-def: $vgpr21
; %bb.5439:                             ;   in Loop: Header=BB12_5306 Depth=3
	s_andn2_saveexec_b64 s[40:41], s[40:41]
	s_cbranch_execz .LBB12_5441
; %bb.5440:                             ;   in Loop: Header=BB12_5306 Depth=3
	buffer_load_dword v22, off, s[0:3], s33 offset:128 ; 4-byte Folded Reload
	buffer_load_dword v23, off, s[0:3], s33 offset:132 ; 4-byte Folded Reload
	v_or_b32_e32 v13, 0x10000, v21
	s_waitcnt vmcnt(1)
	v_cmp_eq_u32_sdwa vcc, v21, v22 src0_sel:WORD_0 src1_sel:DWORD
	v_cndmask_b32_e32 v13, v13, v21, vcc
.LBB12_5441:                            ;   in Loop: Header=BB12_5306 Depth=3
	s_or_b64 exec, exec, s[40:41]
	buffer_load_dword v21, off, s[0:3], s33 offset:152 ; 4-byte Folded Reload
	v_lshrrev_b32_e32 v18, 16, v18
	v_lshrrev_b32_e32 v19, 16, v19
	v_lshrrev_b32_e32 v16, 16, v16
	v_and_or_b32 v18, v14, s47, v18
	v_lshrrev_b32_e32 v14, 16, v15
	v_and_or_b32 v17, v17, s47, v19
	v_and_or_b32 v16, v20, s47, v16
	;; [unrolled: 1-line block ×3, first 2 shown]
	buffer_store_dword v17, off, s[0:3], s33 offset:68
	buffer_store_dword v16, off, s[0:3], s33 offset:64
	;; [unrolled: 1-line block ×4, first 2 shown]
	global_store_dwordx4 v[0:1], v[16:19], off glc slc
	v_add_co_u32_e32 v0, vcc, 0x400, v0
	v_addc_co_u32_e32 v1, vcc, 0, v1, vcc
	s_waitcnt vmcnt(5)
	v_sub_u32_e32 v8, v8, v21
	s_and_saveexec_b64 s[40:41], s[34:35]
	s_cbranch_execz .LBB12_5305
; %bb.5442:                             ;   in Loop: Header=BB12_5306 Depth=3
	buffer_load_dword v13, off, s[0:3], s33 offset:412 ; 4-byte Folded Reload
	buffer_load_dword v14, off, s[0:3], s33 offset:416 ; 4-byte Folded Reload
	s_waitcnt vmcnt(1)
	v_add_co_u32_e32 v7, vcc, v7, v13
	s_waitcnt vmcnt(0)
	v_addc_co_u32_e32 v9, vcc, v9, v14, vcc
	v_add_co_u32_e32 v10, vcc, v10, v13
	v_addc_co_u32_e32 v11, vcc, v11, v14, vcc
	v_add_co_u32_e32 v0, vcc, v0, v13
	buffer_load_dword v13, off, s[0:3], s33 offset:384 ; 4-byte Folded Reload
	v_addc_co_u32_e32 v1, vcc, v1, v14, vcc
	s_waitcnt vmcnt(0)
	v_sub_u32_e32 v6, v6, v13
	buffer_load_dword v13, off, s[0:3], s33 offset:152 ; 4-byte Folded Reload
	s_waitcnt vmcnt(0)
	v_sub_u32_e32 v8, v8, v13
	s_branch .LBB12_5305
.LBB12_5443:                            ;   in Loop: Header=BB12_2997 Depth=2
	s_or_b64 exec, exec, s[94:95]
	s_and_b64 s[94:95], s[30:31], exec
.LBB12_5444:                            ;   in Loop: Header=BB12_2997 Depth=2
	s_or_b64 exec, exec, s[92:93]
	s_and_saveexec_b64 s[40:41], s[94:95]
	s_cbranch_execz .LBB12_5510
; %bb.5445:                             ;   in Loop: Header=BB12_2997 Depth=2
	s_trap 2
	buffer_load_dword v11, off, s[0:3], s33 offset:96
	buffer_load_dword v9, off, s[0:3], s33 offset:100
	;; [unrolled: 1-line block ×4, first 2 shown]
	ds_read_b32 v10, v0
	s_waitcnt lgkmcnt(0)
	v_lshlrev_b32_e32 v15, 16, v10
	s_waitcnt vmcnt(3)
	v_lshlrev_b32_e32 v10, 16, v11
	v_mul_f32_e32 v12, v15, v10
	v_and_b32_e32 v10, 0x7f800000, v12
	v_cmp_ne_u32_e32 vcc, s97, v10
                                        ; implicit-def: $vgpr10
	s_and_saveexec_b64 s[92:93], vcc
	s_xor_b64 s[92:93], exec, s[92:93]
; %bb.5446:                             ;   in Loop: Header=BB12_2997 Depth=2
	v_bfe_u32 v10, v12, 16, 1
	v_add3_u32 v10, v12, v10, s46
                                        ; implicit-def: $vgpr12
; %bb.5447:                             ;   in Loop: Header=BB12_2997 Depth=2
	s_andn2_saveexec_b64 s[92:93], s[92:93]
	s_cbranch_execz .LBB12_5449
; %bb.5448:                             ;   in Loop: Header=BB12_2997 Depth=2
	buffer_load_dword v13, off, s[0:3], s33 offset:128 ; 4-byte Folded Reload
	buffer_load_dword v14, off, s[0:3], s33 offset:132 ; 4-byte Folded Reload
	v_or_b32_e32 v10, 0x10000, v12
	s_waitcnt vmcnt(1)
	v_cmp_eq_u32_sdwa vcc, v12, v13 src0_sel:WORD_0 src1_sel:DWORD
	v_cndmask_b32_e32 v10, v10, v12, vcc
.LBB12_5449:                            ;   in Loop: Header=BB12_2997 Depth=2
	s_or_b64 exec, exec, s[92:93]
	v_and_b32_e32 v11, 0xffff0000, v11
	v_mul_f32_e32 v11, v15, v11
	v_and_b32_e32 v12, 0x7f800000, v11
	v_cmp_ne_u32_e32 vcc, s97, v12
                                        ; implicit-def: $vgpr14
	s_and_saveexec_b64 s[92:93], vcc
	s_xor_b64 s[92:93], exec, s[92:93]
	s_cbranch_execz .LBB12_5451
; %bb.5450:                             ;   in Loop: Header=BB12_2997 Depth=2
	v_bfe_u32 v12, v11, 16, 1
	s_waitcnt vmcnt(0)
	v_add3_u32 v14, v11, v12, s46
                                        ; implicit-def: $vgpr11
.LBB12_5451:                            ;   in Loop: Header=BB12_2997 Depth=2
	s_andn2_saveexec_b64 s[92:93], s[92:93]
	s_cbranch_execz .LBB12_5453
; %bb.5452:                             ;   in Loop: Header=BB12_2997 Depth=2
	buffer_load_dword v13, off, s[0:3], s33 offset:128 ; 4-byte Folded Reload
	buffer_load_dword v14, off, s[0:3], s33 offset:132 ; 4-byte Folded Reload
	v_or_b32_e32 v12, 0x10000, v11
	s_waitcnt vmcnt(1)
	v_cmp_eq_u32_sdwa vcc, v11, v13 src0_sel:WORD_0 src1_sel:DWORD
	s_waitcnt vmcnt(0)
	v_cndmask_b32_e32 v14, v12, v11, vcc
.LBB12_5453:                            ;   in Loop: Header=BB12_2997 Depth=2
	s_or_b64 exec, exec, s[92:93]
	s_waitcnt vmcnt(2)
	v_lshlrev_b32_e32 v11, 16, v9
	v_mul_f32_e32 v11, v15, v11
	v_and_b32_e32 v12, 0x7f800000, v11
	v_cmp_ne_u32_e32 vcc, s97, v12
                                        ; implicit-def: $vgpr13
	s_and_saveexec_b64 s[92:93], vcc
	s_xor_b64 s[92:93], exec, s[92:93]
; %bb.5454:                             ;   in Loop: Header=BB12_2997 Depth=2
	v_bfe_u32 v12, v11, 16, 1
	v_add3_u32 v13, v11, v12, s46
                                        ; implicit-def: $vgpr11
; %bb.5455:                             ;   in Loop: Header=BB12_2997 Depth=2
	s_andn2_saveexec_b64 s[92:93], s[92:93]
	s_cbranch_execz .LBB12_5457
; %bb.5456:                             ;   in Loop: Header=BB12_2997 Depth=2
	buffer_load_dword v16, off, s[0:3], s33 offset:128 ; 4-byte Folded Reload
	buffer_load_dword v17, off, s[0:3], s33 offset:132 ; 4-byte Folded Reload
	v_or_b32_e32 v12, 0x10000, v11
	s_waitcnt vmcnt(1)
	v_cmp_eq_u32_sdwa vcc, v11, v16 src0_sel:WORD_0 src1_sel:DWORD
	v_cndmask_b32_e32 v13, v12, v11, vcc
.LBB12_5457:                            ;   in Loop: Header=BB12_2997 Depth=2
	s_or_b64 exec, exec, s[92:93]
	v_and_b32_e32 v9, 0xffff0000, v9
	v_mul_f32_e32 v9, v15, v9
	v_and_b32_e32 v11, 0x7f800000, v9
	v_cmp_ne_u32_e32 vcc, s97, v11
                                        ; implicit-def: $vgpr11
	s_and_saveexec_b64 s[92:93], vcc
	s_xor_b64 s[92:93], exec, s[92:93]
; %bb.5458:                             ;   in Loop: Header=BB12_2997 Depth=2
	v_bfe_u32 v11, v9, 16, 1
	v_add3_u32 v11, v9, v11, s46
                                        ; implicit-def: $vgpr9
; %bb.5459:                             ;   in Loop: Header=BB12_2997 Depth=2
	s_andn2_saveexec_b64 s[92:93], s[92:93]
	s_cbranch_execz .LBB12_5461
; %bb.5460:                             ;   in Loop: Header=BB12_2997 Depth=2
	buffer_load_dword v16, off, s[0:3], s33 offset:128 ; 4-byte Folded Reload
	buffer_load_dword v17, off, s[0:3], s33 offset:132 ; 4-byte Folded Reload
	v_or_b32_e32 v11, 0x10000, v9
	s_waitcnt vmcnt(1)
	v_cmp_eq_u32_sdwa vcc, v9, v16 src0_sel:WORD_0 src1_sel:DWORD
	v_cndmask_b32_e32 v11, v11, v9, vcc
.LBB12_5461:                            ;   in Loop: Header=BB12_2997 Depth=2
	s_or_b64 exec, exec, s[92:93]
	s_waitcnt vmcnt(1)
	v_lshlrev_b32_e32 v9, 16, v7
	v_mul_f32_e32 v9, v15, v9
	v_and_b32_e32 v12, 0x7f800000, v9
	v_cmp_ne_u32_e32 vcc, s97, v12
                                        ; implicit-def: $vgpr12
	s_and_saveexec_b64 s[92:93], vcc
	s_xor_b64 s[92:93], exec, s[92:93]
; %bb.5462:                             ;   in Loop: Header=BB12_2997 Depth=2
	v_bfe_u32 v12, v9, 16, 1
	v_add3_u32 v12, v9, v12, s46
                                        ; implicit-def: $vgpr9
; %bb.5463:                             ;   in Loop: Header=BB12_2997 Depth=2
	s_andn2_saveexec_b64 s[92:93], s[92:93]
	s_cbranch_execz .LBB12_5465
; %bb.5464:                             ;   in Loop: Header=BB12_2997 Depth=2
	buffer_load_dword v16, off, s[0:3], s33 offset:128 ; 4-byte Folded Reload
	buffer_load_dword v17, off, s[0:3], s33 offset:132 ; 4-byte Folded Reload
	v_or_b32_e32 v12, 0x10000, v9
	s_waitcnt vmcnt(1)
	v_cmp_eq_u32_sdwa vcc, v9, v16 src0_sel:WORD_0 src1_sel:DWORD
	v_cndmask_b32_e32 v12, v12, v9, vcc
.LBB12_5465:                            ;   in Loop: Header=BB12_2997 Depth=2
	s_or_b64 exec, exec, s[92:93]
	v_and_b32_e32 v7, 0xffff0000, v7
	v_mul_f32_e32 v9, v15, v7
	v_and_b32_e32 v7, 0x7f800000, v9
	v_cmp_ne_u32_e32 vcc, s97, v7
                                        ; implicit-def: $vgpr7
	s_and_saveexec_b64 s[92:93], vcc
	s_xor_b64 s[92:93], exec, s[92:93]
; %bb.5466:                             ;   in Loop: Header=BB12_2997 Depth=2
	v_bfe_u32 v7, v9, 16, 1
	v_add3_u32 v7, v9, v7, s46
                                        ; implicit-def: $vgpr9
; %bb.5467:                             ;   in Loop: Header=BB12_2997 Depth=2
	s_andn2_saveexec_b64 s[92:93], s[92:93]
	s_cbranch_execz .LBB12_5469
; %bb.5468:                             ;   in Loop: Header=BB12_2997 Depth=2
	buffer_load_dword v16, off, s[0:3], s33 offset:128 ; 4-byte Folded Reload
	buffer_load_dword v17, off, s[0:3], s33 offset:132 ; 4-byte Folded Reload
	v_or_b32_e32 v7, 0x10000, v9
	s_waitcnt vmcnt(1)
	v_cmp_eq_u32_sdwa vcc, v9, v16 src0_sel:WORD_0 src1_sel:DWORD
	v_cndmask_b32_e32 v7, v7, v9, vcc
.LBB12_5469:                            ;   in Loop: Header=BB12_2997 Depth=2
	s_or_b64 exec, exec, s[92:93]
	s_waitcnt vmcnt(0)
	v_lshlrev_b32_e32 v9, 16, v6
	v_mul_f32_e32 v16, v15, v9
	v_and_b32_e32 v9, 0x7f800000, v16
	v_cmp_ne_u32_e32 vcc, s97, v9
                                        ; implicit-def: $vgpr9
	s_and_saveexec_b64 s[92:93], vcc
	s_xor_b64 s[92:93], exec, s[92:93]
; %bb.5470:                             ;   in Loop: Header=BB12_2997 Depth=2
	v_bfe_u32 v9, v16, 16, 1
	v_add3_u32 v9, v16, v9, s46
                                        ; implicit-def: $vgpr16
; %bb.5471:                             ;   in Loop: Header=BB12_2997 Depth=2
	s_andn2_saveexec_b64 s[92:93], s[92:93]
	s_cbranch_execz .LBB12_5473
; %bb.5472:                             ;   in Loop: Header=BB12_2997 Depth=2
	buffer_load_dword v17, off, s[0:3], s33 offset:128 ; 4-byte Folded Reload
	buffer_load_dword v18, off, s[0:3], s33 offset:132 ; 4-byte Folded Reload
	v_or_b32_e32 v9, 0x10000, v16
	s_waitcnt vmcnt(1)
	v_cmp_eq_u32_sdwa vcc, v16, v17 src0_sel:WORD_0 src1_sel:DWORD
	v_cndmask_b32_e32 v9, v9, v16, vcc
.LBB12_5473:                            ;   in Loop: Header=BB12_2997 Depth=2
	s_or_b64 exec, exec, s[92:93]
	v_and_b32_e32 v6, 0xffff0000, v6
	v_mul_f32_e32 v15, v15, v6
	v_and_b32_e32 v6, 0x7f800000, v15
	v_cmp_ne_u32_e32 vcc, s97, v6
                                        ; implicit-def: $vgpr6
	s_and_saveexec_b64 s[92:93], vcc
	s_xor_b64 s[92:93], exec, s[92:93]
; %bb.5474:                             ;   in Loop: Header=BB12_2997 Depth=2
	v_bfe_u32 v6, v15, 16, 1
	v_add3_u32 v6, v15, v6, s46
                                        ; implicit-def: $vgpr15
; %bb.5475:                             ;   in Loop: Header=BB12_2997 Depth=2
	s_andn2_saveexec_b64 s[92:93], s[92:93]
	s_cbranch_execz .LBB12_5477
; %bb.5476:                             ;   in Loop: Header=BB12_2997 Depth=2
	buffer_load_dword v16, off, s[0:3], s33 offset:128 ; 4-byte Folded Reload
	buffer_load_dword v17, off, s[0:3], s33 offset:132 ; 4-byte Folded Reload
	v_or_b32_e32 v6, 0x10000, v15
	s_waitcnt vmcnt(1)
	v_cmp_eq_u32_sdwa vcc, v15, v16 src0_sel:WORD_0 src1_sel:DWORD
	v_cndmask_b32_e32 v6, v6, v15, vcc
.LBB12_5477:                            ;   in Loop: Header=BB12_2997 Depth=2
	s_or_b64 exec, exec, s[92:93]
	buffer_load_dword v18, off, s[0:3], s33 offset:112
	buffer_load_dword v17, off, s[0:3], s33 offset:116
	;; [unrolled: 1-line block ×4, first 2 shown]
	v_and_b32_e32 v10, 0xffff0000, v10
	s_waitcnt vmcnt(3)
	v_lshlrev_b32_e32 v19, 16, v18
	v_add_f32_e32 v19, v10, v19
	v_and_b32_e32 v10, 0x7f800000, v19
	v_cmp_ne_u32_e32 vcc, s97, v10
                                        ; implicit-def: $vgpr10
	s_and_saveexec_b64 s[92:93], vcc
	s_xor_b64 s[92:93], exec, s[92:93]
; %bb.5478:                             ;   in Loop: Header=BB12_2997 Depth=2
	v_bfe_u32 v10, v19, 16, 1
	v_add3_u32 v10, v19, v10, s46
                                        ; implicit-def: $vgpr19
; %bb.5479:                             ;   in Loop: Header=BB12_2997 Depth=2
	s_andn2_saveexec_b64 s[92:93], s[92:93]
	s_cbranch_execz .LBB12_5481
; %bb.5480:                             ;   in Loop: Header=BB12_2997 Depth=2
	buffer_load_dword v20, off, s[0:3], s33 offset:128 ; 4-byte Folded Reload
	buffer_load_dword v21, off, s[0:3], s33 offset:132 ; 4-byte Folded Reload
	v_or_b32_e32 v10, 0x10000, v19
	s_waitcnt vmcnt(1)
	v_cmp_eq_u32_sdwa vcc, v19, v20 src0_sel:WORD_0 src1_sel:DWORD
	v_cndmask_b32_e32 v10, v10, v19, vcc
.LBB12_5481:                            ;   in Loop: Header=BB12_2997 Depth=2
	s_or_b64 exec, exec, s[92:93]
	v_and_b32_e32 v14, 0xffff0000, v14
	v_and_b32_e32 v18, 0xffff0000, v18
	v_add_f32_e32 v18, v14, v18
	v_and_b32_e32 v14, 0x7f800000, v18
	v_cmp_ne_u32_e32 vcc, s97, v14
                                        ; implicit-def: $vgpr14
	s_and_saveexec_b64 s[92:93], vcc
	s_xor_b64 s[92:93], exec, s[92:93]
; %bb.5482:                             ;   in Loop: Header=BB12_2997 Depth=2
	v_bfe_u32 v14, v18, 16, 1
	v_add3_u32 v14, v18, v14, s46
                                        ; implicit-def: $vgpr18
; %bb.5483:                             ;   in Loop: Header=BB12_2997 Depth=2
	s_andn2_saveexec_b64 s[92:93], s[92:93]
	s_cbranch_execz .LBB12_5485
; %bb.5484:                             ;   in Loop: Header=BB12_2997 Depth=2
	buffer_load_dword v19, off, s[0:3], s33 offset:128 ; 4-byte Folded Reload
	buffer_load_dword v20, off, s[0:3], s33 offset:132 ; 4-byte Folded Reload
	v_or_b32_e32 v14, 0x10000, v18
	s_waitcnt vmcnt(1)
	v_cmp_eq_u32_sdwa vcc, v18, v19 src0_sel:WORD_0 src1_sel:DWORD
	v_cndmask_b32_e32 v14, v14, v18, vcc
.LBB12_5485:                            ;   in Loop: Header=BB12_2997 Depth=2
	s_or_b64 exec, exec, s[92:93]
	v_and_b32_e32 v13, 0xffff0000, v13
	s_waitcnt vmcnt(2)
	v_lshlrev_b32_e32 v18, 16, v17
	v_add_f32_e32 v18, v13, v18
	v_and_b32_e32 v13, 0x7f800000, v18
	v_cmp_ne_u32_e32 vcc, s97, v13
                                        ; implicit-def: $vgpr13
	s_and_saveexec_b64 s[92:93], vcc
	s_xor_b64 s[92:93], exec, s[92:93]
; %bb.5486:                             ;   in Loop: Header=BB12_2997 Depth=2
	v_bfe_u32 v13, v18, 16, 1
	v_add3_u32 v13, v18, v13, s46
                                        ; implicit-def: $vgpr18
; %bb.5487:                             ;   in Loop: Header=BB12_2997 Depth=2
	s_andn2_saveexec_b64 s[92:93], s[92:93]
	s_cbranch_execz .LBB12_5489
; %bb.5488:                             ;   in Loop: Header=BB12_2997 Depth=2
	buffer_load_dword v19, off, s[0:3], s33 offset:128 ; 4-byte Folded Reload
	buffer_load_dword v20, off, s[0:3], s33 offset:132 ; 4-byte Folded Reload
	v_or_b32_e32 v13, 0x10000, v18
	s_waitcnt vmcnt(1)
	v_cmp_eq_u32_sdwa vcc, v18, v19 src0_sel:WORD_0 src1_sel:DWORD
	v_cndmask_b32_e32 v13, v13, v18, vcc
.LBB12_5489:                            ;   in Loop: Header=BB12_2997 Depth=2
	s_or_b64 exec, exec, s[92:93]
	v_and_b32_e32 v17, 0xffff0000, v17
	v_and_b32_e32 v11, 0xffff0000, v11
	v_add_f32_e32 v17, v11, v17
	v_and_b32_e32 v11, 0x7f800000, v17
	v_cmp_ne_u32_e32 vcc, s97, v11
                                        ; implicit-def: $vgpr11
	s_and_saveexec_b64 s[92:93], vcc
	s_xor_b64 s[92:93], exec, s[92:93]
; %bb.5490:                             ;   in Loop: Header=BB12_2997 Depth=2
	v_bfe_u32 v11, v17, 16, 1
	v_add3_u32 v11, v17, v11, s46
                                        ; implicit-def: $vgpr17
; %bb.5491:                             ;   in Loop: Header=BB12_2997 Depth=2
	s_andn2_saveexec_b64 s[92:93], s[92:93]
	s_cbranch_execz .LBB12_5493
; %bb.5492:                             ;   in Loop: Header=BB12_2997 Depth=2
	buffer_load_dword v18, off, s[0:3], s33 offset:128 ; 4-byte Folded Reload
	buffer_load_dword v19, off, s[0:3], s33 offset:132 ; 4-byte Folded Reload
	v_or_b32_e32 v11, 0x10000, v17
	s_waitcnt vmcnt(1)
	v_cmp_eq_u32_sdwa vcc, v17, v18 src0_sel:WORD_0 src1_sel:DWORD
	v_cndmask_b32_e32 v11, v11, v17, vcc
.LBB12_5493:                            ;   in Loop: Header=BB12_2997 Depth=2
	s_or_b64 exec, exec, s[92:93]
	v_and_b32_e32 v12, 0xffff0000, v12
	s_waitcnt vmcnt(1)
	v_lshlrev_b32_e32 v17, 16, v16
	v_add_f32_e32 v17, v12, v17
	v_and_b32_e32 v12, 0x7f800000, v17
	v_cmp_ne_u32_e32 vcc, s97, v12
                                        ; implicit-def: $vgpr12
	s_and_saveexec_b64 s[92:93], vcc
	s_xor_b64 s[92:93], exec, s[92:93]
; %bb.5494:                             ;   in Loop: Header=BB12_2997 Depth=2
	v_bfe_u32 v12, v17, 16, 1
	v_add3_u32 v12, v17, v12, s46
                                        ; implicit-def: $vgpr17
; %bb.5495:                             ;   in Loop: Header=BB12_2997 Depth=2
	s_andn2_saveexec_b64 s[92:93], s[92:93]
	s_cbranch_execz .LBB12_5497
; %bb.5496:                             ;   in Loop: Header=BB12_2997 Depth=2
	buffer_load_dword v18, off, s[0:3], s33 offset:128 ; 4-byte Folded Reload
	buffer_load_dword v19, off, s[0:3], s33 offset:132 ; 4-byte Folded Reload
	v_or_b32_e32 v12, 0x10000, v17
	s_waitcnt vmcnt(1)
	v_cmp_eq_u32_sdwa vcc, v17, v18 src0_sel:WORD_0 src1_sel:DWORD
	v_cndmask_b32_e32 v12, v12, v17, vcc
.LBB12_5497:                            ;   in Loop: Header=BB12_2997 Depth=2
	s_or_b64 exec, exec, s[92:93]
	v_and_b32_e32 v16, 0xffff0000, v16
	v_and_b32_e32 v7, 0xffff0000, v7
	v_add_f32_e32 v16, v7, v16
	v_and_b32_e32 v7, 0x7f800000, v16
	v_cmp_ne_u32_e32 vcc, s97, v7
                                        ; implicit-def: $vgpr7
	s_and_saveexec_b64 s[92:93], vcc
	s_xor_b64 s[92:93], exec, s[92:93]
; %bb.5498:                             ;   in Loop: Header=BB12_2997 Depth=2
	v_bfe_u32 v7, v16, 16, 1
	v_add3_u32 v7, v16, v7, s46
                                        ; implicit-def: $vgpr16
; %bb.5499:                             ;   in Loop: Header=BB12_2997 Depth=2
	s_andn2_saveexec_b64 s[92:93], s[92:93]
	s_cbranch_execz .LBB12_5501
; %bb.5500:                             ;   in Loop: Header=BB12_2997 Depth=2
	buffer_load_dword v17, off, s[0:3], s33 offset:128 ; 4-byte Folded Reload
	buffer_load_dword v18, off, s[0:3], s33 offset:132 ; 4-byte Folded Reload
	v_or_b32_e32 v7, 0x10000, v16
	s_waitcnt vmcnt(1)
	v_cmp_eq_u32_sdwa vcc, v16, v17 src0_sel:WORD_0 src1_sel:DWORD
	v_cndmask_b32_e32 v7, v7, v16, vcc
.LBB12_5501:                            ;   in Loop: Header=BB12_2997 Depth=2
	s_or_b64 exec, exec, s[92:93]
	v_and_b32_e32 v9, 0xffff0000, v9
	s_waitcnt vmcnt(0)
	v_lshlrev_b32_e32 v16, 16, v15
	v_add_f32_e32 v16, v9, v16
	v_and_b32_e32 v9, 0x7f800000, v16
	v_cmp_ne_u32_e32 vcc, s97, v9
                                        ; implicit-def: $vgpr9
	s_and_saveexec_b64 s[92:93], vcc
	s_xor_b64 s[92:93], exec, s[92:93]
; %bb.5502:                             ;   in Loop: Header=BB12_2997 Depth=2
	v_bfe_u32 v9, v16, 16, 1
	v_add3_u32 v9, v16, v9, s46
                                        ; implicit-def: $vgpr16
; %bb.5503:                             ;   in Loop: Header=BB12_2997 Depth=2
	s_andn2_saveexec_b64 s[92:93], s[92:93]
	s_cbranch_execz .LBB12_5505
; %bb.5504:                             ;   in Loop: Header=BB12_2997 Depth=2
	buffer_load_dword v17, off, s[0:3], s33 offset:128 ; 4-byte Folded Reload
	buffer_load_dword v18, off, s[0:3], s33 offset:132 ; 4-byte Folded Reload
	v_or_b32_e32 v9, 0x10000, v16
	s_waitcnt vmcnt(1)
	v_cmp_eq_u32_sdwa vcc, v16, v17 src0_sel:WORD_0 src1_sel:DWORD
	v_cndmask_b32_e32 v9, v9, v16, vcc
.LBB12_5505:                            ;   in Loop: Header=BB12_2997 Depth=2
	s_or_b64 exec, exec, s[92:93]
	v_and_b32_e32 v15, 0xffff0000, v15
	v_and_b32_e32 v6, 0xffff0000, v6
	v_add_f32_e32 v15, v6, v15
	v_and_b32_e32 v6, 0x7f800000, v15
	v_cmp_ne_u32_e32 vcc, s97, v6
                                        ; implicit-def: $vgpr6
	s_and_saveexec_b64 s[92:93], vcc
	s_xor_b64 s[92:93], exec, s[92:93]
; %bb.5506:                             ;   in Loop: Header=BB12_2997 Depth=2
	v_bfe_u32 v6, v15, 16, 1
	v_add3_u32 v6, v15, v6, s46
                                        ; implicit-def: $vgpr15
; %bb.5507:                             ;   in Loop: Header=BB12_2997 Depth=2
	s_andn2_saveexec_b64 s[92:93], s[92:93]
	s_cbranch_execz .LBB12_5509
; %bb.5508:                             ;   in Loop: Header=BB12_2997 Depth=2
	buffer_load_dword v16, off, s[0:3], s33 offset:128 ; 4-byte Folded Reload
	buffer_load_dword v17, off, s[0:3], s33 offset:132 ; 4-byte Folded Reload
	v_or_b32_e32 v6, 0x10000, v15
	s_waitcnt vmcnt(1)
	v_cmp_eq_u32_sdwa vcc, v15, v16 src0_sel:WORD_0 src1_sel:DWORD
	v_cndmask_b32_e32 v6, v6, v15, vcc
.LBB12_5509:                            ;   in Loop: Header=BB12_2997 Depth=2
	s_or_b64 exec, exec, s[92:93]
	v_lshrrev_b32_e32 v12, 16, v12
	v_lshrrev_b32_e32 v13, 16, v13
	;; [unrolled: 1-line block ×3, first 2 shown]
	v_and_or_b32 v12, v7, s47, v12
	v_lshrrev_b32_e32 v7, 16, v9
	v_and_or_b32 v11, v11, s47, v13
	v_and_or_b32 v10, v14, s47, v10
	;; [unrolled: 1-line block ×3, first 2 shown]
	global_store_dwordx4 v[0:1], v[10:13], off glc slc
.LBB12_5510:                            ;   in Loop: Header=BB12_2997 Depth=2
	s_or_b64 exec, exec, s[40:41]
	buffer_load_dword v0, off, s[0:3], s33 offset:612 ; 4-byte Folded Reload
	s_mov_b64 s[92:93], s[42:43]
                                        ; implicit-def: $vgpr6
                                        ; implicit-def: $vgpr7
	s_waitcnt vmcnt(0)
	v_and_b32_e32 v1, 14, v0
	v_cndmask_b32_e64 v0, v5, v1, s[28:29]
	v_cmp_ne_u32_e32 vcc, 0, v0
	buffer_store_dword v0, off, s[0:3], s33 offset:612 ; 4-byte Folded Spill
                                        ; implicit-def: $vgpr0
	s_and_saveexec_b64 s[40:41], vcc
	s_cbranch_execz .LBB12_5512
; %bb.5511:                             ;   in Loop: Header=BB12_2997 Depth=2
	v_sub_u32_e32 v0, v5, v1
	v_cndmask_b32_e64 v0, 0, v0, s[28:29]
	v_add3_u32 v6, v4, v2, v0
	buffer_load_dword v0, off, s[0:3], s33 offset:152 ; 4-byte Folded Reload
	v_cmp_lt_i32_e32 vcc, 0, v8
	s_or_b64 s[92:93], s[42:43], exec
	s_waitcnt vmcnt(0)
	v_cndmask_b32_e32 v0, 0, v0, vcc
	v_sub_u32_e32 v0, v0, v8
	v_lshl_add_u32 v0, v0, 6, v3
	v_ashrrev_i32_e32 v1, 31, v0
	v_lshrrev_b32_e32 v1, 26, v1
	v_add_u32_e32 v1, v0, v1
	v_and_b32_e32 v1, 0xffffffc0, v1
	v_sub_u32_e32 v7, v0, v1
.LBB12_5512:                            ;   in Loop: Header=BB12_2997 Depth=2
	s_or_b64 exec, exec, s[40:41]
	s_andn2_b64 s[28:29], s[42:43], exec
	s_and_b64 s[40:41], s[92:93], exec
	s_or_b64 s[42:43], s[28:29], s[40:41]
.LBB12_5513:                            ;   in Loop: Header=BB12_2997 Depth=2
	s_or_b64 exec, exec, s[90:91]
	s_and_saveexec_b64 s[40:41], s[42:43]
	s_cbranch_execz .LBB12_5945
.LBB12_5514:                            ;   in Loop: Header=BB12_2997 Depth=2
	s_waitcnt vmcnt(0)
	v_ashrrev_i32_e32 v1, 31, v0
	v_lshrrev_b32_e32 v1, 26, v1
	v_add_u32_e32 v0, v0, v1
	v_ashrrev_i32_e32 v0, 6, v0
	v_lshlrev_b32_e32 v1, 11, v0
	v_lshlrev_b32_e32 v2, 1, v7
	v_add3_u32 v35, v6, v2, v1
	buffer_load_dword v2, off, s[0:3], s33 offset:612 ; 4-byte Folded Reload
	v_ashrrev_i32_e32 v36, 31, v35
	buffer_store_dword v7, off, s[0:3], s33 offset:452 ; 4-byte Folded Spill
	buffer_store_dword v6, off, s[0:3], s33 offset:448 ; 4-byte Folded Spill
	v_mov_b32_e32 v34, 0
	s_mov_b64 s[42:43], 0
	v_mov_b32_e32 v33, 0
	v_mov_b32_e32 v32, 0
	v_mov_b32_e32 v31, 0
	v_mov_b32_e32 v30, 0
	v_mov_b32_e32 v29, 0
	v_mov_b32_e32 v28, 0
	v_mov_b32_e32 v25, 0
	v_mov_b32_e32 v24, 0
	v_mov_b32_e32 v23, 0
	v_mov_b32_e32 v22, 0
	v_mov_b32_e32 v21, 0
	v_mov_b32_e32 v20, 0
	v_mov_b32_e32 v27, 0
	v_mov_b32_e32 v26, 0
	v_mov_b32_e32 v19, 0
	v_mov_b32_e32 v18, 0
	v_mov_b32_e32 v17, 0
	v_mov_b32_e32 v16, 0
	v_mov_b32_e32 v14, 0
	v_mov_b32_e32 v13, 0
	v_mov_b32_e32 v12, 0
	v_mov_b32_e32 v11, 0
	v_mov_b32_e32 v10, 0
	v_mov_b32_e32 v9, 0
	v_mov_b32_e32 v8, 0
	v_mov_b32_e32 v7, 0
	v_mov_b32_e32 v6, 0
	v_mov_b32_e32 v5, 0
	v_mov_b32_e32 v4, 0
	v_mov_b32_e32 v3, 0
	s_waitcnt vmcnt(0)
	v_ashrrev_i32_e32 v1, 31, v2
	v_lshrrev_b32_e32 v1, 21, v1
	v_add_u32_e32 v1, v2, v1
	v_ashrrev_i32_e32 v1, 11, v1
	buffer_store_dword v1, off, s[0:3], s33 offset:456 ; 4-byte Folded Spill
	v_sub_u32_e32 v15, v1, v0
	buffer_load_dword v0, off, s[0:3], s33 offset:620 ; 4-byte Folded Reload
	buffer_load_dword v1, off, s[0:3], s33 offset:624 ; 4-byte Folded Reload
	v_mov_b32_e32 v2, 0
	s_waitcnt vmcnt(0)
	v_add_co_u32_e32 v0, vcc, v0, v35
	v_addc_co_u32_e32 v1, vcc, v1, v36, vcc
	v_cmp_lt_i32_e32 vcc, 0, v15
	s_and_saveexec_b64 s[28:29], vcc
	s_cbranch_execz .LBB12_5778
; %bb.5515:                             ;   in Loop: Header=BB12_2997 Depth=2
	s_trap 2
	ds_read_b64 v[4:5], v0
	buffer_load_dword v2, off, s[0:3], s33 offset:636 ; 4-byte Folded Reload
	buffer_load_dword v3, off, s[0:3], s33 offset:640 ; 4-byte Folded Reload
                                        ; implicit-def: $vgpr6
                                        ; kill: killed $vgpr6
                                        ; implicit-def: $vgpr6
                                        ; kill: killed $vgpr6
	;; [unrolled: 2-line block ×13, first 2 shown]
                                        ; implicit-def: $vgpr6
	s_mov_b64 s[92:93], 0
	s_mov_b64 s[90:91], 0
                                        ; kill: killed $vgpr6
                                        ; implicit-def: $vgpr6
                                        ; implicit-def: $sgpr42_sgpr43
                                        ; implicit-def: $vgpr14
                                        ; implicit-def: $vgpr12
                                        ; implicit-def: $vgpr10
                                        ; implicit-def: $vgpr8
                                        ; implicit-def: $vgpr61
                                        ; implicit-def: $vgpr58
                                        ; implicit-def: $vgpr56
                                        ; implicit-def: $vgpr46
                                        ; implicit-def: $vgpr44
                                        ; implicit-def: $vgpr42
                                        ; implicit-def: $vgpr40
                                        ; implicit-def: $vgpr54
                                        ; implicit-def: $vgpr52
                                        ; implicit-def: $vgpr50
                                        ; implicit-def: $vgpr48
                                        ; implicit-def: $vgpr39
                                        ; kill: killed $vgpr6
                                        ; implicit-def: $vgpr6
                                        ; kill: killed $vgpr6
	s_waitcnt vmcnt(0)
	v_add_co_u32_e32 v2, vcc, v35, v2
	v_addc_co_u32_e32 v3, vcc, v36, v3, vcc
	s_waitcnt lgkmcnt(0)
	v_add_co_u32_e32 v4, vcc, v4, v35
	v_addc_co_u32_e32 v5, vcc, v5, v36, vcc
	s_branch .LBB12_5517
.LBB12_5516:                            ;   in Loop: Header=BB12_5517 Depth=3
	s_or_b64 exec, exec, s[94:95]
	flat_store_short_d16_hi v[0:1], v7 glc slc
	flat_store_short_d16_hi v[0:1], v25 offset:128 glc slc
	flat_store_short_d16_hi v[0:1], v24 offset:256 glc slc
	;; [unrolled: 1-line block ×15, first 2 shown]
	buffer_load_dword v16, off, s[0:3], s33 offset:272 ; 4-byte Folded Reload
	buffer_load_dword v17, off, s[0:3], s33 offset:276 ; 4-byte Folded Reload
	;; [unrolled: 1-line block ×3, first 2 shown]
	s_waitcnt vmcnt(0)
	v_add_co_u32_e32 v6, vcc, v2, v16
	v_addc_co_u32_e32 v7, vcc, v3, v17, vcc
	v_add_co_u32_e32 v9, vcc, v4, v16
	buffer_load_dword v16, off, s[0:3], s33 offset:232 ; 4-byte Folded Reload
	v_cndmask_b32_e64 v2, v2, v6, s[92:93]
	buffer_load_dword v6, off, s[0:3], s33 offset:152 ; 4-byte Folded Reload
	v_addc_co_u32_e32 v11, vcc, v5, v17, vcc
	v_mov_b32_e32 v17, 0x800
	v_cndmask_b32_e64 v13, 0, v13, s[92:93]
	v_cndmask_b32_e64 v3, v3, v7, s[92:93]
	;; [unrolled: 1-line block ×4, first 2 shown]
	s_waitcnt vmcnt(0)
	v_cndmask_b32_e64 v16, v17, v16, s[92:93]
	v_add_co_u32_e32 v0, vcc, v0, v16
	v_cndmask_b32_e64 v6, 0, v6, s[92:93]
	v_addc_co_u32_e32 v1, vcc, v1, v13, vcc
	v_sub_u32_e32 v15, v15, v6
	v_cmp_gt_i32_e32 vcc, 1, v15
	s_or_b64 s[90:91], vcc, s[90:91]
	s_andn2_b64 s[42:43], s[42:43], exec
	s_and_b64 s[94:95], s[92:93], exec
	s_or_b64 s[42:43], s[42:43], s[94:95]
	s_andn2_b64 exec, exec, s[90:91]
	s_cbranch_execz .LBB12_5777
.LBB12_5517:                            ;   Parent Loop BB12_47 Depth=1
                                        ;     Parent Loop BB12_2997 Depth=2
                                        ; =>    This Inner Loop Header: Depth=3
	flat_load_ushort v19, v[2:3] glc slc
	flat_load_ushort v18, v[2:3] offset:128 glc slc
	flat_load_ushort v17, v[2:3] offset:256 glc slc
	;; [unrolled: 1-line block ×15, first 2 shown]
	flat_load_ushort v53, v[4:5] glc slc
	flat_load_ushort v51, v[4:5] offset:128 glc slc
	flat_load_ushort v49, v[4:5] offset:256 glc slc
	;; [unrolled: 1-line block ×12, first 2 shown]
	s_waitcnt vmcnt(0) lgkmcnt(0)
	buffer_store_dword v20, off, s[0:3], s33 offset:216 ; 4-byte Folded Spill
	flat_load_ushort v20, v[4:5] offset:1664 glc slc
	s_waitcnt vmcnt(0) lgkmcnt(0)
	buffer_store_dword v20, off, s[0:3], s33 offset:200 ; 4-byte Folded Spill
	flat_load_ushort v20, v[4:5] offset:1792 glc slc
	;; [unrolled: 3-line block ×3, first 2 shown]
	s_waitcnt vmcnt(0) lgkmcnt(0)
	buffer_store_dword v20, off, s[0:3], s33 offset:168 ; 4-byte Folded Spill
	s_and_saveexec_b64 s[94:95], s[92:93]
	s_cbranch_execz .LBB12_5647
; %bb.5518:                             ;   in Loop: Header=BB12_5517 Depth=3
	s_trap 2
	ds_read_b32 v20, v0
	v_lshlrev_b32_e32 v14, 16, v14
	s_waitcnt lgkmcnt(0)
	v_lshlrev_b32_e32 v25, 16, v20
	v_mul_f32_e32 v20, v14, v25
	v_and_b32_e32 v14, 0x7f800000, v20
	v_cmp_ne_u32_e32 vcc, s97, v14
                                        ; implicit-def: $vgpr14
	s_and_saveexec_b64 s[92:93], vcc
	s_xor_b64 s[92:93], exec, s[92:93]
; %bb.5519:                             ;   in Loop: Header=BB12_5517 Depth=3
	v_bfe_u32 v14, v20, 16, 1
	v_add3_u32 v14, v20, v14, s46
                                        ; implicit-def: $vgpr20
; %bb.5520:                             ;   in Loop: Header=BB12_5517 Depth=3
	s_andn2_saveexec_b64 s[92:93], s[92:93]
	s_cbranch_execz .LBB12_5522
; %bb.5521:                             ;   in Loop: Header=BB12_5517 Depth=3
	buffer_load_dword v21, off, s[0:3], s33 offset:128 ; 4-byte Folded Reload
	buffer_load_dword v22, off, s[0:3], s33 offset:132 ; 4-byte Folded Reload
	v_or_b32_e32 v14, 0x10000, v20
	s_waitcnt vmcnt(1)
	v_cmp_eq_u32_sdwa vcc, v20, v21 src0_sel:WORD_0 src1_sel:DWORD
	v_cndmask_b32_e32 v14, v14, v20, vcc
.LBB12_5522:                            ;   in Loop: Header=BB12_5517 Depth=3
	s_or_b64 exec, exec, s[92:93]
	v_lshlrev_b32_e32 v12, 16, v12
	v_mul_f32_e32 v12, v12, v25
	v_and_b32_e32 v20, 0x7f800000, v12
	v_cmp_ne_u32_e32 vcc, s97, v20
                                        ; implicit-def: $vgpr24
	s_and_saveexec_b64 s[92:93], vcc
	s_xor_b64 s[92:93], exec, s[92:93]
; %bb.5523:                             ;   in Loop: Header=BB12_5517 Depth=3
	v_bfe_u32 v20, v12, 16, 1
	v_add3_u32 v24, v12, v20, s46
                                        ; implicit-def: $vgpr12
; %bb.5524:                             ;   in Loop: Header=BB12_5517 Depth=3
	s_andn2_saveexec_b64 s[92:93], s[92:93]
	s_cbranch_execz .LBB12_5526
; %bb.5525:                             ;   in Loop: Header=BB12_5517 Depth=3
	buffer_load_dword v21, off, s[0:3], s33 offset:128 ; 4-byte Folded Reload
	buffer_load_dword v22, off, s[0:3], s33 offset:132 ; 4-byte Folded Reload
	v_or_b32_e32 v20, 0x10000, v12
	s_waitcnt vmcnt(1)
	v_cmp_eq_u32_sdwa vcc, v12, v21 src0_sel:WORD_0 src1_sel:DWORD
	v_cndmask_b32_e32 v24, v20, v12, vcc
.LBB12_5526:                            ;   in Loop: Header=BB12_5517 Depth=3
	s_or_b64 exec, exec, s[92:93]
	v_lshlrev_b32_e32 v10, 16, v10
	v_mul_f32_e32 v10, v10, v25
	v_and_b32_e32 v12, 0x7f800000, v10
	v_cmp_ne_u32_e32 vcc, s97, v12
                                        ; implicit-def: $vgpr23
	s_and_saveexec_b64 s[92:93], vcc
	s_xor_b64 s[92:93], exec, s[92:93]
; %bb.5527:                             ;   in Loop: Header=BB12_5517 Depth=3
	v_bfe_u32 v12, v10, 16, 1
	v_add3_u32 v23, v10, v12, s46
                                        ; implicit-def: $vgpr10
; %bb.5528:                             ;   in Loop: Header=BB12_5517 Depth=3
	s_andn2_saveexec_b64 s[92:93], s[92:93]
	s_cbranch_execz .LBB12_5530
; %bb.5529:                             ;   in Loop: Header=BB12_5517 Depth=3
	buffer_load_dword v20, off, s[0:3], s33 offset:128 ; 4-byte Folded Reload
	buffer_load_dword v21, off, s[0:3], s33 offset:132 ; 4-byte Folded Reload
	v_or_b32_e32 v12, 0x10000, v10
	s_waitcnt vmcnt(1)
	v_cmp_eq_u32_sdwa vcc, v10, v20 src0_sel:WORD_0 src1_sel:DWORD
	v_cndmask_b32_e32 v23, v12, v10, vcc
.LBB12_5530:                            ;   in Loop: Header=BB12_5517 Depth=3
	s_or_b64 exec, exec, s[92:93]
	v_lshlrev_b32_e32 v8, 16, v8
	v_mul_f32_e32 v8, v8, v25
	v_and_b32_e32 v10, 0x7f800000, v8
	v_cmp_ne_u32_e32 vcc, s97, v10
                                        ; implicit-def: $vgpr22
	s_and_saveexec_b64 s[92:93], vcc
	s_xor_b64 s[92:93], exec, s[92:93]
	s_cbranch_execz .LBB12_5532
; %bb.5531:                             ;   in Loop: Header=BB12_5517 Depth=3
	v_bfe_u32 v10, v8, 16, 1
	s_waitcnt vmcnt(0)
	v_add3_u32 v22, v8, v10, s46
                                        ; implicit-def: $vgpr8
.LBB12_5532:                            ;   in Loop: Header=BB12_5517 Depth=3
	s_andn2_saveexec_b64 s[92:93], s[92:93]
	s_cbranch_execz .LBB12_5534
; %bb.5533:                             ;   in Loop: Header=BB12_5517 Depth=3
	buffer_load_dword v20, off, s[0:3], s33 offset:128 ; 4-byte Folded Reload
	buffer_load_dword v21, off, s[0:3], s33 offset:132 ; 4-byte Folded Reload
	v_or_b32_e32 v10, 0x10000, v8
	s_waitcnt vmcnt(1)
	v_cmp_eq_u32_sdwa vcc, v8, v20 src0_sel:WORD_0 src1_sel:DWORD
	v_cndmask_b32_e32 v22, v10, v8, vcc
.LBB12_5534:                            ;   in Loop: Header=BB12_5517 Depth=3
	s_or_b64 exec, exec, s[92:93]
	v_lshlrev_b32_e32 v8, 16, v61
	v_mul_f32_e32 v8, v8, v25
	v_and_b32_e32 v10, 0x7f800000, v8
	v_cmp_ne_u32_e32 vcc, s97, v10
                                        ; implicit-def: $vgpr21
	s_and_saveexec_b64 s[92:93], vcc
	s_xor_b64 s[92:93], exec, s[92:93]
	s_cbranch_execz .LBB12_5536
; %bb.5535:                             ;   in Loop: Header=BB12_5517 Depth=3
	v_bfe_u32 v10, v8, 16, 1
	s_waitcnt vmcnt(0)
	v_add3_u32 v21, v8, v10, s46
                                        ; implicit-def: $vgpr8
.LBB12_5536:                            ;   in Loop: Header=BB12_5517 Depth=3
	s_andn2_saveexec_b64 s[92:93], s[92:93]
	s_cbranch_execz .LBB12_5538
; %bb.5537:                             ;   in Loop: Header=BB12_5517 Depth=3
	buffer_load_dword v20, off, s[0:3], s33 offset:128 ; 4-byte Folded Reload
	buffer_load_dword v21, off, s[0:3], s33 offset:132 ; 4-byte Folded Reload
	v_or_b32_e32 v10, 0x10000, v8
	s_waitcnt vmcnt(1)
	v_cmp_eq_u32_sdwa vcc, v8, v20 src0_sel:WORD_0 src1_sel:DWORD
	s_waitcnt vmcnt(0)
	v_cndmask_b32_e32 v21, v10, v8, vcc
.LBB12_5538:                            ;   in Loop: Header=BB12_5517 Depth=3
	s_or_b64 exec, exec, s[92:93]
	v_lshlrev_b32_e32 v8, 16, v58
	v_mul_f32_e32 v8, v8, v25
	v_and_b32_e32 v10, 0x7f800000, v8
	v_cmp_ne_u32_e32 vcc, s97, v10
                                        ; implicit-def: $vgpr20
	s_and_saveexec_b64 s[92:93], vcc
	s_xor_b64 s[92:93], exec, s[92:93]
; %bb.5539:                             ;   in Loop: Header=BB12_5517 Depth=3
	v_bfe_u32 v10, v8, 16, 1
	v_add3_u32 v20, v8, v10, s46
                                        ; implicit-def: $vgpr8
; %bb.5540:                             ;   in Loop: Header=BB12_5517 Depth=3
	s_andn2_saveexec_b64 s[92:93], s[92:93]
	s_cbranch_execz .LBB12_5542
; %bb.5541:                             ;   in Loop: Header=BB12_5517 Depth=3
	buffer_load_dword v26, off, s[0:3], s33 offset:128 ; 4-byte Folded Reload
	buffer_load_dword v27, off, s[0:3], s33 offset:132 ; 4-byte Folded Reload
	v_or_b32_e32 v10, 0x10000, v8
	s_waitcnt vmcnt(1)
	v_cmp_eq_u32_sdwa vcc, v8, v26 src0_sel:WORD_0 src1_sel:DWORD
	v_cndmask_b32_e32 v20, v10, v8, vcc
.LBB12_5542:                            ;   in Loop: Header=BB12_5517 Depth=3
	s_or_b64 exec, exec, s[92:93]
	v_lshlrev_b32_e32 v8, 16, v56
	v_mul_f32_e32 v8, v8, v25
	v_and_b32_e32 v10, 0x7f800000, v8
	v_cmp_ne_u32_e32 vcc, s97, v10
                                        ; implicit-def: $vgpr56
	s_and_saveexec_b64 s[92:93], vcc
	s_xor_b64 s[92:93], exec, s[92:93]
; %bb.5543:                             ;   in Loop: Header=BB12_5517 Depth=3
	v_bfe_u32 v10, v8, 16, 1
	v_add3_u32 v56, v8, v10, s46
                                        ; implicit-def: $vgpr8
; %bb.5544:                             ;   in Loop: Header=BB12_5517 Depth=3
	s_andn2_saveexec_b64 s[92:93], s[92:93]
	s_cbranch_execz .LBB12_5546
; %bb.5545:                             ;   in Loop: Header=BB12_5517 Depth=3
	buffer_load_dword v26, off, s[0:3], s33 offset:128 ; 4-byte Folded Reload
	buffer_load_dword v27, off, s[0:3], s33 offset:132 ; 4-byte Folded Reload
	v_or_b32_e32 v10, 0x10000, v8
	s_waitcnt vmcnt(1)
	v_cmp_eq_u32_sdwa vcc, v8, v26 src0_sel:WORD_0 src1_sel:DWORD
	v_cndmask_b32_e32 v56, v10, v8, vcc
.LBB12_5546:                            ;   in Loop: Header=BB12_5517 Depth=3
	s_or_b64 exec, exec, s[92:93]
	v_lshlrev_b32_e32 v8, 16, v46
	v_mul_f32_e32 v8, v8, v25
	v_and_b32_e32 v10, 0x7f800000, v8
	v_cmp_ne_u32_e32 vcc, s97, v10
                                        ; implicit-def: $vgpr46
	s_and_saveexec_b64 s[92:93], vcc
	s_xor_b64 s[92:93], exec, s[92:93]
; %bb.5547:                             ;   in Loop: Header=BB12_5517 Depth=3
	v_bfe_u32 v10, v8, 16, 1
	v_add3_u32 v46, v8, v10, s46
                                        ; implicit-def: $vgpr8
; %bb.5548:                             ;   in Loop: Header=BB12_5517 Depth=3
	s_andn2_saveexec_b64 s[92:93], s[92:93]
	s_cbranch_execz .LBB12_5550
; %bb.5549:                             ;   in Loop: Header=BB12_5517 Depth=3
	buffer_load_dword v26, off, s[0:3], s33 offset:128 ; 4-byte Folded Reload
	buffer_load_dword v27, off, s[0:3], s33 offset:132 ; 4-byte Folded Reload
	v_or_b32_e32 v10, 0x10000, v8
	s_waitcnt vmcnt(1)
	v_cmp_eq_u32_sdwa vcc, v8, v26 src0_sel:WORD_0 src1_sel:DWORD
	v_cndmask_b32_e32 v46, v10, v8, vcc
.LBB12_5550:                            ;   in Loop: Header=BB12_5517 Depth=3
	s_or_b64 exec, exec, s[92:93]
	v_lshlrev_b32_e32 v8, 16, v44
	v_mul_f32_e32 v8, v8, v25
	v_and_b32_e32 v10, 0x7f800000, v8
	v_cmp_ne_u32_e32 vcc, s97, v10
                                        ; implicit-def: $vgpr44
	s_and_saveexec_b64 s[92:93], vcc
	s_xor_b64 s[92:93], exec, s[92:93]
; %bb.5551:                             ;   in Loop: Header=BB12_5517 Depth=3
	v_bfe_u32 v10, v8, 16, 1
	v_add3_u32 v44, v8, v10, s46
                                        ; implicit-def: $vgpr8
; %bb.5552:                             ;   in Loop: Header=BB12_5517 Depth=3
	s_andn2_saveexec_b64 s[92:93], s[92:93]
	s_cbranch_execz .LBB12_5554
; %bb.5553:                             ;   in Loop: Header=BB12_5517 Depth=3
	buffer_load_dword v26, off, s[0:3], s33 offset:128 ; 4-byte Folded Reload
	buffer_load_dword v27, off, s[0:3], s33 offset:132 ; 4-byte Folded Reload
	v_or_b32_e32 v10, 0x10000, v8
	s_waitcnt vmcnt(1)
	v_cmp_eq_u32_sdwa vcc, v8, v26 src0_sel:WORD_0 src1_sel:DWORD
	v_cndmask_b32_e32 v44, v10, v8, vcc
.LBB12_5554:                            ;   in Loop: Header=BB12_5517 Depth=3
	s_or_b64 exec, exec, s[92:93]
	v_lshlrev_b32_e32 v8, 16, v42
	v_mul_f32_e32 v8, v8, v25
	v_and_b32_e32 v10, 0x7f800000, v8
	v_cmp_ne_u32_e32 vcc, s97, v10
                                        ; implicit-def: $vgpr42
	s_and_saveexec_b64 s[92:93], vcc
	s_xor_b64 s[92:93], exec, s[92:93]
; %bb.5555:                             ;   in Loop: Header=BB12_5517 Depth=3
	v_bfe_u32 v10, v8, 16, 1
	v_add3_u32 v42, v8, v10, s46
                                        ; implicit-def: $vgpr8
; %bb.5556:                             ;   in Loop: Header=BB12_5517 Depth=3
	s_andn2_saveexec_b64 s[92:93], s[92:93]
	s_cbranch_execz .LBB12_5558
; %bb.5557:                             ;   in Loop: Header=BB12_5517 Depth=3
	buffer_load_dword v26, off, s[0:3], s33 offset:128 ; 4-byte Folded Reload
	buffer_load_dword v27, off, s[0:3], s33 offset:132 ; 4-byte Folded Reload
	v_or_b32_e32 v10, 0x10000, v8
	s_waitcnt vmcnt(1)
	v_cmp_eq_u32_sdwa vcc, v8, v26 src0_sel:WORD_0 src1_sel:DWORD
	v_cndmask_b32_e32 v42, v10, v8, vcc
.LBB12_5558:                            ;   in Loop: Header=BB12_5517 Depth=3
	s_or_b64 exec, exec, s[92:93]
	v_lshlrev_b32_e32 v8, 16, v40
	v_mul_f32_e32 v8, v8, v25
	v_and_b32_e32 v10, 0x7f800000, v8
	v_cmp_ne_u32_e32 vcc, s97, v10
                                        ; implicit-def: $vgpr40
	s_and_saveexec_b64 s[92:93], vcc
	s_xor_b64 s[92:93], exec, s[92:93]
; %bb.5559:                             ;   in Loop: Header=BB12_5517 Depth=3
	v_bfe_u32 v10, v8, 16, 1
	v_add3_u32 v40, v8, v10, s46
                                        ; implicit-def: $vgpr8
; %bb.5560:                             ;   in Loop: Header=BB12_5517 Depth=3
	s_andn2_saveexec_b64 s[92:93], s[92:93]
	s_cbranch_execz .LBB12_5562
; %bb.5561:                             ;   in Loop: Header=BB12_5517 Depth=3
	buffer_load_dword v26, off, s[0:3], s33 offset:128 ; 4-byte Folded Reload
	buffer_load_dword v27, off, s[0:3], s33 offset:132 ; 4-byte Folded Reload
	v_or_b32_e32 v10, 0x10000, v8
	s_waitcnt vmcnt(1)
	v_cmp_eq_u32_sdwa vcc, v8, v26 src0_sel:WORD_0 src1_sel:DWORD
	v_cndmask_b32_e32 v40, v10, v8, vcc
.LBB12_5562:                            ;   in Loop: Header=BB12_5517 Depth=3
	s_or_b64 exec, exec, s[92:93]
	v_lshlrev_b32_e32 v8, 16, v54
	v_mul_f32_e32 v8, v8, v25
	v_and_b32_e32 v10, 0x7f800000, v8
	v_cmp_ne_u32_e32 vcc, s97, v10
                                        ; implicit-def: $vgpr54
	s_and_saveexec_b64 s[92:93], vcc
	s_xor_b64 s[92:93], exec, s[92:93]
; %bb.5563:                             ;   in Loop: Header=BB12_5517 Depth=3
	v_bfe_u32 v10, v8, 16, 1
	v_add3_u32 v54, v8, v10, s46
                                        ; implicit-def: $vgpr8
; %bb.5564:                             ;   in Loop: Header=BB12_5517 Depth=3
	s_andn2_saveexec_b64 s[92:93], s[92:93]
	s_cbranch_execz .LBB12_5566
; %bb.5565:                             ;   in Loop: Header=BB12_5517 Depth=3
	buffer_load_dword v26, off, s[0:3], s33 offset:128 ; 4-byte Folded Reload
	buffer_load_dword v27, off, s[0:3], s33 offset:132 ; 4-byte Folded Reload
	v_or_b32_e32 v10, 0x10000, v8
	s_waitcnt vmcnt(1)
	v_cmp_eq_u32_sdwa vcc, v8, v26 src0_sel:WORD_0 src1_sel:DWORD
	v_cndmask_b32_e32 v54, v10, v8, vcc
.LBB12_5566:                            ;   in Loop: Header=BB12_5517 Depth=3
	s_or_b64 exec, exec, s[92:93]
	v_lshlrev_b32_e32 v8, 16, v52
	v_mul_f32_e32 v8, v8, v25
	v_and_b32_e32 v10, 0x7f800000, v8
	v_cmp_ne_u32_e32 vcc, s97, v10
                                        ; implicit-def: $vgpr52
	s_and_saveexec_b64 s[92:93], vcc
	s_xor_b64 s[92:93], exec, s[92:93]
; %bb.5567:                             ;   in Loop: Header=BB12_5517 Depth=3
	v_bfe_u32 v10, v8, 16, 1
	v_add3_u32 v52, v8, v10, s46
                                        ; implicit-def: $vgpr8
; %bb.5568:                             ;   in Loop: Header=BB12_5517 Depth=3
	s_andn2_saveexec_b64 s[92:93], s[92:93]
	s_cbranch_execz .LBB12_5570
; %bb.5569:                             ;   in Loop: Header=BB12_5517 Depth=3
	buffer_load_dword v26, off, s[0:3], s33 offset:128 ; 4-byte Folded Reload
	buffer_load_dword v27, off, s[0:3], s33 offset:132 ; 4-byte Folded Reload
	v_or_b32_e32 v10, 0x10000, v8
	s_waitcnt vmcnt(1)
	v_cmp_eq_u32_sdwa vcc, v8, v26 src0_sel:WORD_0 src1_sel:DWORD
	v_cndmask_b32_e32 v52, v10, v8, vcc
.LBB12_5570:                            ;   in Loop: Header=BB12_5517 Depth=3
	s_or_b64 exec, exec, s[92:93]
	v_lshlrev_b32_e32 v8, 16, v50
	v_mul_f32_e32 v8, v8, v25
	v_and_b32_e32 v10, 0x7f800000, v8
	v_cmp_ne_u32_e32 vcc, s97, v10
                                        ; implicit-def: $vgpr12
	s_and_saveexec_b64 s[92:93], vcc
	s_xor_b64 s[92:93], exec, s[92:93]
; %bb.5571:                             ;   in Loop: Header=BB12_5517 Depth=3
	v_bfe_u32 v10, v8, 16, 1
	v_add3_u32 v12, v8, v10, s46
                                        ; implicit-def: $vgpr8
; %bb.5572:                             ;   in Loop: Header=BB12_5517 Depth=3
	s_andn2_saveexec_b64 s[92:93], s[92:93]
	s_cbranch_execz .LBB12_5574
; %bb.5573:                             ;   in Loop: Header=BB12_5517 Depth=3
	buffer_load_dword v26, off, s[0:3], s33 offset:128 ; 4-byte Folded Reload
	buffer_load_dword v27, off, s[0:3], s33 offset:132 ; 4-byte Folded Reload
	v_or_b32_e32 v10, 0x10000, v8
	s_waitcnt vmcnt(1)
	v_cmp_eq_u32_sdwa vcc, v8, v26 src0_sel:WORD_0 src1_sel:DWORD
	v_cndmask_b32_e32 v12, v10, v8, vcc
.LBB12_5574:                            ;   in Loop: Header=BB12_5517 Depth=3
	s_or_b64 exec, exec, s[92:93]
	v_lshlrev_b32_e32 v8, 16, v48
	v_mul_f32_e32 v8, v8, v25
	v_and_b32_e32 v10, 0x7f800000, v8
	v_cmp_ne_u32_e32 vcc, s97, v10
                                        ; implicit-def: $vgpr10
	s_and_saveexec_b64 s[92:93], vcc
	s_xor_b64 s[92:93], exec, s[92:93]
; %bb.5575:                             ;   in Loop: Header=BB12_5517 Depth=3
	v_bfe_u32 v10, v8, 16, 1
	v_add3_u32 v10, v8, v10, s46
                                        ; implicit-def: $vgpr8
; %bb.5576:                             ;   in Loop: Header=BB12_5517 Depth=3
	s_andn2_saveexec_b64 s[92:93], s[92:93]
	s_cbranch_execz .LBB12_5578
; %bb.5577:                             ;   in Loop: Header=BB12_5517 Depth=3
	buffer_load_dword v26, off, s[0:3], s33 offset:128 ; 4-byte Folded Reload
	buffer_load_dword v27, off, s[0:3], s33 offset:132 ; 4-byte Folded Reload
	v_or_b32_e32 v10, 0x10000, v8
	s_waitcnt vmcnt(1)
	v_cmp_eq_u32_sdwa vcc, v8, v26 src0_sel:WORD_0 src1_sel:DWORD
	v_cndmask_b32_e32 v10, v10, v8, vcc
.LBB12_5578:                            ;   in Loop: Header=BB12_5517 Depth=3
	s_or_b64 exec, exec, s[92:93]
	v_lshlrev_b32_e32 v8, 16, v39
	v_mul_f32_e32 v25, v8, v25
	v_and_b32_e32 v8, 0x7f800000, v25
	v_cmp_ne_u32_e32 vcc, s97, v8
                                        ; implicit-def: $vgpr8
	s_and_saveexec_b64 s[92:93], vcc
	s_xor_b64 s[92:93], exec, s[92:93]
; %bb.5579:                             ;   in Loop: Header=BB12_5517 Depth=3
	v_bfe_u32 v8, v25, 16, 1
	v_add3_u32 v8, v25, v8, s46
                                        ; implicit-def: $vgpr25
; %bb.5580:                             ;   in Loop: Header=BB12_5517 Depth=3
	s_andn2_saveexec_b64 s[92:93], s[92:93]
	s_cbranch_execz .LBB12_5582
; %bb.5581:                             ;   in Loop: Header=BB12_5517 Depth=3
	buffer_load_dword v26, off, s[0:3], s33 offset:128 ; 4-byte Folded Reload
	buffer_load_dword v27, off, s[0:3], s33 offset:132 ; 4-byte Folded Reload
	v_or_b32_e32 v8, 0x10000, v25
	s_waitcnt vmcnt(1)
	v_cmp_eq_u32_sdwa vcc, v25, v26 src0_sel:WORD_0 src1_sel:DWORD
	v_cndmask_b32_e32 v8, v8, v25, vcc
.LBB12_5582:                            ;   in Loop: Header=BB12_5517 Depth=3
	s_or_b64 exec, exec, s[92:93]
	buffer_load_dword v25, off, s[0:3], s33 offset:240 ; 4-byte Folded Reload
	v_and_b32_e32 v14, 0xffff0000, v14
	s_waitcnt vmcnt(0)
	v_lshlrev_b32_e32 v25, 16, v25
	v_add_f32_e32 v25, v25, v14
	v_and_b32_e32 v14, 0x7f800000, v25
	v_cmp_ne_u32_e32 vcc, s97, v14
                                        ; implicit-def: $vgpr14
	s_and_saveexec_b64 s[92:93], vcc
	s_xor_b64 s[92:93], exec, s[92:93]
; %bb.5583:                             ;   in Loop: Header=BB12_5517 Depth=3
	v_bfe_u32 v14, v25, 16, 1
	v_add3_u32 v14, v25, v14, s46
                                        ; implicit-def: $vgpr25
; %bb.5584:                             ;   in Loop: Header=BB12_5517 Depth=3
	s_andn2_saveexec_b64 s[92:93], s[92:93]
	s_cbranch_execz .LBB12_5586
; %bb.5585:                             ;   in Loop: Header=BB12_5517 Depth=3
	buffer_load_dword v26, off, s[0:3], s33 offset:128 ; 4-byte Folded Reload
	buffer_load_dword v27, off, s[0:3], s33 offset:132 ; 4-byte Folded Reload
	v_or_b32_e32 v14, 0x10000, v25
	s_waitcnt vmcnt(1)
	v_cmp_eq_u32_sdwa vcc, v25, v26 src0_sel:WORD_0 src1_sel:DWORD
	v_cndmask_b32_e32 v14, v14, v25, vcc
.LBB12_5586:                            ;   in Loop: Header=BB12_5517 Depth=3
	s_or_b64 exec, exec, s[92:93]
	buffer_load_dword v25, off, s[0:3], s33 offset:284 ; 4-byte Folded Reload
	v_and_b32_e32 v24, 0xffff0000, v24
                                        ; implicit-def: $vgpr39
	s_waitcnt vmcnt(0)
	v_lshlrev_b32_e32 v25, 16, v25
	v_add_f32_e32 v24, v25, v24
	v_and_b32_e32 v25, 0x7f800000, v24
	v_cmp_ne_u32_e32 vcc, s97, v25
	s_and_saveexec_b64 s[92:93], vcc
	s_xor_b64 s[92:93], exec, s[92:93]
; %bb.5587:                             ;   in Loop: Header=BB12_5517 Depth=3
	v_bfe_u32 v25, v24, 16, 1
	v_add3_u32 v39, v24, v25, s46
                                        ; implicit-def: $vgpr24
; %bb.5588:                             ;   in Loop: Header=BB12_5517 Depth=3
	s_andn2_saveexec_b64 s[92:93], s[92:93]
	s_cbranch_execz .LBB12_5590
; %bb.5589:                             ;   in Loop: Header=BB12_5517 Depth=3
	buffer_load_dword v26, off, s[0:3], s33 offset:128 ; 4-byte Folded Reload
	buffer_load_dword v27, off, s[0:3], s33 offset:132 ; 4-byte Folded Reload
	v_or_b32_e32 v25, 0x10000, v24
	s_waitcnt vmcnt(1)
	v_cmp_eq_u32_sdwa vcc, v24, v26 src0_sel:WORD_0 src1_sel:DWORD
	v_cndmask_b32_e32 v39, v25, v24, vcc
.LBB12_5590:                            ;   in Loop: Header=BB12_5517 Depth=3
	s_or_b64 exec, exec, s[92:93]
	buffer_load_dword v24, off, s[0:3], s33 offset:300 ; 4-byte Folded Reload
	v_and_b32_e32 v23, 0xffff0000, v23
	s_waitcnt vmcnt(0)
	v_lshlrev_b32_e32 v24, 16, v24
	v_add_f32_e32 v24, v24, v23
	v_and_b32_e32 v23, 0x7f800000, v24
	v_cmp_ne_u32_e32 vcc, s97, v23
                                        ; implicit-def: $vgpr23
	s_and_saveexec_b64 s[92:93], vcc
	s_xor_b64 s[92:93], exec, s[92:93]
; %bb.5591:                             ;   in Loop: Header=BB12_5517 Depth=3
	v_bfe_u32 v23, v24, 16, 1
	v_add3_u32 v23, v24, v23, s46
                                        ; implicit-def: $vgpr24
; %bb.5592:                             ;   in Loop: Header=BB12_5517 Depth=3
	s_andn2_saveexec_b64 s[92:93], s[92:93]
	s_cbranch_execz .LBB12_5594
; %bb.5593:                             ;   in Loop: Header=BB12_5517 Depth=3
	buffer_load_dword v25, off, s[0:3], s33 offset:128 ; 4-byte Folded Reload
	buffer_load_dword v26, off, s[0:3], s33 offset:132 ; 4-byte Folded Reload
	v_or_b32_e32 v23, 0x10000, v24
	s_waitcnt vmcnt(1)
	v_cmp_eq_u32_sdwa vcc, v24, v25 src0_sel:WORD_0 src1_sel:DWORD
	v_cndmask_b32_e32 v23, v23, v24, vcc
.LBB12_5594:                            ;   in Loop: Header=BB12_5517 Depth=3
	s_or_b64 exec, exec, s[92:93]
	buffer_load_dword v24, off, s[0:3], s33 offset:332 ; 4-byte Folded Reload
	v_and_b32_e32 v22, 0xffff0000, v22
	s_waitcnt vmcnt(0)
	v_lshlrev_b32_e32 v24, 16, v24
	v_add_f32_e32 v24, v24, v22
	v_and_b32_e32 v22, 0x7f800000, v24
	v_cmp_ne_u32_e32 vcc, s97, v22
                                        ; implicit-def: $vgpr22
	s_and_saveexec_b64 s[92:93], vcc
	s_xor_b64 s[92:93], exec, s[92:93]
; %bb.5595:                             ;   in Loop: Header=BB12_5517 Depth=3
	v_bfe_u32 v22, v24, 16, 1
	v_add3_u32 v22, v24, v22, s46
                                        ; implicit-def: $vgpr24
; %bb.5596:                             ;   in Loop: Header=BB12_5517 Depth=3
	s_andn2_saveexec_b64 s[92:93], s[92:93]
	s_cbranch_execz .LBB12_5598
; %bb.5597:                             ;   in Loop: Header=BB12_5517 Depth=3
	buffer_load_dword v25, off, s[0:3], s33 offset:128 ; 4-byte Folded Reload
	buffer_load_dword v26, off, s[0:3], s33 offset:132 ; 4-byte Folded Reload
	v_or_b32_e32 v22, 0x10000, v24
	s_waitcnt vmcnt(1)
	v_cmp_eq_u32_sdwa vcc, v24, v25 src0_sel:WORD_0 src1_sel:DWORD
	v_cndmask_b32_e32 v22, v22, v24, vcc
.LBB12_5598:                            ;   in Loop: Header=BB12_5517 Depth=3
	s_or_b64 exec, exec, s[92:93]
	buffer_load_dword v24, off, s[0:3], s33 offset:340 ; 4-byte Folded Reload
	v_and_b32_e32 v21, 0xffff0000, v21
	s_waitcnt vmcnt(0)
	v_lshlrev_b32_e32 v24, 16, v24
	v_add_f32_e32 v24, v24, v21
	v_and_b32_e32 v21, 0x7f800000, v24
	v_cmp_ne_u32_e32 vcc, s97, v21
                                        ; implicit-def: $vgpr21
	s_and_saveexec_b64 s[92:93], vcc
	s_xor_b64 s[92:93], exec, s[92:93]
; %bb.5599:                             ;   in Loop: Header=BB12_5517 Depth=3
	v_bfe_u32 v21, v24, 16, 1
	v_add3_u32 v21, v24, v21, s46
                                        ; implicit-def: $vgpr24
; %bb.5600:                             ;   in Loop: Header=BB12_5517 Depth=3
	s_andn2_saveexec_b64 s[92:93], s[92:93]
	s_cbranch_execz .LBB12_5602
; %bb.5601:                             ;   in Loop: Header=BB12_5517 Depth=3
	buffer_load_dword v25, off, s[0:3], s33 offset:128 ; 4-byte Folded Reload
	buffer_load_dword v26, off, s[0:3], s33 offset:132 ; 4-byte Folded Reload
	v_or_b32_e32 v21, 0x10000, v24
	s_waitcnt vmcnt(1)
	v_cmp_eq_u32_sdwa vcc, v24, v25 src0_sel:WORD_0 src1_sel:DWORD
	v_cndmask_b32_e32 v21, v21, v24, vcc
.LBB12_5602:                            ;   in Loop: Header=BB12_5517 Depth=3
	s_or_b64 exec, exec, s[92:93]
	buffer_load_dword v24, off, s[0:3], s33 offset:344 ; 4-byte Folded Reload
	v_and_b32_e32 v20, 0xffff0000, v20
	s_waitcnt vmcnt(0)
	v_lshlrev_b32_e32 v24, 16, v24
	v_add_f32_e32 v24, v24, v20
	v_and_b32_e32 v20, 0x7f800000, v24
	v_cmp_ne_u32_e32 vcc, s97, v20
                                        ; implicit-def: $vgpr20
	s_and_saveexec_b64 s[92:93], vcc
	s_xor_b64 s[92:93], exec, s[92:93]
; %bb.5603:                             ;   in Loop: Header=BB12_5517 Depth=3
	v_bfe_u32 v20, v24, 16, 1
	v_add3_u32 v20, v24, v20, s46
                                        ; implicit-def: $vgpr24
; %bb.5604:                             ;   in Loop: Header=BB12_5517 Depth=3
	s_andn2_saveexec_b64 s[92:93], s[92:93]
	s_cbranch_execz .LBB12_5606
; %bb.5605:                             ;   in Loop: Header=BB12_5517 Depth=3
	buffer_load_dword v25, off, s[0:3], s33 offset:128 ; 4-byte Folded Reload
	buffer_load_dword v26, off, s[0:3], s33 offset:132 ; 4-byte Folded Reload
	v_or_b32_e32 v20, 0x10000, v24
	s_waitcnt vmcnt(1)
	v_cmp_eq_u32_sdwa vcc, v24, v25 src0_sel:WORD_0 src1_sel:DWORD
	v_cndmask_b32_e32 v20, v20, v24, vcc
.LBB12_5606:                            ;   in Loop: Header=BB12_5517 Depth=3
	s_or_b64 exec, exec, s[92:93]
	buffer_load_dword v25, off, s[0:3], s33 offset:352 ; 4-byte Folded Reload
	v_and_b32_e32 v24, 0xffff0000, v56
	s_waitcnt vmcnt(0)
	v_lshlrev_b32_e32 v25, 16, v25
	v_add_f32_e32 v25, v25, v24
	v_and_b32_e32 v24, 0x7f800000, v25
	v_cmp_ne_u32_e32 vcc, s97, v24
                                        ; implicit-def: $vgpr24
	s_and_saveexec_b64 s[92:93], vcc
	s_xor_b64 s[92:93], exec, s[92:93]
; %bb.5607:                             ;   in Loop: Header=BB12_5517 Depth=3
	v_bfe_u32 v24, v25, 16, 1
	v_add3_u32 v24, v25, v24, s46
                                        ; implicit-def: $vgpr25
; %bb.5608:                             ;   in Loop: Header=BB12_5517 Depth=3
	s_andn2_saveexec_b64 s[92:93], s[92:93]
	s_cbranch_execz .LBB12_5610
; %bb.5609:                             ;   in Loop: Header=BB12_5517 Depth=3
	buffer_load_dword v26, off, s[0:3], s33 offset:128 ; 4-byte Folded Reload
	buffer_load_dword v27, off, s[0:3], s33 offset:132 ; 4-byte Folded Reload
	v_or_b32_e32 v24, 0x10000, v25
	s_waitcnt vmcnt(1)
	v_cmp_eq_u32_sdwa vcc, v25, v26 src0_sel:WORD_0 src1_sel:DWORD
	v_cndmask_b32_e32 v24, v24, v25, vcc
.LBB12_5610:                            ;   in Loop: Header=BB12_5517 Depth=3
	s_or_b64 exec, exec, s[92:93]
	buffer_load_dword v26, off, s[0:3], s33 offset:356 ; 4-byte Folded Reload
	v_and_b32_e32 v25, 0xffff0000, v46
	s_waitcnt vmcnt(0)
	v_lshlrev_b32_e32 v26, 16, v26
	v_add_f32_e32 v26, v26, v25
	v_and_b32_e32 v25, 0x7f800000, v26
	v_cmp_ne_u32_e32 vcc, s97, v25
                                        ; implicit-def: $vgpr25
	s_and_saveexec_b64 s[92:93], vcc
	s_xor_b64 s[92:93], exec, s[92:93]
; %bb.5611:                             ;   in Loop: Header=BB12_5517 Depth=3
	v_bfe_u32 v25, v26, 16, 1
	v_add3_u32 v25, v26, v25, s46
                                        ; implicit-def: $vgpr26
; %bb.5612:                             ;   in Loop: Header=BB12_5517 Depth=3
	s_andn2_saveexec_b64 s[92:93], s[92:93]
	s_cbranch_execz .LBB12_5614
; %bb.5613:                             ;   in Loop: Header=BB12_5517 Depth=3
	buffer_load_dword v60, off, s[0:3], s33 offset:128 ; 4-byte Folded Reload
	buffer_load_dword v61, off, s[0:3], s33 offset:132 ; 4-byte Folded Reload
	v_or_b32_e32 v25, 0x10000, v26
	s_waitcnt vmcnt(1)
	v_cmp_eq_u32_sdwa vcc, v26, v60 src0_sel:WORD_0 src1_sel:DWORD
	v_cndmask_b32_e32 v25, v25, v26, vcc
.LBB12_5614:                            ;   in Loop: Header=BB12_5517 Depth=3
	s_or_b64 exec, exec, s[92:93]
	buffer_load_dword v27, off, s[0:3], s33 offset:360 ; 4-byte Folded Reload
	v_and_b32_e32 v26, 0xffff0000, v44
	s_waitcnt vmcnt(0)
	v_lshlrev_b32_e32 v27, 16, v27
	v_add_f32_e32 v27, v27, v26
	v_and_b32_e32 v26, 0x7f800000, v27
	v_cmp_ne_u32_e32 vcc, s97, v26
                                        ; implicit-def: $vgpr26
	s_and_saveexec_b64 s[92:93], vcc
	s_xor_b64 s[92:93], exec, s[92:93]
; %bb.5615:                             ;   in Loop: Header=BB12_5517 Depth=3
	v_bfe_u32 v26, v27, 16, 1
	v_add3_u32 v26, v27, v26, s46
                                        ; implicit-def: $vgpr27
; %bb.5616:                             ;   in Loop: Header=BB12_5517 Depth=3
	s_andn2_saveexec_b64 s[92:93], s[92:93]
	s_cbranch_execz .LBB12_5618
; %bb.5617:                             ;   in Loop: Header=BB12_5517 Depth=3
	buffer_load_dword v60, off, s[0:3], s33 offset:128 ; 4-byte Folded Reload
	buffer_load_dword v61, off, s[0:3], s33 offset:132 ; 4-byte Folded Reload
	v_or_b32_e32 v26, 0x10000, v27
	s_waitcnt vmcnt(1)
	v_cmp_eq_u32_sdwa vcc, v27, v60 src0_sel:WORD_0 src1_sel:DWORD
	v_cndmask_b32_e32 v26, v26, v27, vcc
.LBB12_5618:                            ;   in Loop: Header=BB12_5517 Depth=3
	s_or_b64 exec, exec, s[92:93]
	buffer_load_dword v28, off, s[0:3], s33 offset:364 ; 4-byte Folded Reload
	v_and_b32_e32 v27, 0xffff0000, v42
	s_waitcnt vmcnt(0)
	v_lshlrev_b32_e32 v48, 16, v28
	v_add_f32_e32 v48, v48, v27
	v_and_b32_e32 v27, 0x7f800000, v48
	v_cmp_ne_u32_e32 vcc, s97, v27
                                        ; implicit-def: $vgpr27
	s_and_saveexec_b64 s[92:93], vcc
	s_xor_b64 s[92:93], exec, s[92:93]
; %bb.5619:                             ;   in Loop: Header=BB12_5517 Depth=3
	v_bfe_u32 v27, v48, 16, 1
	v_add3_u32 v27, v48, v27, s46
                                        ; implicit-def: $vgpr48
; %bb.5620:                             ;   in Loop: Header=BB12_5517 Depth=3
	s_andn2_saveexec_b64 s[92:93], s[92:93]
	s_cbranch_execz .LBB12_5622
; %bb.5621:                             ;   in Loop: Header=BB12_5517 Depth=3
	buffer_load_dword v60, off, s[0:3], s33 offset:128 ; 4-byte Folded Reload
	buffer_load_dword v61, off, s[0:3], s33 offset:132 ; 4-byte Folded Reload
	v_or_b32_e32 v27, 0x10000, v48
	s_waitcnt vmcnt(1)
	v_cmp_eq_u32_sdwa vcc, v48, v60 src0_sel:WORD_0 src1_sel:DWORD
	v_cndmask_b32_e32 v27, v27, v48, vcc
.LBB12_5622:                            ;   in Loop: Header=BB12_5517 Depth=3
	s_or_b64 exec, exec, s[92:93]
	buffer_load_dword v28, off, s[0:3], s33 offset:368 ; 4-byte Folded Reload
	v_and_b32_e32 v48, 0xffff0000, v40
                                        ; implicit-def: $vgpr40
	s_waitcnt vmcnt(0)
	v_lshlrev_b32_e32 v50, 16, v28
	v_add_f32_e32 v48, v50, v48
	v_and_b32_e32 v50, 0x7f800000, v48
	v_cmp_ne_u32_e32 vcc, s97, v50
	s_and_saveexec_b64 s[92:93], vcc
	s_xor_b64 s[92:93], exec, s[92:93]
; %bb.5623:                             ;   in Loop: Header=BB12_5517 Depth=3
	v_bfe_u32 v50, v48, 16, 1
	v_add3_u32 v40, v48, v50, s46
                                        ; implicit-def: $vgpr48
; %bb.5624:                             ;   in Loop: Header=BB12_5517 Depth=3
	s_andn2_saveexec_b64 s[92:93], s[92:93]
	s_cbranch_execz .LBB12_5626
; %bb.5625:                             ;   in Loop: Header=BB12_5517 Depth=3
	buffer_load_dword v60, off, s[0:3], s33 offset:128 ; 4-byte Folded Reload
	buffer_load_dword v61, off, s[0:3], s33 offset:132 ; 4-byte Folded Reload
	v_or_b32_e32 v50, 0x10000, v48
	s_waitcnt vmcnt(1)
	v_cmp_eq_u32_sdwa vcc, v48, v60 src0_sel:WORD_0 src1_sel:DWORD
	v_cndmask_b32_e32 v40, v50, v48, vcc
.LBB12_5626:                            ;   in Loop: Header=BB12_5517 Depth=3
	s_or_b64 exec, exec, s[92:93]
	buffer_load_dword v28, off, s[0:3], s33 offset:372 ; 4-byte Folded Reload
	v_and_b32_e32 v48, 0xffff0000, v54
                                        ; implicit-def: $vgpr54
	s_waitcnt vmcnt(0)
	v_lshlrev_b32_e32 v50, 16, v28
	v_add_f32_e32 v48, v50, v48
	v_and_b32_e32 v50, 0x7f800000, v48
	v_cmp_ne_u32_e32 vcc, s97, v50
	s_and_saveexec_b64 s[92:93], vcc
	s_xor_b64 s[92:93], exec, s[92:93]
; %bb.5627:                             ;   in Loop: Header=BB12_5517 Depth=3
	v_bfe_u32 v50, v48, 16, 1
	v_add3_u32 v54, v48, v50, s46
                                        ; implicit-def: $vgpr48
; %bb.5628:                             ;   in Loop: Header=BB12_5517 Depth=3
	s_andn2_saveexec_b64 s[92:93], s[92:93]
	s_cbranch_execz .LBB12_5630
; %bb.5629:                             ;   in Loop: Header=BB12_5517 Depth=3
	buffer_load_dword v60, off, s[0:3], s33 offset:128 ; 4-byte Folded Reload
	buffer_load_dword v61, off, s[0:3], s33 offset:132 ; 4-byte Folded Reload
	v_or_b32_e32 v50, 0x10000, v48
	s_waitcnt vmcnt(1)
	v_cmp_eq_u32_sdwa vcc, v48, v60 src0_sel:WORD_0 src1_sel:DWORD
	v_cndmask_b32_e32 v54, v50, v48, vcc
.LBB12_5630:                            ;   in Loop: Header=BB12_5517 Depth=3
	s_or_b64 exec, exec, s[92:93]
	buffer_load_dword v28, off, s[0:3], s33 offset:376 ; 4-byte Folded Reload
	v_and_b32_e32 v48, 0xffff0000, v52
                                        ; implicit-def: $vgpr52
	s_waitcnt vmcnt(0)
	v_lshlrev_b32_e32 v50, 16, v28
	v_add_f32_e32 v48, v50, v48
	v_and_b32_e32 v50, 0x7f800000, v48
	v_cmp_ne_u32_e32 vcc, s97, v50
	s_and_saveexec_b64 s[92:93], vcc
	s_xor_b64 s[92:93], exec, s[92:93]
; %bb.5631:                             ;   in Loop: Header=BB12_5517 Depth=3
	v_bfe_u32 v50, v48, 16, 1
	v_add3_u32 v52, v48, v50, s46
                                        ; implicit-def: $vgpr48
; %bb.5632:                             ;   in Loop: Header=BB12_5517 Depth=3
	s_andn2_saveexec_b64 s[92:93], s[92:93]
	s_cbranch_execz .LBB12_5634
; %bb.5633:                             ;   in Loop: Header=BB12_5517 Depth=3
	buffer_load_dword v60, off, s[0:3], s33 offset:128 ; 4-byte Folded Reload
	buffer_load_dword v61, off, s[0:3], s33 offset:132 ; 4-byte Folded Reload
	v_or_b32_e32 v50, 0x10000, v48
	s_waitcnt vmcnt(1)
	v_cmp_eq_u32_sdwa vcc, v48, v60 src0_sel:WORD_0 src1_sel:DWORD
	v_cndmask_b32_e32 v52, v50, v48, vcc
.LBB12_5634:                            ;   in Loop: Header=BB12_5517 Depth=3
	s_or_b64 exec, exec, s[92:93]
	buffer_load_dword v28, off, s[0:3], s33 offset:380 ; 4-byte Folded Reload
	v_and_b32_e32 v12, 0xffff0000, v12
	s_waitcnt vmcnt(0)
	v_lshlrev_b32_e32 v48, 16, v28
	v_add_f32_e32 v48, v48, v12
	v_and_b32_e32 v12, 0x7f800000, v48
	v_cmp_ne_u32_e32 vcc, s97, v12
                                        ; implicit-def: $vgpr12
	s_and_saveexec_b64 s[92:93], vcc
	s_xor_b64 s[92:93], exec, s[92:93]
; %bb.5635:                             ;   in Loop: Header=BB12_5517 Depth=3
	v_bfe_u32 v12, v48, 16, 1
	v_add3_u32 v12, v48, v12, s46
                                        ; implicit-def: $vgpr48
; %bb.5636:                             ;   in Loop: Header=BB12_5517 Depth=3
	s_andn2_saveexec_b64 s[92:93], s[92:93]
	s_cbranch_execz .LBB12_5638
; %bb.5637:                             ;   in Loop: Header=BB12_5517 Depth=3
	buffer_load_dword v60, off, s[0:3], s33 offset:128 ; 4-byte Folded Reload
	buffer_load_dword v61, off, s[0:3], s33 offset:132 ; 4-byte Folded Reload
	v_or_b32_e32 v12, 0x10000, v48
	s_waitcnt vmcnt(1)
	v_cmp_eq_u32_sdwa vcc, v48, v60 src0_sel:WORD_0 src1_sel:DWORD
	v_cndmask_b32_e32 v12, v12, v48, vcc
.LBB12_5638:                            ;   in Loop: Header=BB12_5517 Depth=3
	s_or_b64 exec, exec, s[92:93]
	buffer_load_dword v28, off, s[0:3], s33 offset:440 ; 4-byte Folded Reload
	v_and_b32_e32 v10, 0xffff0000, v10
	s_waitcnt vmcnt(0)
	v_lshlrev_b32_e32 v48, 16, v28
	v_add_f32_e32 v48, v48, v10
	v_and_b32_e32 v10, 0x7f800000, v48
	v_cmp_ne_u32_e32 vcc, s97, v10
                                        ; implicit-def: $vgpr10
	s_and_saveexec_b64 s[92:93], vcc
	s_xor_b64 s[92:93], exec, s[92:93]
; %bb.5639:                             ;   in Loop: Header=BB12_5517 Depth=3
	v_bfe_u32 v10, v48, 16, 1
	v_add3_u32 v10, v48, v10, s46
                                        ; implicit-def: $vgpr48
; %bb.5640:                             ;   in Loop: Header=BB12_5517 Depth=3
	s_andn2_saveexec_b64 s[92:93], s[92:93]
	s_cbranch_execz .LBB12_5642
; %bb.5641:                             ;   in Loop: Header=BB12_5517 Depth=3
	buffer_load_dword v60, off, s[0:3], s33 offset:128 ; 4-byte Folded Reload
	buffer_load_dword v61, off, s[0:3], s33 offset:132 ; 4-byte Folded Reload
	v_or_b32_e32 v10, 0x10000, v48
	s_waitcnt vmcnt(1)
	v_cmp_eq_u32_sdwa vcc, v48, v60 src0_sel:WORD_0 src1_sel:DWORD
	v_cndmask_b32_e32 v10, v10, v48, vcc
.LBB12_5642:                            ;   in Loop: Header=BB12_5517 Depth=3
	s_or_b64 exec, exec, s[92:93]
	buffer_load_dword v28, off, s[0:3], s33 offset:444 ; 4-byte Folded Reload
	v_and_b32_e32 v8, 0xffff0000, v8
                                        ; implicit-def: $vgpr60
	s_waitcnt vmcnt(0)
	v_lshlrev_b32_e32 v48, 16, v28
	v_add_f32_e32 v8, v48, v8
	v_and_b32_e32 v48, 0x7f800000, v8
	v_cmp_ne_u32_e32 vcc, s97, v48
	s_and_saveexec_b64 s[92:93], vcc
	s_xor_b64 s[92:93], exec, s[92:93]
; %bb.5643:                             ;   in Loop: Header=BB12_5517 Depth=3
	v_bfe_u32 v48, v8, 16, 1
	v_add3_u32 v60, v8, v48, s46
                                        ; implicit-def: $vgpr8
; %bb.5644:                             ;   in Loop: Header=BB12_5517 Depth=3
	s_andn2_saveexec_b64 s[92:93], s[92:93]
	s_cbranch_execz .LBB12_5646
; %bb.5645:                             ;   in Loop: Header=BB12_5517 Depth=3
	buffer_load_dword v60, off, s[0:3], s33 offset:128 ; 4-byte Folded Reload
	buffer_load_dword v61, off, s[0:3], s33 offset:132 ; 4-byte Folded Reload
	v_or_b32_e32 v48, 0x10000, v8
	s_waitcnt vmcnt(1)
	v_cmp_eq_u32_sdwa vcc, v8, v60 src0_sel:WORD_0 src1_sel:DWORD
	v_cndmask_b32_e32 v60, v48, v8, vcc
.LBB12_5646:                            ;   in Loop: Header=BB12_5517 Depth=3
	s_or_b64 exec, exec, s[92:93]
	v_lshrrev_b32_e32 v14, 16, v14
	v_lshrrev_b32_e32 v48, 16, v10
	;; [unrolled: 1-line block ×11, first 2 shown]
	s_waitcnt vmcnt(0)
	v_lshrrev_b32_e32 v61, 16, v21
	v_lshrrev_b32_e32 v8, 16, v22
	;; [unrolled: 1-line block ×5, first 2 shown]
	flat_store_short v[0:1], v14 glc slc
	flat_store_short v[0:1], v12 offset:128 glc slc
	flat_store_short v[0:1], v10 offset:256 glc slc
	;; [unrolled: 1-line block ×15, first 2 shown]
	buffer_load_dword v20, off, s[0:3], s33 offset:232 ; 4-byte Folded Reload
	s_waitcnt vmcnt(0)
	v_add_co_u32_e32 v0, vcc, v0, v20
	buffer_load_dword v20, off, s[0:3], s33 offset:236 ; 4-byte Folded Reload
	s_waitcnt vmcnt(0)
	v_addc_co_u32_e32 v1, vcc, v1, v20, vcc
.LBB12_5647:                            ;   in Loop: Header=BB12_5517 Depth=3
	s_or_b64 exec, exec, s[94:95]
	buffer_load_dword v20, off, s[0:3], s33 offset:232 ; 4-byte Folded Reload
	buffer_load_dword v21, off, s[0:3], s33 offset:236 ; 4-byte Folded Reload
	s_waitcnt vmcnt(0)
	v_add_co_u32_e32 v2, vcc, v2, v20
	v_addc_co_u32_e32 v3, vcc, v3, v21, vcc
	v_add_co_u32_e32 v4, vcc, v4, v20
	buffer_load_dword v20, off, s[0:3], s33 offset:152 ; 4-byte Folded Reload
	v_addc_co_u32_e32 v5, vcc, v5, v21, vcc
	s_waitcnt vmcnt(0)
	v_sub_u32_e32 v15, v15, v20
	v_cmp_lt_i32_e64 s[92:93], 0, v15
	s_and_saveexec_b64 s[94:95], s[92:93]
	s_cbranch_execz .LBB12_5649
; %bb.5648:                             ;   in Loop: Header=BB12_5517 Depth=3
	flat_load_ushort v14, v[2:3] glc slc
	flat_load_ushort v12, v[2:3] offset:128 glc slc
	flat_load_ushort v10, v[2:3] offset:256 glc slc
	;; [unrolled: 1-line block ×15, first 2 shown]
	flat_load_ushort v20, v[4:5] glc slc
	v_add_co_u32_e32 v2, vcc, s64, v2
	v_addc_co_u32_e32 v3, vcc, 0, v3, vcc
	s_waitcnt vmcnt(0) lgkmcnt(0)
	buffer_store_dword v20, off, s[0:3], s33 offset:240 ; 4-byte Folded Spill
	flat_load_ushort v20, v[4:5] offset:128 glc slc
	s_waitcnt vmcnt(0) lgkmcnt(0)
	buffer_store_dword v20, off, s[0:3], s33 offset:284 ; 4-byte Folded Spill
	flat_load_ushort v20, v[4:5] offset:256 glc slc
	s_waitcnt vmcnt(0) lgkmcnt(0)
	buffer_store_dword v20, off, s[0:3], s33 offset:300 ; 4-byte Folded Spill
	flat_load_ushort v20, v[4:5] offset:384 glc slc
	s_waitcnt vmcnt(0) lgkmcnt(0)
	buffer_store_dword v20, off, s[0:3], s33 offset:332 ; 4-byte Folded Spill
	flat_load_ushort v20, v[4:5] offset:512 glc slc
	s_waitcnt vmcnt(0) lgkmcnt(0)
	buffer_store_dword v20, off, s[0:3], s33 offset:340 ; 4-byte Folded Spill
	flat_load_ushort v20, v[4:5] offset:640 glc slc
	s_waitcnt vmcnt(0) lgkmcnt(0)
	buffer_store_dword v20, off, s[0:3], s33 offset:344 ; 4-byte Folded Spill
	flat_load_ushort v20, v[4:5] offset:768 glc slc
	s_waitcnt vmcnt(0) lgkmcnt(0)
	buffer_store_dword v20, off, s[0:3], s33 offset:352 ; 4-byte Folded Spill
	flat_load_ushort v20, v[4:5] offset:896 glc slc
	s_waitcnt vmcnt(0) lgkmcnt(0)
	buffer_store_dword v20, off, s[0:3], s33 offset:356 ; 4-byte Folded Spill
	flat_load_ushort v20, v[4:5] offset:1024 glc slc
	s_waitcnt vmcnt(0) lgkmcnt(0)
	buffer_store_dword v20, off, s[0:3], s33 offset:360 ; 4-byte Folded Spill
	flat_load_ushort v20, v[4:5] offset:1152 glc slc
	s_waitcnt vmcnt(0) lgkmcnt(0)
	buffer_store_dword v20, off, s[0:3], s33 offset:364 ; 4-byte Folded Spill
	flat_load_ushort v20, v[4:5] offset:1280 glc slc
	s_waitcnt vmcnt(0) lgkmcnt(0)
	buffer_store_dword v20, off, s[0:3], s33 offset:368 ; 4-byte Folded Spill
	flat_load_ushort v20, v[4:5] offset:1408 glc slc
	s_waitcnt vmcnt(0) lgkmcnt(0)
	buffer_store_dword v20, off, s[0:3], s33 offset:372 ; 4-byte Folded Spill
	flat_load_ushort v20, v[4:5] offset:1536 glc slc
	s_waitcnt vmcnt(0) lgkmcnt(0)
	buffer_store_dword v20, off, s[0:3], s33 offset:376 ; 4-byte Folded Spill
	flat_load_ushort v20, v[4:5] offset:1664 glc slc
	s_waitcnt vmcnt(0) lgkmcnt(0)
	buffer_store_dword v20, off, s[0:3], s33 offset:380 ; 4-byte Folded Spill
	flat_load_ushort v20, v[4:5] offset:1792 glc slc
	s_waitcnt vmcnt(0) lgkmcnt(0)
	buffer_store_dword v20, off, s[0:3], s33 offset:440 ; 4-byte Folded Spill
	flat_load_ushort v20, v[4:5] offset:1920 glc slc
	v_add_co_u32_e32 v4, vcc, 0x800, v4
	v_addc_co_u32_e32 v5, vcc, 0, v5, vcc
	s_waitcnt vmcnt(0) lgkmcnt(0)
	buffer_store_dword v20, off, s[0:3], s33 offset:444 ; 4-byte Folded Spill
.LBB12_5649:                            ;   in Loop: Header=BB12_5517 Depth=3
	s_or_b64 exec, exec, s[94:95]
	s_trap 2
	ds_read_b32 v20, v0
	v_lshlrev_b32_e32 v19, 16, v19
                                        ; implicit-def: $vgpr26
	s_waitcnt lgkmcnt(0)
	v_lshlrev_b32_e32 v27, 16, v20
	v_mul_f32_e32 v19, v19, v27
	v_and_b32_e32 v20, 0x7f800000, v19
	v_cmp_ne_u32_e32 vcc, s97, v20
	s_and_saveexec_b64 s[94:95], vcc
	s_xor_b64 s[94:95], exec, s[94:95]
; %bb.5650:                             ;   in Loop: Header=BB12_5517 Depth=3
	v_bfe_u32 v20, v19, 16, 1
	v_add3_u32 v26, v19, v20, s46
                                        ; implicit-def: $vgpr19
; %bb.5651:                             ;   in Loop: Header=BB12_5517 Depth=3
	s_andn2_saveexec_b64 s[94:95], s[94:95]
	s_cbranch_execz .LBB12_5653
; %bb.5652:                             ;   in Loop: Header=BB12_5517 Depth=3
	buffer_load_dword v21, off, s[0:3], s33 offset:128 ; 4-byte Folded Reload
	buffer_load_dword v22, off, s[0:3], s33 offset:132 ; 4-byte Folded Reload
	v_or_b32_e32 v20, 0x10000, v19
	s_waitcnt vmcnt(1)
	v_cmp_eq_u32_sdwa vcc, v19, v21 src0_sel:WORD_0 src1_sel:DWORD
	v_cndmask_b32_e32 v26, v20, v19, vcc
.LBB12_5653:                            ;   in Loop: Header=BB12_5517 Depth=3
	s_or_b64 exec, exec, s[94:95]
	v_lshlrev_b32_e32 v18, 16, v18
	v_mul_f32_e32 v18, v18, v27
	v_and_b32_e32 v19, 0x7f800000, v18
	v_cmp_ne_u32_e32 vcc, s97, v19
                                        ; implicit-def: $vgpr25
	s_and_saveexec_b64 s[94:95], vcc
	s_xor_b64 s[94:95], exec, s[94:95]
; %bb.5654:                             ;   in Loop: Header=BB12_5517 Depth=3
	v_bfe_u32 v19, v18, 16, 1
	v_add3_u32 v25, v18, v19, s46
                                        ; implicit-def: $vgpr18
; %bb.5655:                             ;   in Loop: Header=BB12_5517 Depth=3
	s_andn2_saveexec_b64 s[94:95], s[94:95]
	s_cbranch_execz .LBB12_5657
; %bb.5656:                             ;   in Loop: Header=BB12_5517 Depth=3
	buffer_load_dword v20, off, s[0:3], s33 offset:128 ; 4-byte Folded Reload
	buffer_load_dword v21, off, s[0:3], s33 offset:132 ; 4-byte Folded Reload
	v_or_b32_e32 v19, 0x10000, v18
	s_waitcnt vmcnt(1)
	v_cmp_eq_u32_sdwa vcc, v18, v20 src0_sel:WORD_0 src1_sel:DWORD
	v_cndmask_b32_e32 v25, v19, v18, vcc
.LBB12_5657:                            ;   in Loop: Header=BB12_5517 Depth=3
	s_or_b64 exec, exec, s[94:95]
	v_lshlrev_b32_e32 v17, 16, v17
	v_mul_f32_e32 v17, v17, v27
	v_and_b32_e32 v18, 0x7f800000, v17
	v_cmp_ne_u32_e32 vcc, s97, v18
                                        ; implicit-def: $vgpr24
	s_and_saveexec_b64 s[94:95], vcc
	s_xor_b64 s[94:95], exec, s[94:95]
; %bb.5658:                             ;   in Loop: Header=BB12_5517 Depth=3
	v_bfe_u32 v18, v17, 16, 1
	v_add3_u32 v24, v17, v18, s46
                                        ; implicit-def: $vgpr17
; %bb.5659:                             ;   in Loop: Header=BB12_5517 Depth=3
	s_andn2_saveexec_b64 s[94:95], s[94:95]
	s_cbranch_execz .LBB12_5661
; %bb.5660:                             ;   in Loop: Header=BB12_5517 Depth=3
	buffer_load_dword v19, off, s[0:3], s33 offset:128 ; 4-byte Folded Reload
	buffer_load_dword v20, off, s[0:3], s33 offset:132 ; 4-byte Folded Reload
	v_or_b32_e32 v18, 0x10000, v17
	s_waitcnt vmcnt(1)
	v_cmp_eq_u32_sdwa vcc, v17, v19 src0_sel:WORD_0 src1_sel:DWORD
	v_cndmask_b32_e32 v24, v18, v17, vcc
.LBB12_5661:                            ;   in Loop: Header=BB12_5517 Depth=3
	s_or_b64 exec, exec, s[94:95]
	v_lshlrev_b32_e32 v16, 16, v16
	v_mul_f32_e32 v16, v16, v27
	v_and_b32_e32 v17, 0x7f800000, v16
	v_cmp_ne_u32_e32 vcc, s97, v17
                                        ; implicit-def: $vgpr23
	s_and_saveexec_b64 s[94:95], vcc
	s_xor_b64 s[94:95], exec, s[94:95]
; %bb.5662:                             ;   in Loop: Header=BB12_5517 Depth=3
	v_bfe_u32 v17, v16, 16, 1
	v_add3_u32 v23, v16, v17, s46
                                        ; implicit-def: $vgpr16
; %bb.5663:                             ;   in Loop: Header=BB12_5517 Depth=3
	s_andn2_saveexec_b64 s[94:95], s[94:95]
	s_cbranch_execz .LBB12_5665
; %bb.5664:                             ;   in Loop: Header=BB12_5517 Depth=3
	buffer_load_dword v18, off, s[0:3], s33 offset:128 ; 4-byte Folded Reload
	buffer_load_dword v19, off, s[0:3], s33 offset:132 ; 4-byte Folded Reload
	v_or_b32_e32 v17, 0x10000, v16
	s_waitcnt vmcnt(1)
	v_cmp_eq_u32_sdwa vcc, v16, v18 src0_sel:WORD_0 src1_sel:DWORD
	v_cndmask_b32_e32 v23, v17, v16, vcc
.LBB12_5665:                            ;   in Loop: Header=BB12_5517 Depth=3
	s_or_b64 exec, exec, s[94:95]
	v_lshlrev_b32_e32 v13, 16, v13
	v_mul_f32_e32 v13, v13, v27
	v_and_b32_e32 v16, 0x7f800000, v13
	v_cmp_ne_u32_e32 vcc, s97, v16
                                        ; implicit-def: $vgpr22
	s_and_saveexec_b64 s[94:95], vcc
	s_xor_b64 s[94:95], exec, s[94:95]
	s_cbranch_execz .LBB12_5667
; %bb.5666:                             ;   in Loop: Header=BB12_5517 Depth=3
	v_bfe_u32 v16, v13, 16, 1
	s_waitcnt vmcnt(0)
	v_add3_u32 v22, v13, v16, s46
                                        ; implicit-def: $vgpr13
.LBB12_5667:                            ;   in Loop: Header=BB12_5517 Depth=3
	s_andn2_saveexec_b64 s[94:95], s[94:95]
	s_cbranch_execz .LBB12_5669
; %bb.5668:                             ;   in Loop: Header=BB12_5517 Depth=3
	buffer_load_dword v17, off, s[0:3], s33 offset:128 ; 4-byte Folded Reload
	buffer_load_dword v18, off, s[0:3], s33 offset:132 ; 4-byte Folded Reload
	v_or_b32_e32 v16, 0x10000, v13
	s_waitcnt vmcnt(1)
	v_cmp_eq_u32_sdwa vcc, v13, v17 src0_sel:WORD_0 src1_sel:DWORD
	v_cndmask_b32_e32 v22, v16, v13, vcc
.LBB12_5669:                            ;   in Loop: Header=BB12_5517 Depth=3
	s_or_b64 exec, exec, s[94:95]
	v_lshlrev_b32_e32 v11, 16, v11
	v_mul_f32_e32 v11, v11, v27
	v_and_b32_e32 v13, 0x7f800000, v11
	v_cmp_ne_u32_e32 vcc, s97, v13
                                        ; implicit-def: $vgpr21
	s_and_saveexec_b64 s[94:95], vcc
	s_xor_b64 s[94:95], exec, s[94:95]
	s_cbranch_execz .LBB12_5671
; %bb.5670:                             ;   in Loop: Header=BB12_5517 Depth=3
	v_bfe_u32 v13, v11, 16, 1
	s_waitcnt vmcnt(0)
	v_add3_u32 v21, v11, v13, s46
                                        ; implicit-def: $vgpr11
.LBB12_5671:                            ;   in Loop: Header=BB12_5517 Depth=3
	s_andn2_saveexec_b64 s[94:95], s[94:95]
	s_cbranch_execz .LBB12_5673
; %bb.5672:                             ;   in Loop: Header=BB12_5517 Depth=3
	buffer_load_dword v16, off, s[0:3], s33 offset:128 ; 4-byte Folded Reload
	buffer_load_dword v17, off, s[0:3], s33 offset:132 ; 4-byte Folded Reload
	v_or_b32_e32 v13, 0x10000, v11
	s_waitcnt vmcnt(1)
	v_cmp_eq_u32_sdwa vcc, v11, v16 src0_sel:WORD_0 src1_sel:DWORD
	v_cndmask_b32_e32 v21, v13, v11, vcc
.LBB12_5673:                            ;   in Loop: Header=BB12_5517 Depth=3
	s_or_b64 exec, exec, s[94:95]
	v_lshlrev_b32_e32 v9, 16, v9
	v_mul_f32_e32 v9, v9, v27
	v_and_b32_e32 v11, 0x7f800000, v9
	v_cmp_ne_u32_e32 vcc, s97, v11
                                        ; implicit-def: $vgpr20
	s_and_saveexec_b64 s[94:95], vcc
	s_xor_b64 s[94:95], exec, s[94:95]
	s_cbranch_execz .LBB12_5675
; %bb.5674:                             ;   in Loop: Header=BB12_5517 Depth=3
	v_bfe_u32 v11, v9, 16, 1
	s_waitcnt vmcnt(0)
	v_add3_u32 v20, v9, v11, s46
                                        ; implicit-def: $vgpr9
.LBB12_5675:                            ;   in Loop: Header=BB12_5517 Depth=3
	s_andn2_saveexec_b64 s[94:95], s[94:95]
	s_cbranch_execz .LBB12_5677
; %bb.5676:                             ;   in Loop: Header=BB12_5517 Depth=3
	buffer_load_dword v16, off, s[0:3], s33 offset:128 ; 4-byte Folded Reload
	buffer_load_dword v17, off, s[0:3], s33 offset:132 ; 4-byte Folded Reload
	v_or_b32_e32 v11, 0x10000, v9
	s_waitcnt vmcnt(1)
	v_cmp_eq_u32_sdwa vcc, v9, v16 src0_sel:WORD_0 src1_sel:DWORD
	v_cndmask_b32_e32 v20, v11, v9, vcc
.LBB12_5677:                            ;   in Loop: Header=BB12_5517 Depth=3
	s_or_b64 exec, exec, s[94:95]
	v_lshlrev_b32_e32 v6, 16, v6
	v_mul_f32_e32 v6, v6, v27
	v_and_b32_e32 v9, 0x7f800000, v6
	v_cmp_ne_u32_e32 vcc, s97, v9
                                        ; implicit-def: $vgpr60
	s_and_saveexec_b64 s[94:95], vcc
	s_xor_b64 s[94:95], exec, s[94:95]
; %bb.5678:                             ;   in Loop: Header=BB12_5517 Depth=3
	v_bfe_u32 v9, v6, 16, 1
	v_add3_u32 v60, v6, v9, s46
                                        ; implicit-def: $vgpr6
; %bb.5679:                             ;   in Loop: Header=BB12_5517 Depth=3
	s_andn2_saveexec_b64 s[94:95], s[94:95]
	s_cbranch_execz .LBB12_5681
; %bb.5680:                             ;   in Loop: Header=BB12_5517 Depth=3
	buffer_load_dword v16, off, s[0:3], s33 offset:128 ; 4-byte Folded Reload
	buffer_load_dword v17, off, s[0:3], s33 offset:132 ; 4-byte Folded Reload
	v_or_b32_e32 v9, 0x10000, v6
	s_waitcnt vmcnt(1)
	v_cmp_eq_u32_sdwa vcc, v6, v16 src0_sel:WORD_0 src1_sel:DWORD
	v_cndmask_b32_e32 v60, v9, v6, vcc
.LBB12_5681:                            ;   in Loop: Header=BB12_5517 Depth=3
	s_or_b64 exec, exec, s[94:95]
	v_lshlrev_b32_e32 v6, 16, v7
	v_mul_f32_e32 v6, v6, v27
	v_and_b32_e32 v7, 0x7f800000, v6
	v_cmp_ne_u32_e32 vcc, s97, v7
                                        ; implicit-def: $vgpr19
	s_and_saveexec_b64 s[94:95], vcc
	s_xor_b64 s[94:95], exec, s[94:95]
	s_cbranch_execz .LBB12_5683
; %bb.5682:                             ;   in Loop: Header=BB12_5517 Depth=3
	v_bfe_u32 v7, v6, 16, 1
	s_waitcnt vmcnt(0)
	v_add3_u32 v19, v6, v7, s46
                                        ; implicit-def: $vgpr6
.LBB12_5683:                            ;   in Loop: Header=BB12_5517 Depth=3
	s_andn2_saveexec_b64 s[94:95], s[94:95]
	s_cbranch_execz .LBB12_5685
; %bb.5684:                             ;   in Loop: Header=BB12_5517 Depth=3
	buffer_load_dword v16, off, s[0:3], s33 offset:128 ; 4-byte Folded Reload
	buffer_load_dword v17, off, s[0:3], s33 offset:132 ; 4-byte Folded Reload
	v_or_b32_e32 v7, 0x10000, v6
	s_waitcnt vmcnt(1)
	v_cmp_eq_u32_sdwa vcc, v6, v16 src0_sel:WORD_0 src1_sel:DWORD
	v_cndmask_b32_e32 v19, v7, v6, vcc
.LBB12_5685:                            ;   in Loop: Header=BB12_5517 Depth=3
	s_or_b64 exec, exec, s[94:95]
	v_lshlrev_b32_e32 v6, 16, v59
	v_mul_f32_e32 v6, v6, v27
	v_and_b32_e32 v7, 0x7f800000, v6
	v_cmp_ne_u32_e32 vcc, s97, v7
                                        ; implicit-def: $vgpr18
	s_and_saveexec_b64 s[94:95], vcc
	s_xor_b64 s[94:95], exec, s[94:95]
	s_cbranch_execz .LBB12_5687
; %bb.5686:                             ;   in Loop: Header=BB12_5517 Depth=3
	v_bfe_u32 v7, v6, 16, 1
	s_waitcnt vmcnt(0)
	v_add3_u32 v18, v6, v7, s46
                                        ; implicit-def: $vgpr6
.LBB12_5687:                            ;   in Loop: Header=BB12_5517 Depth=3
	s_andn2_saveexec_b64 s[94:95], s[94:95]
	s_cbranch_execz .LBB12_5689
; %bb.5688:                             ;   in Loop: Header=BB12_5517 Depth=3
	buffer_load_dword v16, off, s[0:3], s33 offset:128 ; 4-byte Folded Reload
	buffer_load_dword v17, off, s[0:3], s33 offset:132 ; 4-byte Folded Reload
	v_or_b32_e32 v7, 0x10000, v6
	s_waitcnt vmcnt(1)
	v_cmp_eq_u32_sdwa vcc, v6, v16 src0_sel:WORD_0 src1_sel:DWORD
	v_cndmask_b32_e32 v18, v7, v6, vcc
.LBB12_5689:                            ;   in Loop: Header=BB12_5517 Depth=3
	s_or_b64 exec, exec, s[94:95]
	v_lshlrev_b32_e32 v6, 16, v57
	v_mul_f32_e32 v6, v6, v27
	v_and_b32_e32 v7, 0x7f800000, v6
	v_cmp_ne_u32_e32 vcc, s97, v7
                                        ; implicit-def: $vgpr17
	s_and_saveexec_b64 s[94:95], vcc
	s_xor_b64 s[94:95], exec, s[94:95]
	s_cbranch_execz .LBB12_5691
; %bb.5690:                             ;   in Loop: Header=BB12_5517 Depth=3
	v_bfe_u32 v7, v6, 16, 1
	s_waitcnt vmcnt(0)
	v_add3_u32 v17, v6, v7, s46
                                        ; implicit-def: $vgpr6
.LBB12_5691:                            ;   in Loop: Header=BB12_5517 Depth=3
	s_andn2_saveexec_b64 s[94:95], s[94:95]
	s_cbranch_execz .LBB12_5693
; %bb.5692:                             ;   in Loop: Header=BB12_5517 Depth=3
	buffer_load_dword v16, off, s[0:3], s33 offset:128 ; 4-byte Folded Reload
	buffer_load_dword v17, off, s[0:3], s33 offset:132 ; 4-byte Folded Reload
	v_or_b32_e32 v7, 0x10000, v6
	s_waitcnt vmcnt(1)
	v_cmp_eq_u32_sdwa vcc, v6, v16 src0_sel:WORD_0 src1_sel:DWORD
	s_waitcnt vmcnt(0)
	v_cndmask_b32_e32 v17, v7, v6, vcc
.LBB12_5693:                            ;   in Loop: Header=BB12_5517 Depth=3
	s_or_b64 exec, exec, s[94:95]
	v_lshlrev_b32_e32 v6, 16, v47
	v_mul_f32_e32 v6, v6, v27
	v_and_b32_e32 v7, 0x7f800000, v6
	v_cmp_ne_u32_e32 vcc, s97, v7
                                        ; implicit-def: $vgpr16
	s_and_saveexec_b64 s[94:95], vcc
	s_xor_b64 s[94:95], exec, s[94:95]
; %bb.5694:                             ;   in Loop: Header=BB12_5517 Depth=3
	v_bfe_u32 v7, v6, 16, 1
	v_add3_u32 v16, v6, v7, s46
                                        ; implicit-def: $vgpr6
; %bb.5695:                             ;   in Loop: Header=BB12_5517 Depth=3
	s_andn2_saveexec_b64 s[94:95], s[94:95]
	s_cbranch_execz .LBB12_5697
; %bb.5696:                             ;   in Loop: Header=BB12_5517 Depth=3
	buffer_load_dword v28, off, s[0:3], s33 offset:128 ; 4-byte Folded Reload
	buffer_load_dword v29, off, s[0:3], s33 offset:132 ; 4-byte Folded Reload
	v_or_b32_e32 v7, 0x10000, v6
	s_waitcnt vmcnt(1)
	v_cmp_eq_u32_sdwa vcc, v6, v28 src0_sel:WORD_0 src1_sel:DWORD
	v_cndmask_b32_e32 v16, v7, v6, vcc
.LBB12_5697:                            ;   in Loop: Header=BB12_5517 Depth=3
	s_or_b64 exec, exec, s[94:95]
	v_lshlrev_b32_e32 v6, 16, v45
	v_mul_f32_e32 v6, v6, v27
	v_and_b32_e32 v7, 0x7f800000, v6
	v_cmp_ne_u32_e32 vcc, s97, v7
                                        ; implicit-def: $vgpr13
	s_and_saveexec_b64 s[94:95], vcc
	s_xor_b64 s[94:95], exec, s[94:95]
; %bb.5698:                             ;   in Loop: Header=BB12_5517 Depth=3
	v_bfe_u32 v7, v6, 16, 1
	v_add3_u32 v13, v6, v7, s46
                                        ; implicit-def: $vgpr6
; %bb.5699:                             ;   in Loop: Header=BB12_5517 Depth=3
	s_andn2_saveexec_b64 s[94:95], s[94:95]
	s_cbranch_execz .LBB12_5701
; %bb.5700:                             ;   in Loop: Header=BB12_5517 Depth=3
	buffer_load_dword v28, off, s[0:3], s33 offset:128 ; 4-byte Folded Reload
	buffer_load_dword v29, off, s[0:3], s33 offset:132 ; 4-byte Folded Reload
	v_or_b32_e32 v7, 0x10000, v6
	s_waitcnt vmcnt(1)
	v_cmp_eq_u32_sdwa vcc, v6, v28 src0_sel:WORD_0 src1_sel:DWORD
	v_cndmask_b32_e32 v13, v7, v6, vcc
.LBB12_5701:                            ;   in Loop: Header=BB12_5517 Depth=3
	s_or_b64 exec, exec, s[94:95]
	v_lshlrev_b32_e32 v6, 16, v43
	v_mul_f32_e32 v6, v6, v27
	v_and_b32_e32 v7, 0x7f800000, v6
	v_cmp_ne_u32_e32 vcc, s97, v7
                                        ; implicit-def: $vgpr11
	s_and_saveexec_b64 s[94:95], vcc
	s_xor_b64 s[94:95], exec, s[94:95]
; %bb.5702:                             ;   in Loop: Header=BB12_5517 Depth=3
	v_bfe_u32 v7, v6, 16, 1
	v_add3_u32 v11, v6, v7, s46
                                        ; implicit-def: $vgpr6
; %bb.5703:                             ;   in Loop: Header=BB12_5517 Depth=3
	s_andn2_saveexec_b64 s[94:95], s[94:95]
	s_cbranch_execz .LBB12_5705
; %bb.5704:                             ;   in Loop: Header=BB12_5517 Depth=3
	buffer_load_dword v28, off, s[0:3], s33 offset:128 ; 4-byte Folded Reload
	buffer_load_dword v29, off, s[0:3], s33 offset:132 ; 4-byte Folded Reload
	v_or_b32_e32 v7, 0x10000, v6
	s_waitcnt vmcnt(1)
	v_cmp_eq_u32_sdwa vcc, v6, v28 src0_sel:WORD_0 src1_sel:DWORD
	v_cndmask_b32_e32 v11, v7, v6, vcc
.LBB12_5705:                            ;   in Loop: Header=BB12_5517 Depth=3
	s_or_b64 exec, exec, s[94:95]
	v_lshlrev_b32_e32 v6, 16, v41
	v_mul_f32_e32 v6, v6, v27
	v_and_b32_e32 v7, 0x7f800000, v6
	v_cmp_ne_u32_e32 vcc, s97, v7
                                        ; implicit-def: $vgpr9
	s_and_saveexec_b64 s[94:95], vcc
	s_xor_b64 s[94:95], exec, s[94:95]
; %bb.5706:                             ;   in Loop: Header=BB12_5517 Depth=3
	v_bfe_u32 v7, v6, 16, 1
	v_add3_u32 v9, v6, v7, s46
                                        ; implicit-def: $vgpr6
; %bb.5707:                             ;   in Loop: Header=BB12_5517 Depth=3
	s_andn2_saveexec_b64 s[94:95], s[94:95]
	s_cbranch_execz .LBB12_5709
; %bb.5708:                             ;   in Loop: Header=BB12_5517 Depth=3
	buffer_load_dword v28, off, s[0:3], s33 offset:128 ; 4-byte Folded Reload
	buffer_load_dword v29, off, s[0:3], s33 offset:132 ; 4-byte Folded Reload
	v_or_b32_e32 v7, 0x10000, v6
	s_waitcnt vmcnt(1)
	v_cmp_eq_u32_sdwa vcc, v6, v28 src0_sel:WORD_0 src1_sel:DWORD
	v_cndmask_b32_e32 v9, v7, v6, vcc
.LBB12_5709:                            ;   in Loop: Header=BB12_5517 Depth=3
	s_or_b64 exec, exec, s[94:95]
	v_lshlrev_b32_e32 v6, 16, v55
	v_mul_f32_e32 v7, v6, v27
	v_and_b32_e32 v6, 0x7f800000, v7
	v_cmp_ne_u32_e32 vcc, s97, v6
                                        ; implicit-def: $vgpr6
	s_and_saveexec_b64 s[94:95], vcc
	s_xor_b64 s[94:95], exec, s[94:95]
; %bb.5710:                             ;   in Loop: Header=BB12_5517 Depth=3
	v_bfe_u32 v6, v7, 16, 1
	v_add3_u32 v6, v7, v6, s46
                                        ; implicit-def: $vgpr7
; %bb.5711:                             ;   in Loop: Header=BB12_5517 Depth=3
	s_andn2_saveexec_b64 s[94:95], s[94:95]
	s_cbranch_execz .LBB12_5713
; %bb.5712:                             ;   in Loop: Header=BB12_5517 Depth=3
	buffer_load_dword v27, off, s[0:3], s33 offset:128 ; 4-byte Folded Reload
	buffer_load_dword v28, off, s[0:3], s33 offset:132 ; 4-byte Folded Reload
	v_or_b32_e32 v6, 0x10000, v7
	s_waitcnt vmcnt(1)
	v_cmp_eq_u32_sdwa vcc, v7, v27 src0_sel:WORD_0 src1_sel:DWORD
	v_cndmask_b32_e32 v6, v6, v7, vcc
.LBB12_5713:                            ;   in Loop: Header=BB12_5517 Depth=3
	s_or_b64 exec, exec, s[94:95]
	v_and_b32_e32 v7, 0xffff0000, v26
	v_lshlrev_b32_e32 v26, 16, v53
	v_add_f32_e32 v26, v26, v7
	v_and_b32_e32 v7, 0x7f800000, v26
	v_cmp_ne_u32_e32 vcc, s97, v7
                                        ; implicit-def: $vgpr7
	s_and_saveexec_b64 s[94:95], vcc
	s_xor_b64 s[94:95], exec, s[94:95]
; %bb.5714:                             ;   in Loop: Header=BB12_5517 Depth=3
	v_bfe_u32 v7, v26, 16, 1
	v_add3_u32 v7, v26, v7, s46
                                        ; implicit-def: $vgpr26
; %bb.5715:                             ;   in Loop: Header=BB12_5517 Depth=3
	s_andn2_saveexec_b64 s[94:95], s[94:95]
	s_cbranch_execz .LBB12_5717
; %bb.5716:                             ;   in Loop: Header=BB12_5517 Depth=3
	buffer_load_dword v27, off, s[0:3], s33 offset:128 ; 4-byte Folded Reload
	buffer_load_dword v28, off, s[0:3], s33 offset:132 ; 4-byte Folded Reload
	v_or_b32_e32 v7, 0x10000, v26
	s_waitcnt vmcnt(1)
	v_cmp_eq_u32_sdwa vcc, v26, v27 src0_sel:WORD_0 src1_sel:DWORD
	v_cndmask_b32_e32 v7, v7, v26, vcc
.LBB12_5717:                            ;   in Loop: Header=BB12_5517 Depth=3
	s_or_b64 exec, exec, s[94:95]
	v_and_b32_e32 v25, 0xffff0000, v25
	v_lshlrev_b32_e32 v26, 16, v51
	v_add_f32_e32 v26, v26, v25
	v_and_b32_e32 v25, 0x7f800000, v26
	v_cmp_ne_u32_e32 vcc, s97, v25
                                        ; implicit-def: $vgpr25
	s_and_saveexec_b64 s[94:95], vcc
	s_xor_b64 s[94:95], exec, s[94:95]
; %bb.5718:                             ;   in Loop: Header=BB12_5517 Depth=3
	v_bfe_u32 v25, v26, 16, 1
	v_add3_u32 v25, v26, v25, s46
                                        ; implicit-def: $vgpr26
; %bb.5719:                             ;   in Loop: Header=BB12_5517 Depth=3
	s_andn2_saveexec_b64 s[94:95], s[94:95]
	s_cbranch_execz .LBB12_5721
; %bb.5720:                             ;   in Loop: Header=BB12_5517 Depth=3
	buffer_load_dword v27, off, s[0:3], s33 offset:128 ; 4-byte Folded Reload
	buffer_load_dword v28, off, s[0:3], s33 offset:132 ; 4-byte Folded Reload
	v_or_b32_e32 v25, 0x10000, v26
	s_waitcnt vmcnt(1)
	v_cmp_eq_u32_sdwa vcc, v26, v27 src0_sel:WORD_0 src1_sel:DWORD
	v_cndmask_b32_e32 v25, v25, v26, vcc
.LBB12_5721:                            ;   in Loop: Header=BB12_5517 Depth=3
	s_or_b64 exec, exec, s[94:95]
	v_and_b32_e32 v24, 0xffff0000, v24
	v_lshlrev_b32_e32 v26, 16, v49
	v_add_f32_e32 v26, v26, v24
	v_and_b32_e32 v24, 0x7f800000, v26
	v_cmp_ne_u32_e32 vcc, s97, v24
                                        ; implicit-def: $vgpr24
	s_and_saveexec_b64 s[94:95], vcc
	s_xor_b64 s[94:95], exec, s[94:95]
; %bb.5722:                             ;   in Loop: Header=BB12_5517 Depth=3
	v_bfe_u32 v24, v26, 16, 1
	v_add3_u32 v24, v26, v24, s46
                                        ; implicit-def: $vgpr26
; %bb.5723:                             ;   in Loop: Header=BB12_5517 Depth=3
	s_andn2_saveexec_b64 s[94:95], s[94:95]
	s_cbranch_execz .LBB12_5725
; %bb.5724:                             ;   in Loop: Header=BB12_5517 Depth=3
	buffer_load_dword v27, off, s[0:3], s33 offset:128 ; 4-byte Folded Reload
	buffer_load_dword v28, off, s[0:3], s33 offset:132 ; 4-byte Folded Reload
	v_or_b32_e32 v24, 0x10000, v26
	s_waitcnt vmcnt(1)
	v_cmp_eq_u32_sdwa vcc, v26, v27 src0_sel:WORD_0 src1_sel:DWORD
	v_cndmask_b32_e32 v24, v24, v26, vcc
.LBB12_5725:                            ;   in Loop: Header=BB12_5517 Depth=3
	s_or_b64 exec, exec, s[94:95]
	v_and_b32_e32 v23, 0xffff0000, v23
	v_lshlrev_b32_e32 v26, 16, v38
	v_add_f32_e32 v26, v26, v23
	v_and_b32_e32 v23, 0x7f800000, v26
	v_cmp_ne_u32_e32 vcc, s97, v23
                                        ; implicit-def: $vgpr23
	s_and_saveexec_b64 s[94:95], vcc
	s_xor_b64 s[94:95], exec, s[94:95]
; %bb.5726:                             ;   in Loop: Header=BB12_5517 Depth=3
	v_bfe_u32 v23, v26, 16, 1
	v_add3_u32 v23, v26, v23, s46
                                        ; implicit-def: $vgpr26
; %bb.5727:                             ;   in Loop: Header=BB12_5517 Depth=3
	s_andn2_saveexec_b64 s[94:95], s[94:95]
	s_cbranch_execz .LBB12_5729
; %bb.5728:                             ;   in Loop: Header=BB12_5517 Depth=3
	buffer_load_dword v27, off, s[0:3], s33 offset:128 ; 4-byte Folded Reload
	buffer_load_dword v28, off, s[0:3], s33 offset:132 ; 4-byte Folded Reload
	v_or_b32_e32 v23, 0x10000, v26
	s_waitcnt vmcnt(1)
	v_cmp_eq_u32_sdwa vcc, v26, v27 src0_sel:WORD_0 src1_sel:DWORD
	v_cndmask_b32_e32 v23, v23, v26, vcc
.LBB12_5729:                            ;   in Loop: Header=BB12_5517 Depth=3
	s_or_b64 exec, exec, s[94:95]
	s_waitcnt vmcnt(0)
	v_and_b32_e32 v22, 0xffff0000, v22
	v_lshlrev_b32_e32 v26, 16, v37
	v_add_f32_e32 v26, v26, v22
	v_and_b32_e32 v22, 0x7f800000, v26
	v_cmp_ne_u32_e32 vcc, s97, v22
                                        ; implicit-def: $vgpr22
	s_and_saveexec_b64 s[94:95], vcc
	s_xor_b64 s[94:95], exec, s[94:95]
; %bb.5730:                             ;   in Loop: Header=BB12_5517 Depth=3
	v_bfe_u32 v22, v26, 16, 1
	v_add3_u32 v22, v26, v22, s46
                                        ; implicit-def: $vgpr26
; %bb.5731:                             ;   in Loop: Header=BB12_5517 Depth=3
	s_andn2_saveexec_b64 s[94:95], s[94:95]
	s_cbranch_execz .LBB12_5733
; %bb.5732:                             ;   in Loop: Header=BB12_5517 Depth=3
	buffer_load_dword v27, off, s[0:3], s33 offset:128 ; 4-byte Folded Reload
	buffer_load_dword v28, off, s[0:3], s33 offset:132 ; 4-byte Folded Reload
	v_or_b32_e32 v22, 0x10000, v26
	s_waitcnt vmcnt(1)
	v_cmp_eq_u32_sdwa vcc, v26, v27 src0_sel:WORD_0 src1_sel:DWORD
	v_cndmask_b32_e32 v22, v22, v26, vcc
.LBB12_5733:                            ;   in Loop: Header=BB12_5517 Depth=3
	s_or_b64 exec, exec, s[94:95]
	v_and_b32_e32 v21, 0xffff0000, v21
	v_lshlrev_b32_e32 v26, 16, v36
	v_add_f32_e32 v26, v26, v21
	v_and_b32_e32 v21, 0x7f800000, v26
	v_cmp_ne_u32_e32 vcc, s97, v21
                                        ; implicit-def: $vgpr21
	s_and_saveexec_b64 s[94:95], vcc
	s_xor_b64 s[94:95], exec, s[94:95]
; %bb.5734:                             ;   in Loop: Header=BB12_5517 Depth=3
	v_bfe_u32 v21, v26, 16, 1
	v_add3_u32 v21, v26, v21, s46
                                        ; implicit-def: $vgpr26
; %bb.5735:                             ;   in Loop: Header=BB12_5517 Depth=3
	s_andn2_saveexec_b64 s[94:95], s[94:95]
	s_cbranch_execz .LBB12_5737
; %bb.5736:                             ;   in Loop: Header=BB12_5517 Depth=3
	buffer_load_dword v27, off, s[0:3], s33 offset:128 ; 4-byte Folded Reload
	buffer_load_dword v28, off, s[0:3], s33 offset:132 ; 4-byte Folded Reload
	v_or_b32_e32 v21, 0x10000, v26
	s_waitcnt vmcnt(1)
	v_cmp_eq_u32_sdwa vcc, v26, v27 src0_sel:WORD_0 src1_sel:DWORD
	v_cndmask_b32_e32 v21, v21, v26, vcc
.LBB12_5737:                            ;   in Loop: Header=BB12_5517 Depth=3
	s_or_b64 exec, exec, s[94:95]
	v_and_b32_e32 v20, 0xffff0000, v20
	v_lshlrev_b32_e32 v26, 16, v35
	v_add_f32_e32 v26, v26, v20
	v_and_b32_e32 v20, 0x7f800000, v26
	v_cmp_ne_u32_e32 vcc, s97, v20
                                        ; implicit-def: $vgpr20
	s_and_saveexec_b64 s[94:95], vcc
	s_xor_b64 s[94:95], exec, s[94:95]
; %bb.5738:                             ;   in Loop: Header=BB12_5517 Depth=3
	v_bfe_u32 v20, v26, 16, 1
	v_add3_u32 v20, v26, v20, s46
                                        ; implicit-def: $vgpr26
; %bb.5739:                             ;   in Loop: Header=BB12_5517 Depth=3
	s_andn2_saveexec_b64 s[94:95], s[94:95]
	s_cbranch_execz .LBB12_5741
; %bb.5740:                             ;   in Loop: Header=BB12_5517 Depth=3
	buffer_load_dword v27, off, s[0:3], s33 offset:128 ; 4-byte Folded Reload
	buffer_load_dword v28, off, s[0:3], s33 offset:132 ; 4-byte Folded Reload
	v_or_b32_e32 v20, 0x10000, v26
	s_waitcnt vmcnt(1)
	v_cmp_eq_u32_sdwa vcc, v26, v27 src0_sel:WORD_0 src1_sel:DWORD
	v_cndmask_b32_e32 v20, v20, v26, vcc
.LBB12_5741:                            ;   in Loop: Header=BB12_5517 Depth=3
	s_or_b64 exec, exec, s[94:95]
	v_and_b32_e32 v26, 0xffff0000, v60
	v_lshlrev_b32_e32 v27, 16, v34
	v_add_f32_e32 v27, v27, v26
	v_and_b32_e32 v26, 0x7f800000, v27
	v_cmp_ne_u32_e32 vcc, s97, v26
                                        ; implicit-def: $vgpr26
	s_and_saveexec_b64 s[94:95], vcc
	s_xor_b64 s[94:95], exec, s[94:95]
; %bb.5742:                             ;   in Loop: Header=BB12_5517 Depth=3
	v_bfe_u32 v26, v27, 16, 1
	v_add3_u32 v26, v27, v26, s46
                                        ; implicit-def: $vgpr27
; %bb.5743:                             ;   in Loop: Header=BB12_5517 Depth=3
	s_andn2_saveexec_b64 s[94:95], s[94:95]
	s_cbranch_execz .LBB12_5745
; %bb.5744:                             ;   in Loop: Header=BB12_5517 Depth=3
	buffer_load_dword v28, off, s[0:3], s33 offset:128 ; 4-byte Folded Reload
	buffer_load_dword v29, off, s[0:3], s33 offset:132 ; 4-byte Folded Reload
	v_or_b32_e32 v26, 0x10000, v27
	s_waitcnt vmcnt(1)
	v_cmp_eq_u32_sdwa vcc, v27, v28 src0_sel:WORD_0 src1_sel:DWORD
	v_cndmask_b32_e32 v26, v26, v27, vcc
.LBB12_5745:                            ;   in Loop: Header=BB12_5517 Depth=3
	s_or_b64 exec, exec, s[94:95]
	v_and_b32_e32 v19, 0xffff0000, v19
	v_lshlrev_b32_e32 v27, 16, v33
	v_add_f32_e32 v27, v27, v19
	v_and_b32_e32 v19, 0x7f800000, v27
	v_cmp_ne_u32_e32 vcc, s97, v19
                                        ; implicit-def: $vgpr19
	s_and_saveexec_b64 s[94:95], vcc
	s_xor_b64 s[94:95], exec, s[94:95]
; %bb.5746:                             ;   in Loop: Header=BB12_5517 Depth=3
	v_bfe_u32 v19, v27, 16, 1
	v_add3_u32 v19, v27, v19, s46
                                        ; implicit-def: $vgpr27
; %bb.5747:                             ;   in Loop: Header=BB12_5517 Depth=3
	s_andn2_saveexec_b64 s[94:95], s[94:95]
	s_cbranch_execz .LBB12_5749
; %bb.5748:                             ;   in Loop: Header=BB12_5517 Depth=3
	buffer_load_dword v28, off, s[0:3], s33 offset:128 ; 4-byte Folded Reload
	buffer_load_dword v29, off, s[0:3], s33 offset:132 ; 4-byte Folded Reload
	v_or_b32_e32 v19, 0x10000, v27
	s_waitcnt vmcnt(1)
	v_cmp_eq_u32_sdwa vcc, v27, v28 src0_sel:WORD_0 src1_sel:DWORD
	v_cndmask_b32_e32 v19, v19, v27, vcc
.LBB12_5749:                            ;   in Loop: Header=BB12_5517 Depth=3
	s_or_b64 exec, exec, s[94:95]
	v_and_b32_e32 v18, 0xffff0000, v18
	v_lshlrev_b32_e32 v27, 16, v32
	v_add_f32_e32 v27, v27, v18
	v_and_b32_e32 v18, 0x7f800000, v27
	v_cmp_ne_u32_e32 vcc, s97, v18
                                        ; implicit-def: $vgpr18
	s_and_saveexec_b64 s[94:95], vcc
	s_xor_b64 s[94:95], exec, s[94:95]
; %bb.5750:                             ;   in Loop: Header=BB12_5517 Depth=3
	v_bfe_u32 v18, v27, 16, 1
	v_add3_u32 v18, v27, v18, s46
                                        ; implicit-def: $vgpr27
; %bb.5751:                             ;   in Loop: Header=BB12_5517 Depth=3
	s_andn2_saveexec_b64 s[94:95], s[94:95]
	s_cbranch_execz .LBB12_5753
; %bb.5752:                             ;   in Loop: Header=BB12_5517 Depth=3
	buffer_load_dword v28, off, s[0:3], s33 offset:128 ; 4-byte Folded Reload
	buffer_load_dword v29, off, s[0:3], s33 offset:132 ; 4-byte Folded Reload
	v_or_b32_e32 v18, 0x10000, v27
	s_waitcnt vmcnt(1)
	v_cmp_eq_u32_sdwa vcc, v27, v28 src0_sel:WORD_0 src1_sel:DWORD
	v_cndmask_b32_e32 v18, v18, v27, vcc
.LBB12_5753:                            ;   in Loop: Header=BB12_5517 Depth=3
	s_or_b64 exec, exec, s[94:95]
	v_and_b32_e32 v17, 0xffff0000, v17
	v_lshlrev_b32_e32 v27, 16, v31
	v_add_f32_e32 v27, v27, v17
	v_and_b32_e32 v17, 0x7f800000, v27
	v_cmp_ne_u32_e32 vcc, s97, v17
                                        ; implicit-def: $vgpr17
	s_and_saveexec_b64 s[94:95], vcc
	s_xor_b64 s[94:95], exec, s[94:95]
; %bb.5754:                             ;   in Loop: Header=BB12_5517 Depth=3
	v_bfe_u32 v17, v27, 16, 1
	v_add3_u32 v17, v27, v17, s46
                                        ; implicit-def: $vgpr27
; %bb.5755:                             ;   in Loop: Header=BB12_5517 Depth=3
	s_andn2_saveexec_b64 s[94:95], s[94:95]
	s_cbranch_execz .LBB12_5757
; %bb.5756:                             ;   in Loop: Header=BB12_5517 Depth=3
	buffer_load_dword v28, off, s[0:3], s33 offset:128 ; 4-byte Folded Reload
	buffer_load_dword v29, off, s[0:3], s33 offset:132 ; 4-byte Folded Reload
	v_or_b32_e32 v17, 0x10000, v27
	s_waitcnt vmcnt(1)
	v_cmp_eq_u32_sdwa vcc, v27, v28 src0_sel:WORD_0 src1_sel:DWORD
	v_cndmask_b32_e32 v17, v17, v27, vcc
.LBB12_5757:                            ;   in Loop: Header=BB12_5517 Depth=3
	s_or_b64 exec, exec, s[94:95]
	v_and_b32_e32 v16, 0xffff0000, v16
	v_lshlrev_b32_e32 v27, 16, v30
	v_add_f32_e32 v27, v27, v16
	v_and_b32_e32 v16, 0x7f800000, v27
	v_cmp_ne_u32_e32 vcc, s97, v16
                                        ; implicit-def: $vgpr16
	s_and_saveexec_b64 s[94:95], vcc
	s_xor_b64 s[94:95], exec, s[94:95]
; %bb.5758:                             ;   in Loop: Header=BB12_5517 Depth=3
	v_bfe_u32 v16, v27, 16, 1
	v_add3_u32 v16, v27, v16, s46
                                        ; implicit-def: $vgpr27
; %bb.5759:                             ;   in Loop: Header=BB12_5517 Depth=3
	s_andn2_saveexec_b64 s[94:95], s[94:95]
	s_cbranch_execz .LBB12_5761
; %bb.5760:                             ;   in Loop: Header=BB12_5517 Depth=3
	buffer_load_dword v28, off, s[0:3], s33 offset:128 ; 4-byte Folded Reload
	buffer_load_dword v29, off, s[0:3], s33 offset:132 ; 4-byte Folded Reload
	v_or_b32_e32 v16, 0x10000, v27
	s_waitcnt vmcnt(1)
	v_cmp_eq_u32_sdwa vcc, v27, v28 src0_sel:WORD_0 src1_sel:DWORD
	v_cndmask_b32_e32 v16, v16, v27, vcc
.LBB12_5761:                            ;   in Loop: Header=BB12_5517 Depth=3
	s_or_b64 exec, exec, s[94:95]
	buffer_load_dword v27, off, s[0:3], s33 offset:216 ; 4-byte Folded Reload
	v_and_b32_e32 v13, 0xffff0000, v13
	s_waitcnt vmcnt(0)
	v_lshlrev_b32_e32 v27, 16, v27
	v_add_f32_e32 v27, v27, v13
	v_and_b32_e32 v13, 0x7f800000, v27
	v_cmp_ne_u32_e32 vcc, s97, v13
                                        ; implicit-def: $vgpr13
	s_and_saveexec_b64 s[94:95], vcc
	s_xor_b64 s[94:95], exec, s[94:95]
; %bb.5762:                             ;   in Loop: Header=BB12_5517 Depth=3
	v_bfe_u32 v13, v27, 16, 1
	v_add3_u32 v13, v27, v13, s46
                                        ; implicit-def: $vgpr27
; %bb.5763:                             ;   in Loop: Header=BB12_5517 Depth=3
	s_andn2_saveexec_b64 s[94:95], s[94:95]
	s_cbranch_execz .LBB12_5765
; %bb.5764:                             ;   in Loop: Header=BB12_5517 Depth=3
	buffer_load_dword v28, off, s[0:3], s33 offset:128 ; 4-byte Folded Reload
	buffer_load_dword v29, off, s[0:3], s33 offset:132 ; 4-byte Folded Reload
	v_or_b32_e32 v13, 0x10000, v27
	s_waitcnt vmcnt(1)
	v_cmp_eq_u32_sdwa vcc, v27, v28 src0_sel:WORD_0 src1_sel:DWORD
	v_cndmask_b32_e32 v13, v13, v27, vcc
.LBB12_5765:                            ;   in Loop: Header=BB12_5517 Depth=3
	s_or_b64 exec, exec, s[94:95]
	buffer_load_dword v27, off, s[0:3], s33 offset:200 ; 4-byte Folded Reload
	v_and_b32_e32 v11, 0xffff0000, v11
	s_waitcnt vmcnt(0)
	v_lshlrev_b32_e32 v27, 16, v27
	v_add_f32_e32 v27, v27, v11
	v_and_b32_e32 v11, 0x7f800000, v27
	v_cmp_ne_u32_e32 vcc, s97, v11
                                        ; implicit-def: $vgpr11
	s_and_saveexec_b64 s[94:95], vcc
	s_xor_b64 s[94:95], exec, s[94:95]
; %bb.5766:                             ;   in Loop: Header=BB12_5517 Depth=3
	v_bfe_u32 v11, v27, 16, 1
	v_add3_u32 v11, v27, v11, s46
                                        ; implicit-def: $vgpr27
; %bb.5767:                             ;   in Loop: Header=BB12_5517 Depth=3
	s_andn2_saveexec_b64 s[94:95], s[94:95]
	s_cbranch_execz .LBB12_5769
; %bb.5768:                             ;   in Loop: Header=BB12_5517 Depth=3
	buffer_load_dword v28, off, s[0:3], s33 offset:128 ; 4-byte Folded Reload
	buffer_load_dword v29, off, s[0:3], s33 offset:132 ; 4-byte Folded Reload
	v_or_b32_e32 v11, 0x10000, v27
	s_waitcnt vmcnt(1)
	v_cmp_eq_u32_sdwa vcc, v27, v28 src0_sel:WORD_0 src1_sel:DWORD
	v_cndmask_b32_e32 v11, v11, v27, vcc
.LBB12_5769:                            ;   in Loop: Header=BB12_5517 Depth=3
	s_or_b64 exec, exec, s[94:95]
	buffer_load_dword v27, off, s[0:3], s33 offset:184 ; 4-byte Folded Reload
	v_and_b32_e32 v9, 0xffff0000, v9
	s_waitcnt vmcnt(0)
	v_lshlrev_b32_e32 v27, 16, v27
	v_add_f32_e32 v27, v27, v9
	v_and_b32_e32 v9, 0x7f800000, v27
	v_cmp_ne_u32_e32 vcc, s97, v9
                                        ; implicit-def: $vgpr9
	s_and_saveexec_b64 s[94:95], vcc
	s_xor_b64 s[94:95], exec, s[94:95]
; %bb.5770:                             ;   in Loop: Header=BB12_5517 Depth=3
	v_bfe_u32 v9, v27, 16, 1
	v_add3_u32 v9, v27, v9, s46
                                        ; implicit-def: $vgpr27
; %bb.5771:                             ;   in Loop: Header=BB12_5517 Depth=3
	s_andn2_saveexec_b64 s[94:95], s[94:95]
	s_cbranch_execz .LBB12_5773
; %bb.5772:                             ;   in Loop: Header=BB12_5517 Depth=3
	buffer_load_dword v28, off, s[0:3], s33 offset:128 ; 4-byte Folded Reload
	buffer_load_dword v29, off, s[0:3], s33 offset:132 ; 4-byte Folded Reload
	v_or_b32_e32 v9, 0x10000, v27
	s_waitcnt vmcnt(1)
	v_cmp_eq_u32_sdwa vcc, v27, v28 src0_sel:WORD_0 src1_sel:DWORD
	v_cndmask_b32_e32 v9, v9, v27, vcc
.LBB12_5773:                            ;   in Loop: Header=BB12_5517 Depth=3
	s_or_b64 exec, exec, s[94:95]
	buffer_load_dword v27, off, s[0:3], s33 offset:168 ; 4-byte Folded Reload
	v_and_b32_e32 v6, 0xffff0000, v6
	s_waitcnt vmcnt(0)
	v_lshlrev_b32_e32 v27, 16, v27
	v_add_f32_e32 v27, v27, v6
	v_and_b32_e32 v6, 0x7f800000, v27
	v_cmp_ne_u32_e32 vcc, s97, v6
                                        ; implicit-def: $vgpr6
	s_and_saveexec_b64 s[94:95], vcc
	s_xor_b64 s[94:95], exec, s[94:95]
; %bb.5774:                             ;   in Loop: Header=BB12_5517 Depth=3
	v_bfe_u32 v6, v27, 16, 1
	v_add3_u32 v6, v27, v6, s46
                                        ; implicit-def: $vgpr27
; %bb.5775:                             ;   in Loop: Header=BB12_5517 Depth=3
	s_andn2_saveexec_b64 s[94:95], s[94:95]
	s_cbranch_execz .LBB12_5516
; %bb.5776:                             ;   in Loop: Header=BB12_5517 Depth=3
	buffer_load_dword v28, off, s[0:3], s33 offset:128 ; 4-byte Folded Reload
	buffer_load_dword v29, off, s[0:3], s33 offset:132 ; 4-byte Folded Reload
	v_or_b32_e32 v6, 0x10000, v27
	s_waitcnt vmcnt(1)
	v_cmp_eq_u32_sdwa vcc, v27, v28 src0_sel:WORD_0 src1_sel:DWORD
	v_cndmask_b32_e32 v6, v6, v27, vcc
	s_branch .LBB12_5516
.LBB12_5777:                            ;   in Loop: Header=BB12_2997 Depth=2
	s_or_b64 exec, exec, s[90:91]
	buffer_load_dword v2, off, s[0:3], s33 offset:240 ; 4-byte Folded Reload
	v_lshlrev_b32_e32 v34, 16, v14
	v_lshlrev_b32_e32 v33, 16, v12
	;; [unrolled: 1-line block ×16, first 2 shown]
	s_and_b64 s[42:43], s[42:43], exec
	s_waitcnt vmcnt(0)
	v_lshlrev_b32_e32 v18, 16, v2
	buffer_load_dword v2, off, s[0:3], s33 offset:284 ; 4-byte Folded Reload
	s_waitcnt vmcnt(0)
	v_lshlrev_b32_e32 v17, 16, v2
	buffer_load_dword v2, off, s[0:3], s33 offset:300 ; 4-byte Folded Reload
	;; [unrolled: 3-line block ×15, first 2 shown]
	s_waitcnt vmcnt(0)
	v_lshlrev_b32_e32 v2, 16, v2
.LBB12_5778:                            ;   in Loop: Header=BB12_2997 Depth=2
	s_or_b64 exec, exec, s[28:29]
	s_and_saveexec_b64 s[28:29], s[42:43]
	s_cbranch_execz .LBB12_5908
; %bb.5779:                             ;   in Loop: Header=BB12_2997 Depth=2
	s_trap 2
	ds_read_b32 v35, v0
	s_waitcnt lgkmcnt(0)
	v_lshlrev_b32_e32 v37, 16, v35
	v_mul_f32_e32 v34, v34, v37
	v_and_b32_e32 v35, 0x7f800000, v34
	v_cmp_ne_u32_e32 vcc, s97, v35
                                        ; implicit-def: $vgpr35
	s_and_saveexec_b64 s[42:43], vcc
	s_xor_b64 s[42:43], exec, s[42:43]
; %bb.5780:                             ;   in Loop: Header=BB12_2997 Depth=2
	v_bfe_u32 v35, v34, 16, 1
	v_add3_u32 v35, v34, v35, s46
                                        ; implicit-def: $vgpr34
; %bb.5781:                             ;   in Loop: Header=BB12_2997 Depth=2
	s_andn2_saveexec_b64 s[42:43], s[42:43]
	s_cbranch_execz .LBB12_5783
; %bb.5782:                             ;   in Loop: Header=BB12_2997 Depth=2
	buffer_load_dword v38, off, s[0:3], s33 offset:128 ; 4-byte Folded Reload
	buffer_load_dword v39, off, s[0:3], s33 offset:132 ; 4-byte Folded Reload
	v_or_b32_e32 v35, 0x10000, v34
	s_waitcnt vmcnt(1)
	v_cmp_eq_u32_sdwa vcc, v34, v38 src0_sel:WORD_0 src1_sel:DWORD
	v_cndmask_b32_e32 v35, v35, v34, vcc
.LBB12_5783:                            ;   in Loop: Header=BB12_2997 Depth=2
	s_or_b64 exec, exec, s[42:43]
	v_mul_f32_e32 v33, v33, v37
	v_and_b32_e32 v34, 0x7f800000, v33
	v_cmp_ne_u32_e32 vcc, s97, v34
                                        ; implicit-def: $vgpr36
	s_and_saveexec_b64 s[42:43], vcc
	s_xor_b64 s[42:43], exec, s[42:43]
; %bb.5784:                             ;   in Loop: Header=BB12_2997 Depth=2
	v_bfe_u32 v34, v33, 16, 1
	v_add3_u32 v36, v33, v34, s46
                                        ; implicit-def: $vgpr33
; %bb.5785:                             ;   in Loop: Header=BB12_2997 Depth=2
	s_andn2_saveexec_b64 s[42:43], s[42:43]
	s_cbranch_execz .LBB12_5787
; %bb.5786:                             ;   in Loop: Header=BB12_2997 Depth=2
	buffer_load_dword v38, off, s[0:3], s33 offset:128 ; 4-byte Folded Reload
	buffer_load_dword v39, off, s[0:3], s33 offset:132 ; 4-byte Folded Reload
	v_or_b32_e32 v34, 0x10000, v33
	s_waitcnt vmcnt(1)
	v_cmp_eq_u32_sdwa vcc, v33, v38 src0_sel:WORD_0 src1_sel:DWORD
	v_cndmask_b32_e32 v36, v34, v33, vcc
.LBB12_5787:                            ;   in Loop: Header=BB12_2997 Depth=2
	s_or_b64 exec, exec, s[42:43]
	v_mul_f32_e32 v32, v32, v37
	v_and_b32_e32 v33, 0x7f800000, v32
	v_cmp_ne_u32_e32 vcc, s97, v33
                                        ; implicit-def: $vgpr34
	s_and_saveexec_b64 s[42:43], vcc
	s_xor_b64 s[42:43], exec, s[42:43]
; %bb.5788:                             ;   in Loop: Header=BB12_2997 Depth=2
	v_bfe_u32 v33, v32, 16, 1
	v_add3_u32 v34, v32, v33, s46
                                        ; implicit-def: $vgpr32
; %bb.5789:                             ;   in Loop: Header=BB12_2997 Depth=2
	s_andn2_saveexec_b64 s[42:43], s[42:43]
	s_cbranch_execz .LBB12_5791
; %bb.5790:                             ;   in Loop: Header=BB12_2997 Depth=2
	buffer_load_dword v38, off, s[0:3], s33 offset:128 ; 4-byte Folded Reload
	buffer_load_dword v39, off, s[0:3], s33 offset:132 ; 4-byte Folded Reload
	v_or_b32_e32 v33, 0x10000, v32
	s_waitcnt vmcnt(1)
	v_cmp_eq_u32_sdwa vcc, v32, v38 src0_sel:WORD_0 src1_sel:DWORD
	v_cndmask_b32_e32 v34, v33, v32, vcc
.LBB12_5791:                            ;   in Loop: Header=BB12_2997 Depth=2
	s_or_b64 exec, exec, s[42:43]
	v_mul_f32_e32 v31, v31, v37
	v_and_b32_e32 v32, 0x7f800000, v31
	v_cmp_ne_u32_e32 vcc, s97, v32
                                        ; implicit-def: $vgpr33
	s_and_saveexec_b64 s[42:43], vcc
	s_xor_b64 s[42:43], exec, s[42:43]
; %bb.5792:                             ;   in Loop: Header=BB12_2997 Depth=2
	v_bfe_u32 v32, v31, 16, 1
	v_add3_u32 v33, v31, v32, s46
                                        ; implicit-def: $vgpr31
; %bb.5793:                             ;   in Loop: Header=BB12_2997 Depth=2
	s_andn2_saveexec_b64 s[42:43], s[42:43]
	s_cbranch_execz .LBB12_5795
; %bb.5794:                             ;   in Loop: Header=BB12_2997 Depth=2
	buffer_load_dword v38, off, s[0:3], s33 offset:128 ; 4-byte Folded Reload
	buffer_load_dword v39, off, s[0:3], s33 offset:132 ; 4-byte Folded Reload
	v_or_b32_e32 v32, 0x10000, v31
	s_waitcnt vmcnt(1)
	v_cmp_eq_u32_sdwa vcc, v31, v38 src0_sel:WORD_0 src1_sel:DWORD
	v_cndmask_b32_e32 v33, v32, v31, vcc
.LBB12_5795:                            ;   in Loop: Header=BB12_2997 Depth=2
	s_or_b64 exec, exec, s[42:43]
	v_mul_f32_e32 v30, v30, v37
	v_and_b32_e32 v31, 0x7f800000, v30
	v_cmp_ne_u32_e32 vcc, s97, v31
                                        ; implicit-def: $vgpr32
	s_and_saveexec_b64 s[42:43], vcc
	s_xor_b64 s[42:43], exec, s[42:43]
; %bb.5796:                             ;   in Loop: Header=BB12_2997 Depth=2
	v_bfe_u32 v31, v30, 16, 1
	v_add3_u32 v32, v30, v31, s46
                                        ; implicit-def: $vgpr30
; %bb.5797:                             ;   in Loop: Header=BB12_2997 Depth=2
	s_andn2_saveexec_b64 s[42:43], s[42:43]
	s_cbranch_execz .LBB12_5799
; %bb.5798:                             ;   in Loop: Header=BB12_2997 Depth=2
	buffer_load_dword v38, off, s[0:3], s33 offset:128 ; 4-byte Folded Reload
	buffer_load_dword v39, off, s[0:3], s33 offset:132 ; 4-byte Folded Reload
	v_or_b32_e32 v31, 0x10000, v30
	s_waitcnt vmcnt(1)
	v_cmp_eq_u32_sdwa vcc, v30, v38 src0_sel:WORD_0 src1_sel:DWORD
	v_cndmask_b32_e32 v32, v31, v30, vcc
.LBB12_5799:                            ;   in Loop: Header=BB12_2997 Depth=2
	s_or_b64 exec, exec, s[42:43]
	v_mul_f32_e32 v29, v29, v37
	v_and_b32_e32 v30, 0x7f800000, v29
	v_cmp_ne_u32_e32 vcc, s97, v30
                                        ; implicit-def: $vgpr31
	s_and_saveexec_b64 s[42:43], vcc
	s_xor_b64 s[42:43], exec, s[42:43]
; %bb.5800:                             ;   in Loop: Header=BB12_2997 Depth=2
	v_bfe_u32 v30, v29, 16, 1
	v_add3_u32 v31, v29, v30, s46
                                        ; implicit-def: $vgpr29
; %bb.5801:                             ;   in Loop: Header=BB12_2997 Depth=2
	s_andn2_saveexec_b64 s[42:43], s[42:43]
	s_cbranch_execz .LBB12_5803
; %bb.5802:                             ;   in Loop: Header=BB12_2997 Depth=2
	buffer_load_dword v38, off, s[0:3], s33 offset:128 ; 4-byte Folded Reload
	buffer_load_dword v39, off, s[0:3], s33 offset:132 ; 4-byte Folded Reload
	v_or_b32_e32 v30, 0x10000, v29
	s_waitcnt vmcnt(1)
	v_cmp_eq_u32_sdwa vcc, v29, v38 src0_sel:WORD_0 src1_sel:DWORD
	v_cndmask_b32_e32 v31, v30, v29, vcc
.LBB12_5803:                            ;   in Loop: Header=BB12_2997 Depth=2
	s_or_b64 exec, exec, s[42:43]
	v_mul_f32_e32 v28, v28, v37
	v_and_b32_e32 v29, 0x7f800000, v28
	v_cmp_ne_u32_e32 vcc, s97, v29
                                        ; implicit-def: $vgpr30
	s_and_saveexec_b64 s[42:43], vcc
	s_xor_b64 s[42:43], exec, s[42:43]
; %bb.5804:                             ;   in Loop: Header=BB12_2997 Depth=2
	v_bfe_u32 v29, v28, 16, 1
	v_add3_u32 v30, v28, v29, s46
                                        ; implicit-def: $vgpr28
; %bb.5805:                             ;   in Loop: Header=BB12_2997 Depth=2
	s_andn2_saveexec_b64 s[42:43], s[42:43]
	s_cbranch_execz .LBB12_5807
; %bb.5806:                             ;   in Loop: Header=BB12_2997 Depth=2
	buffer_load_dword v38, off, s[0:3], s33 offset:128 ; 4-byte Folded Reload
	buffer_load_dword v39, off, s[0:3], s33 offset:132 ; 4-byte Folded Reload
	v_or_b32_e32 v29, 0x10000, v28
	s_waitcnt vmcnt(1)
	v_cmp_eq_u32_sdwa vcc, v28, v38 src0_sel:WORD_0 src1_sel:DWORD
	v_cndmask_b32_e32 v30, v29, v28, vcc
.LBB12_5807:                            ;   in Loop: Header=BB12_2997 Depth=2
	s_or_b64 exec, exec, s[42:43]
	v_mul_f32_e32 v25, v25, v37
	v_and_b32_e32 v28, 0x7f800000, v25
	v_cmp_ne_u32_e32 vcc, s97, v28
                                        ; implicit-def: $vgpr29
	s_and_saveexec_b64 s[42:43], vcc
	s_xor_b64 s[42:43], exec, s[42:43]
; %bb.5808:                             ;   in Loop: Header=BB12_2997 Depth=2
	v_bfe_u32 v28, v25, 16, 1
	v_add3_u32 v29, v25, v28, s46
                                        ; implicit-def: $vgpr25
; %bb.5809:                             ;   in Loop: Header=BB12_2997 Depth=2
	s_andn2_saveexec_b64 s[42:43], s[42:43]
	s_cbranch_execz .LBB12_5811
; %bb.5810:                             ;   in Loop: Header=BB12_2997 Depth=2
	buffer_load_dword v38, off, s[0:3], s33 offset:128 ; 4-byte Folded Reload
	buffer_load_dword v39, off, s[0:3], s33 offset:132 ; 4-byte Folded Reload
	v_or_b32_e32 v28, 0x10000, v25
	s_waitcnt vmcnt(1)
	v_cmp_eq_u32_sdwa vcc, v25, v38 src0_sel:WORD_0 src1_sel:DWORD
	v_cndmask_b32_e32 v29, v28, v25, vcc
.LBB12_5811:                            ;   in Loop: Header=BB12_2997 Depth=2
	s_or_b64 exec, exec, s[42:43]
	v_mul_f32_e32 v24, v24, v37
	v_and_b32_e32 v25, 0x7f800000, v24
	v_cmp_ne_u32_e32 vcc, s97, v25
                                        ; implicit-def: $vgpr28
	s_and_saveexec_b64 s[42:43], vcc
	s_xor_b64 s[42:43], exec, s[42:43]
; %bb.5812:                             ;   in Loop: Header=BB12_2997 Depth=2
	v_bfe_u32 v25, v24, 16, 1
	v_add3_u32 v28, v24, v25, s46
                                        ; implicit-def: $vgpr24
; %bb.5813:                             ;   in Loop: Header=BB12_2997 Depth=2
	s_andn2_saveexec_b64 s[42:43], s[42:43]
	s_cbranch_execz .LBB12_5815
; %bb.5814:                             ;   in Loop: Header=BB12_2997 Depth=2
	buffer_load_dword v38, off, s[0:3], s33 offset:128 ; 4-byte Folded Reload
	buffer_load_dword v39, off, s[0:3], s33 offset:132 ; 4-byte Folded Reload
	v_or_b32_e32 v25, 0x10000, v24
	s_waitcnt vmcnt(1)
	v_cmp_eq_u32_sdwa vcc, v24, v38 src0_sel:WORD_0 src1_sel:DWORD
	v_cndmask_b32_e32 v28, v25, v24, vcc
.LBB12_5815:                            ;   in Loop: Header=BB12_2997 Depth=2
	s_or_b64 exec, exec, s[42:43]
	v_mul_f32_e32 v23, v23, v37
	v_and_b32_e32 v24, 0x7f800000, v23
	v_cmp_ne_u32_e32 vcc, s97, v24
                                        ; implicit-def: $vgpr25
	s_and_saveexec_b64 s[42:43], vcc
	s_xor_b64 s[42:43], exec, s[42:43]
; %bb.5816:                             ;   in Loop: Header=BB12_2997 Depth=2
	v_bfe_u32 v24, v23, 16, 1
	v_add3_u32 v25, v23, v24, s46
                                        ; implicit-def: $vgpr23
; %bb.5817:                             ;   in Loop: Header=BB12_2997 Depth=2
	s_andn2_saveexec_b64 s[42:43], s[42:43]
	s_cbranch_execz .LBB12_5819
; %bb.5818:                             ;   in Loop: Header=BB12_2997 Depth=2
	buffer_load_dword v38, off, s[0:3], s33 offset:128 ; 4-byte Folded Reload
	buffer_load_dword v39, off, s[0:3], s33 offset:132 ; 4-byte Folded Reload
	v_or_b32_e32 v24, 0x10000, v23
	s_waitcnt vmcnt(1)
	v_cmp_eq_u32_sdwa vcc, v23, v38 src0_sel:WORD_0 src1_sel:DWORD
	v_cndmask_b32_e32 v25, v24, v23, vcc
.LBB12_5819:                            ;   in Loop: Header=BB12_2997 Depth=2
	s_or_b64 exec, exec, s[42:43]
	v_mul_f32_e32 v22, v22, v37
	v_and_b32_e32 v23, 0x7f800000, v22
	v_cmp_ne_u32_e32 vcc, s97, v23
                                        ; implicit-def: $vgpr24
	s_and_saveexec_b64 s[42:43], vcc
	s_xor_b64 s[42:43], exec, s[42:43]
; %bb.5820:                             ;   in Loop: Header=BB12_2997 Depth=2
	v_bfe_u32 v23, v22, 16, 1
	v_add3_u32 v24, v22, v23, s46
                                        ; implicit-def: $vgpr22
; %bb.5821:                             ;   in Loop: Header=BB12_2997 Depth=2
	s_andn2_saveexec_b64 s[42:43], s[42:43]
	s_cbranch_execz .LBB12_5823
; %bb.5822:                             ;   in Loop: Header=BB12_2997 Depth=2
	buffer_load_dword v38, off, s[0:3], s33 offset:128 ; 4-byte Folded Reload
	buffer_load_dword v39, off, s[0:3], s33 offset:132 ; 4-byte Folded Reload
	v_or_b32_e32 v23, 0x10000, v22
	s_waitcnt vmcnt(1)
	v_cmp_eq_u32_sdwa vcc, v22, v38 src0_sel:WORD_0 src1_sel:DWORD
	v_cndmask_b32_e32 v24, v23, v22, vcc
.LBB12_5823:                            ;   in Loop: Header=BB12_2997 Depth=2
	s_or_b64 exec, exec, s[42:43]
	v_mul_f32_e32 v21, v21, v37
	v_and_b32_e32 v22, 0x7f800000, v21
	v_cmp_ne_u32_e32 vcc, s97, v22
                                        ; implicit-def: $vgpr23
	s_and_saveexec_b64 s[42:43], vcc
	s_xor_b64 s[42:43], exec, s[42:43]
; %bb.5824:                             ;   in Loop: Header=BB12_2997 Depth=2
	v_bfe_u32 v22, v21, 16, 1
	v_add3_u32 v23, v21, v22, s46
                                        ; implicit-def: $vgpr21
; %bb.5825:                             ;   in Loop: Header=BB12_2997 Depth=2
	s_andn2_saveexec_b64 s[42:43], s[42:43]
	s_cbranch_execz .LBB12_5827
; %bb.5826:                             ;   in Loop: Header=BB12_2997 Depth=2
	buffer_load_dword v38, off, s[0:3], s33 offset:128 ; 4-byte Folded Reload
	buffer_load_dword v39, off, s[0:3], s33 offset:132 ; 4-byte Folded Reload
	v_or_b32_e32 v22, 0x10000, v21
	s_waitcnt vmcnt(1)
	v_cmp_eq_u32_sdwa vcc, v21, v38 src0_sel:WORD_0 src1_sel:DWORD
	v_cndmask_b32_e32 v23, v22, v21, vcc
.LBB12_5827:                            ;   in Loop: Header=BB12_2997 Depth=2
	s_or_b64 exec, exec, s[42:43]
	v_mul_f32_e32 v20, v20, v37
	v_and_b32_e32 v21, 0x7f800000, v20
	v_cmp_ne_u32_e32 vcc, s97, v21
                                        ; implicit-def: $vgpr22
	s_and_saveexec_b64 s[42:43], vcc
	s_xor_b64 s[42:43], exec, s[42:43]
; %bb.5828:                             ;   in Loop: Header=BB12_2997 Depth=2
	v_bfe_u32 v21, v20, 16, 1
	v_add3_u32 v22, v20, v21, s46
                                        ; implicit-def: $vgpr20
; %bb.5829:                             ;   in Loop: Header=BB12_2997 Depth=2
	s_andn2_saveexec_b64 s[42:43], s[42:43]
	s_cbranch_execz .LBB12_5831
; %bb.5830:                             ;   in Loop: Header=BB12_2997 Depth=2
	buffer_load_dword v38, off, s[0:3], s33 offset:128 ; 4-byte Folded Reload
	buffer_load_dword v39, off, s[0:3], s33 offset:132 ; 4-byte Folded Reload
	v_or_b32_e32 v21, 0x10000, v20
	s_waitcnt vmcnt(1)
	v_cmp_eq_u32_sdwa vcc, v20, v38 src0_sel:WORD_0 src1_sel:DWORD
	v_cndmask_b32_e32 v22, v21, v20, vcc
.LBB12_5831:                            ;   in Loop: Header=BB12_2997 Depth=2
	s_or_b64 exec, exec, s[42:43]
	v_mul_f32_e32 v20, v27, v37
	v_and_b32_e32 v21, 0x7f800000, v20
	v_cmp_ne_u32_e32 vcc, s97, v21
                                        ; implicit-def: $vgpr21
	s_and_saveexec_b64 s[42:43], vcc
	s_xor_b64 s[42:43], exec, s[42:43]
; %bb.5832:                             ;   in Loop: Header=BB12_2997 Depth=2
	v_bfe_u32 v21, v20, 16, 1
	v_add3_u32 v21, v20, v21, s46
                                        ; implicit-def: $vgpr20
; %bb.5833:                             ;   in Loop: Header=BB12_2997 Depth=2
	s_andn2_saveexec_b64 s[42:43], s[42:43]
	s_cbranch_execz .LBB12_5835
; %bb.5834:                             ;   in Loop: Header=BB12_2997 Depth=2
	buffer_load_dword v38, off, s[0:3], s33 offset:128 ; 4-byte Folded Reload
	buffer_load_dword v39, off, s[0:3], s33 offset:132 ; 4-byte Folded Reload
	v_or_b32_e32 v21, 0x10000, v20
	s_waitcnt vmcnt(1)
	v_cmp_eq_u32_sdwa vcc, v20, v38 src0_sel:WORD_0 src1_sel:DWORD
	v_cndmask_b32_e32 v21, v21, v20, vcc
.LBB12_5835:                            ;   in Loop: Header=BB12_2997 Depth=2
	s_or_b64 exec, exec, s[42:43]
	v_mul_f32_e32 v26, v26, v37
	v_and_b32_e32 v20, 0x7f800000, v26
	v_cmp_ne_u32_e32 vcc, s97, v20
                                        ; implicit-def: $vgpr20
	s_and_saveexec_b64 s[42:43], vcc
	s_xor_b64 s[42:43], exec, s[42:43]
; %bb.5836:                             ;   in Loop: Header=BB12_2997 Depth=2
	v_bfe_u32 v20, v26, 16, 1
	v_add3_u32 v20, v26, v20, s46
                                        ; implicit-def: $vgpr26
; %bb.5837:                             ;   in Loop: Header=BB12_2997 Depth=2
	s_andn2_saveexec_b64 s[42:43], s[42:43]
	s_cbranch_execz .LBB12_5839
; %bb.5838:                             ;   in Loop: Header=BB12_2997 Depth=2
	buffer_load_dword v38, off, s[0:3], s33 offset:128 ; 4-byte Folded Reload
	buffer_load_dword v39, off, s[0:3], s33 offset:132 ; 4-byte Folded Reload
	v_or_b32_e32 v20, 0x10000, v26
	s_waitcnt vmcnt(1)
	v_cmp_eq_u32_sdwa vcc, v26, v38 src0_sel:WORD_0 src1_sel:DWORD
	v_cndmask_b32_e32 v20, v20, v26, vcc
.LBB12_5839:                            ;   in Loop: Header=BB12_2997 Depth=2
	s_or_b64 exec, exec, s[42:43]
	v_mul_f32_e32 v26, v19, v37
	v_and_b32_e32 v19, 0x7f800000, v26
	v_cmp_ne_u32_e32 vcc, s97, v19
                                        ; implicit-def: $vgpr19
	s_and_saveexec_b64 s[42:43], vcc
	s_xor_b64 s[42:43], exec, s[42:43]
; %bb.5840:                             ;   in Loop: Header=BB12_2997 Depth=2
	v_bfe_u32 v19, v26, 16, 1
	v_add3_u32 v19, v26, v19, s46
                                        ; implicit-def: $vgpr26
; %bb.5841:                             ;   in Loop: Header=BB12_2997 Depth=2
	s_andn2_saveexec_b64 s[42:43], s[42:43]
	s_cbranch_execz .LBB12_5843
; %bb.5842:                             ;   in Loop: Header=BB12_2997 Depth=2
	buffer_load_dword v37, off, s[0:3], s33 offset:128 ; 4-byte Folded Reload
	buffer_load_dword v38, off, s[0:3], s33 offset:132 ; 4-byte Folded Reload
	v_or_b32_e32 v19, 0x10000, v26
	s_waitcnt vmcnt(1)
	v_cmp_eq_u32_sdwa vcc, v26, v37 src0_sel:WORD_0 src1_sel:DWORD
	v_cndmask_b32_e32 v19, v19, v26, vcc
.LBB12_5843:                            ;   in Loop: Header=BB12_2997 Depth=2
	s_or_b64 exec, exec, s[42:43]
	v_and_b32_e32 v26, 0xffff0000, v35
	v_add_f32_e32 v26, v18, v26
	v_and_b32_e32 v18, 0x7f800000, v26
	v_cmp_ne_u32_e32 vcc, s97, v18
                                        ; implicit-def: $vgpr18
	s_and_saveexec_b64 s[42:43], vcc
	s_xor_b64 s[42:43], exec, s[42:43]
; %bb.5844:                             ;   in Loop: Header=BB12_2997 Depth=2
	v_bfe_u32 v18, v26, 16, 1
	v_add3_u32 v18, v26, v18, s46
                                        ; implicit-def: $vgpr26
; %bb.5845:                             ;   in Loop: Header=BB12_2997 Depth=2
	s_andn2_saveexec_b64 s[42:43], s[42:43]
	s_cbranch_execz .LBB12_5847
; %bb.5846:                             ;   in Loop: Header=BB12_2997 Depth=2
	buffer_load_dword v37, off, s[0:3], s33 offset:128 ; 4-byte Folded Reload
	buffer_load_dword v38, off, s[0:3], s33 offset:132 ; 4-byte Folded Reload
	v_or_b32_e32 v18, 0x10000, v26
	s_waitcnt vmcnt(1)
	v_cmp_eq_u32_sdwa vcc, v26, v37 src0_sel:WORD_0 src1_sel:DWORD
	v_cndmask_b32_e32 v18, v18, v26, vcc
.LBB12_5847:                            ;   in Loop: Header=BB12_2997 Depth=2
	s_or_b64 exec, exec, s[42:43]
	v_and_b32_e32 v26, 0xffff0000, v36
	v_add_f32_e32 v26, v17, v26
	v_and_b32_e32 v17, 0x7f800000, v26
	v_cmp_ne_u32_e32 vcc, s97, v17
                                        ; implicit-def: $vgpr17
	s_and_saveexec_b64 s[42:43], vcc
	s_xor_b64 s[42:43], exec, s[42:43]
; %bb.5848:                             ;   in Loop: Header=BB12_2997 Depth=2
	v_bfe_u32 v17, v26, 16, 1
	v_add3_u32 v17, v26, v17, s46
                                        ; implicit-def: $vgpr26
; %bb.5849:                             ;   in Loop: Header=BB12_2997 Depth=2
	s_andn2_saveexec_b64 s[42:43], s[42:43]
	s_cbranch_execz .LBB12_5851
; %bb.5850:                             ;   in Loop: Header=BB12_2997 Depth=2
	buffer_load_dword v35, off, s[0:3], s33 offset:128 ; 4-byte Folded Reload
	buffer_load_dword v36, off, s[0:3], s33 offset:132 ; 4-byte Folded Reload
	v_or_b32_e32 v17, 0x10000, v26
	s_waitcnt vmcnt(1)
	v_cmp_eq_u32_sdwa vcc, v26, v35 src0_sel:WORD_0 src1_sel:DWORD
	v_cndmask_b32_e32 v17, v17, v26, vcc
.LBB12_5851:                            ;   in Loop: Header=BB12_2997 Depth=2
	s_or_b64 exec, exec, s[42:43]
	v_and_b32_e32 v26, 0xffff0000, v34
	v_add_f32_e32 v26, v16, v26
	v_and_b32_e32 v16, 0x7f800000, v26
	v_cmp_ne_u32_e32 vcc, s97, v16
                                        ; implicit-def: $vgpr16
	s_and_saveexec_b64 s[42:43], vcc
	s_xor_b64 s[42:43], exec, s[42:43]
; %bb.5852:                             ;   in Loop: Header=BB12_2997 Depth=2
	v_bfe_u32 v16, v26, 16, 1
	v_add3_u32 v16, v26, v16, s46
                                        ; implicit-def: $vgpr26
; %bb.5853:                             ;   in Loop: Header=BB12_2997 Depth=2
	s_andn2_saveexec_b64 s[42:43], s[42:43]
	s_cbranch_execz .LBB12_5855
; %bb.5854:                             ;   in Loop: Header=BB12_2997 Depth=2
	buffer_load_dword v34, off, s[0:3], s33 offset:128 ; 4-byte Folded Reload
	buffer_load_dword v35, off, s[0:3], s33 offset:132 ; 4-byte Folded Reload
	v_or_b32_e32 v16, 0x10000, v26
	s_waitcnt vmcnt(1)
	v_cmp_eq_u32_sdwa vcc, v26, v34 src0_sel:WORD_0 src1_sel:DWORD
	v_cndmask_b32_e32 v16, v16, v26, vcc
.LBB12_5855:                            ;   in Loop: Header=BB12_2997 Depth=2
	s_or_b64 exec, exec, s[42:43]
	v_and_b32_e32 v26, 0xffff0000, v33
	v_add_f32_e32 v26, v14, v26
	v_and_b32_e32 v14, 0x7f800000, v26
	v_cmp_ne_u32_e32 vcc, s97, v14
                                        ; implicit-def: $vgpr14
	s_and_saveexec_b64 s[42:43], vcc
	s_xor_b64 s[42:43], exec, s[42:43]
; %bb.5856:                             ;   in Loop: Header=BB12_2997 Depth=2
	v_bfe_u32 v14, v26, 16, 1
	v_add3_u32 v14, v26, v14, s46
                                        ; implicit-def: $vgpr26
; %bb.5857:                             ;   in Loop: Header=BB12_2997 Depth=2
	s_andn2_saveexec_b64 s[42:43], s[42:43]
	s_cbranch_execz .LBB12_5859
; %bb.5858:                             ;   in Loop: Header=BB12_2997 Depth=2
	buffer_load_dword v33, off, s[0:3], s33 offset:128 ; 4-byte Folded Reload
	buffer_load_dword v34, off, s[0:3], s33 offset:132 ; 4-byte Folded Reload
	v_or_b32_e32 v14, 0x10000, v26
	s_waitcnt vmcnt(1)
	v_cmp_eq_u32_sdwa vcc, v26, v33 src0_sel:WORD_0 src1_sel:DWORD
	v_cndmask_b32_e32 v14, v14, v26, vcc
.LBB12_5859:                            ;   in Loop: Header=BB12_2997 Depth=2
	s_or_b64 exec, exec, s[42:43]
	v_and_b32_e32 v26, 0xffff0000, v32
	v_add_f32_e32 v26, v13, v26
	v_and_b32_e32 v13, 0x7f800000, v26
	v_cmp_ne_u32_e32 vcc, s97, v13
                                        ; implicit-def: $vgpr13
	s_and_saveexec_b64 s[42:43], vcc
	s_xor_b64 s[42:43], exec, s[42:43]
; %bb.5860:                             ;   in Loop: Header=BB12_2997 Depth=2
	v_bfe_u32 v13, v26, 16, 1
	v_add3_u32 v13, v26, v13, s46
                                        ; implicit-def: $vgpr26
; %bb.5861:                             ;   in Loop: Header=BB12_2997 Depth=2
	s_andn2_saveexec_b64 s[42:43], s[42:43]
	s_cbranch_execz .LBB12_5863
; %bb.5862:                             ;   in Loop: Header=BB12_2997 Depth=2
	buffer_load_dword v32, off, s[0:3], s33 offset:128 ; 4-byte Folded Reload
	buffer_load_dword v33, off, s[0:3], s33 offset:132 ; 4-byte Folded Reload
	v_or_b32_e32 v13, 0x10000, v26
	s_waitcnt vmcnt(1)
	v_cmp_eq_u32_sdwa vcc, v26, v32 src0_sel:WORD_0 src1_sel:DWORD
	v_cndmask_b32_e32 v13, v13, v26, vcc
.LBB12_5863:                            ;   in Loop: Header=BB12_2997 Depth=2
	s_or_b64 exec, exec, s[42:43]
	v_and_b32_e32 v26, 0xffff0000, v31
	v_add_f32_e32 v26, v12, v26
	v_and_b32_e32 v12, 0x7f800000, v26
	v_cmp_ne_u32_e32 vcc, s97, v12
                                        ; implicit-def: $vgpr12
	s_and_saveexec_b64 s[42:43], vcc
	s_xor_b64 s[42:43], exec, s[42:43]
; %bb.5864:                             ;   in Loop: Header=BB12_2997 Depth=2
	v_bfe_u32 v12, v26, 16, 1
	v_add3_u32 v12, v26, v12, s46
                                        ; implicit-def: $vgpr26
; %bb.5865:                             ;   in Loop: Header=BB12_2997 Depth=2
	s_andn2_saveexec_b64 s[42:43], s[42:43]
	s_cbranch_execz .LBB12_5867
; %bb.5866:                             ;   in Loop: Header=BB12_2997 Depth=2
	buffer_load_dword v31, off, s[0:3], s33 offset:128 ; 4-byte Folded Reload
	buffer_load_dword v32, off, s[0:3], s33 offset:132 ; 4-byte Folded Reload
	v_or_b32_e32 v12, 0x10000, v26
	s_waitcnt vmcnt(1)
	v_cmp_eq_u32_sdwa vcc, v26, v31 src0_sel:WORD_0 src1_sel:DWORD
	v_cndmask_b32_e32 v12, v12, v26, vcc
.LBB12_5867:                            ;   in Loop: Header=BB12_2997 Depth=2
	s_or_b64 exec, exec, s[42:43]
	v_and_b32_e32 v26, 0xffff0000, v30
	v_add_f32_e32 v26, v11, v26
	v_and_b32_e32 v11, 0x7f800000, v26
	v_cmp_ne_u32_e32 vcc, s97, v11
                                        ; implicit-def: $vgpr11
	s_and_saveexec_b64 s[42:43], vcc
	s_xor_b64 s[42:43], exec, s[42:43]
; %bb.5868:                             ;   in Loop: Header=BB12_2997 Depth=2
	v_bfe_u32 v11, v26, 16, 1
	v_add3_u32 v11, v26, v11, s46
                                        ; implicit-def: $vgpr26
; %bb.5869:                             ;   in Loop: Header=BB12_2997 Depth=2
	s_andn2_saveexec_b64 s[42:43], s[42:43]
	s_cbranch_execz .LBB12_5871
; %bb.5870:                             ;   in Loop: Header=BB12_2997 Depth=2
	buffer_load_dword v30, off, s[0:3], s33 offset:128 ; 4-byte Folded Reload
	buffer_load_dword v31, off, s[0:3], s33 offset:132 ; 4-byte Folded Reload
	v_or_b32_e32 v11, 0x10000, v26
	s_waitcnt vmcnt(1)
	v_cmp_eq_u32_sdwa vcc, v26, v30 src0_sel:WORD_0 src1_sel:DWORD
	v_cndmask_b32_e32 v11, v11, v26, vcc
.LBB12_5871:                            ;   in Loop: Header=BB12_2997 Depth=2
	s_or_b64 exec, exec, s[42:43]
	v_and_b32_e32 v26, 0xffff0000, v29
	v_add_f32_e32 v26, v10, v26
	v_and_b32_e32 v10, 0x7f800000, v26
	v_cmp_ne_u32_e32 vcc, s97, v10
                                        ; implicit-def: $vgpr10
	s_and_saveexec_b64 s[42:43], vcc
	s_xor_b64 s[42:43], exec, s[42:43]
; %bb.5872:                             ;   in Loop: Header=BB12_2997 Depth=2
	v_bfe_u32 v10, v26, 16, 1
	v_add3_u32 v10, v26, v10, s46
                                        ; implicit-def: $vgpr26
; %bb.5873:                             ;   in Loop: Header=BB12_2997 Depth=2
	s_andn2_saveexec_b64 s[42:43], s[42:43]
	s_cbranch_execz .LBB12_5875
; %bb.5874:                             ;   in Loop: Header=BB12_2997 Depth=2
	buffer_load_dword v29, off, s[0:3], s33 offset:128 ; 4-byte Folded Reload
	buffer_load_dword v30, off, s[0:3], s33 offset:132 ; 4-byte Folded Reload
	v_or_b32_e32 v10, 0x10000, v26
	s_waitcnt vmcnt(1)
	v_cmp_eq_u32_sdwa vcc, v26, v29 src0_sel:WORD_0 src1_sel:DWORD
	v_cndmask_b32_e32 v10, v10, v26, vcc
.LBB12_5875:                            ;   in Loop: Header=BB12_2997 Depth=2
	s_or_b64 exec, exec, s[42:43]
	v_and_b32_e32 v26, 0xffff0000, v28
	v_add_f32_e32 v26, v9, v26
	v_and_b32_e32 v9, 0x7f800000, v26
	v_cmp_ne_u32_e32 vcc, s97, v9
                                        ; implicit-def: $vgpr9
	s_and_saveexec_b64 s[42:43], vcc
	s_xor_b64 s[42:43], exec, s[42:43]
; %bb.5876:                             ;   in Loop: Header=BB12_2997 Depth=2
	v_bfe_u32 v9, v26, 16, 1
	v_add3_u32 v9, v26, v9, s46
                                        ; implicit-def: $vgpr26
; %bb.5877:                             ;   in Loop: Header=BB12_2997 Depth=2
	s_andn2_saveexec_b64 s[42:43], s[42:43]
	s_cbranch_execz .LBB12_5879
; %bb.5878:                             ;   in Loop: Header=BB12_2997 Depth=2
	buffer_load_dword v27, off, s[0:3], s33 offset:128 ; 4-byte Folded Reload
	buffer_load_dword v28, off, s[0:3], s33 offset:132 ; 4-byte Folded Reload
	v_or_b32_e32 v9, 0x10000, v26
	s_waitcnt vmcnt(1)
	v_cmp_eq_u32_sdwa vcc, v26, v27 src0_sel:WORD_0 src1_sel:DWORD
	v_cndmask_b32_e32 v9, v9, v26, vcc
.LBB12_5879:                            ;   in Loop: Header=BB12_2997 Depth=2
	s_or_b64 exec, exec, s[42:43]
	v_and_b32_e32 v25, 0xffff0000, v25
	v_add_f32_e32 v25, v8, v25
	v_and_b32_e32 v8, 0x7f800000, v25
	v_cmp_ne_u32_e32 vcc, s97, v8
                                        ; implicit-def: $vgpr8
	s_and_saveexec_b64 s[42:43], vcc
	s_xor_b64 s[42:43], exec, s[42:43]
; %bb.5880:                             ;   in Loop: Header=BB12_2997 Depth=2
	v_bfe_u32 v8, v25, 16, 1
	v_add3_u32 v8, v25, v8, s46
                                        ; implicit-def: $vgpr25
; %bb.5881:                             ;   in Loop: Header=BB12_2997 Depth=2
	s_andn2_saveexec_b64 s[42:43], s[42:43]
	s_cbranch_execz .LBB12_5883
; %bb.5882:                             ;   in Loop: Header=BB12_2997 Depth=2
	buffer_load_dword v26, off, s[0:3], s33 offset:128 ; 4-byte Folded Reload
	buffer_load_dword v27, off, s[0:3], s33 offset:132 ; 4-byte Folded Reload
	v_or_b32_e32 v8, 0x10000, v25
	s_waitcnt vmcnt(1)
	v_cmp_eq_u32_sdwa vcc, v25, v26 src0_sel:WORD_0 src1_sel:DWORD
	v_cndmask_b32_e32 v8, v8, v25, vcc
.LBB12_5883:                            ;   in Loop: Header=BB12_2997 Depth=2
	s_or_b64 exec, exec, s[42:43]
	v_and_b32_e32 v24, 0xffff0000, v24
	v_add_f32_e32 v24, v7, v24
	v_and_b32_e32 v7, 0x7f800000, v24
	v_cmp_ne_u32_e32 vcc, s97, v7
                                        ; implicit-def: $vgpr7
	s_and_saveexec_b64 s[42:43], vcc
	s_xor_b64 s[42:43], exec, s[42:43]
; %bb.5884:                             ;   in Loop: Header=BB12_2997 Depth=2
	v_bfe_u32 v7, v24, 16, 1
	v_add3_u32 v7, v24, v7, s46
                                        ; implicit-def: $vgpr24
; %bb.5885:                             ;   in Loop: Header=BB12_2997 Depth=2
	s_andn2_saveexec_b64 s[42:43], s[42:43]
	s_cbranch_execz .LBB12_5887
; %bb.5886:                             ;   in Loop: Header=BB12_2997 Depth=2
	buffer_load_dword v25, off, s[0:3], s33 offset:128 ; 4-byte Folded Reload
	buffer_load_dword v26, off, s[0:3], s33 offset:132 ; 4-byte Folded Reload
	v_or_b32_e32 v7, 0x10000, v24
	s_waitcnt vmcnt(1)
	v_cmp_eq_u32_sdwa vcc, v24, v25 src0_sel:WORD_0 src1_sel:DWORD
	v_cndmask_b32_e32 v7, v7, v24, vcc
.LBB12_5887:                            ;   in Loop: Header=BB12_2997 Depth=2
	s_or_b64 exec, exec, s[42:43]
	v_and_b32_e32 v23, 0xffff0000, v23
	v_add_f32_e32 v23, v6, v23
	v_and_b32_e32 v6, 0x7f800000, v23
	v_cmp_ne_u32_e32 vcc, s97, v6
                                        ; implicit-def: $vgpr6
	s_and_saveexec_b64 s[42:43], vcc
	s_xor_b64 s[42:43], exec, s[42:43]
; %bb.5888:                             ;   in Loop: Header=BB12_2997 Depth=2
	v_bfe_u32 v6, v23, 16, 1
	v_add3_u32 v6, v23, v6, s46
                                        ; implicit-def: $vgpr23
; %bb.5889:                             ;   in Loop: Header=BB12_2997 Depth=2
	s_andn2_saveexec_b64 s[42:43], s[42:43]
	s_cbranch_execz .LBB12_5891
; %bb.5890:                             ;   in Loop: Header=BB12_2997 Depth=2
	buffer_load_dword v24, off, s[0:3], s33 offset:128 ; 4-byte Folded Reload
	buffer_load_dword v25, off, s[0:3], s33 offset:132 ; 4-byte Folded Reload
	v_or_b32_e32 v6, 0x10000, v23
	s_waitcnt vmcnt(1)
	v_cmp_eq_u32_sdwa vcc, v23, v24 src0_sel:WORD_0 src1_sel:DWORD
	v_cndmask_b32_e32 v6, v6, v23, vcc
.LBB12_5891:                            ;   in Loop: Header=BB12_2997 Depth=2
	s_or_b64 exec, exec, s[42:43]
	v_and_b32_e32 v22, 0xffff0000, v22
	v_add_f32_e32 v22, v5, v22
	v_and_b32_e32 v5, 0x7f800000, v22
	v_cmp_ne_u32_e32 vcc, s97, v5
                                        ; implicit-def: $vgpr5
	s_and_saveexec_b64 s[42:43], vcc
	s_xor_b64 s[42:43], exec, s[42:43]
; %bb.5892:                             ;   in Loop: Header=BB12_2997 Depth=2
	v_bfe_u32 v5, v22, 16, 1
	v_add3_u32 v5, v22, v5, s46
                                        ; implicit-def: $vgpr22
; %bb.5893:                             ;   in Loop: Header=BB12_2997 Depth=2
	s_andn2_saveexec_b64 s[42:43], s[42:43]
	s_cbranch_execz .LBB12_5895
; %bb.5894:                             ;   in Loop: Header=BB12_2997 Depth=2
	buffer_load_dword v23, off, s[0:3], s33 offset:128 ; 4-byte Folded Reload
	buffer_load_dword v24, off, s[0:3], s33 offset:132 ; 4-byte Folded Reload
	v_or_b32_e32 v5, 0x10000, v22
	s_waitcnt vmcnt(1)
	v_cmp_eq_u32_sdwa vcc, v22, v23 src0_sel:WORD_0 src1_sel:DWORD
	v_cndmask_b32_e32 v5, v5, v22, vcc
.LBB12_5895:                            ;   in Loop: Header=BB12_2997 Depth=2
	s_or_b64 exec, exec, s[42:43]
	v_and_b32_e32 v21, 0xffff0000, v21
	v_add_f32_e32 v21, v4, v21
	v_and_b32_e32 v4, 0x7f800000, v21
	v_cmp_ne_u32_e32 vcc, s97, v4
                                        ; implicit-def: $vgpr4
	s_and_saveexec_b64 s[42:43], vcc
	s_xor_b64 s[42:43], exec, s[42:43]
; %bb.5896:                             ;   in Loop: Header=BB12_2997 Depth=2
	v_bfe_u32 v4, v21, 16, 1
	v_add3_u32 v4, v21, v4, s46
                                        ; implicit-def: $vgpr21
; %bb.5897:                             ;   in Loop: Header=BB12_2997 Depth=2
	s_andn2_saveexec_b64 s[42:43], s[42:43]
	s_cbranch_execz .LBB12_5899
; %bb.5898:                             ;   in Loop: Header=BB12_2997 Depth=2
	buffer_load_dword v22, off, s[0:3], s33 offset:128 ; 4-byte Folded Reload
	buffer_load_dword v23, off, s[0:3], s33 offset:132 ; 4-byte Folded Reload
	v_or_b32_e32 v4, 0x10000, v21
	s_waitcnt vmcnt(1)
	v_cmp_eq_u32_sdwa vcc, v21, v22 src0_sel:WORD_0 src1_sel:DWORD
	v_cndmask_b32_e32 v4, v4, v21, vcc
.LBB12_5899:                            ;   in Loop: Header=BB12_2997 Depth=2
	s_or_b64 exec, exec, s[42:43]
	v_and_b32_e32 v20, 0xffff0000, v20
	v_add_f32_e32 v20, v3, v20
	v_and_b32_e32 v3, 0x7f800000, v20
	v_cmp_ne_u32_e32 vcc, s97, v3
                                        ; implicit-def: $vgpr3
	s_and_saveexec_b64 s[42:43], vcc
	s_xor_b64 s[42:43], exec, s[42:43]
; %bb.5900:                             ;   in Loop: Header=BB12_2997 Depth=2
	v_bfe_u32 v3, v20, 16, 1
	v_add3_u32 v3, v20, v3, s46
                                        ; implicit-def: $vgpr20
; %bb.5901:                             ;   in Loop: Header=BB12_2997 Depth=2
	s_andn2_saveexec_b64 s[42:43], s[42:43]
	s_cbranch_execz .LBB12_5903
; %bb.5902:                             ;   in Loop: Header=BB12_2997 Depth=2
	buffer_load_dword v21, off, s[0:3], s33 offset:128 ; 4-byte Folded Reload
	buffer_load_dword v22, off, s[0:3], s33 offset:132 ; 4-byte Folded Reload
	v_or_b32_e32 v3, 0x10000, v20
	s_waitcnt vmcnt(1)
	v_cmp_eq_u32_sdwa vcc, v20, v21 src0_sel:WORD_0 src1_sel:DWORD
	v_cndmask_b32_e32 v3, v3, v20, vcc
.LBB12_5903:                            ;   in Loop: Header=BB12_2997 Depth=2
	s_or_b64 exec, exec, s[42:43]
	v_and_b32_e32 v19, 0xffff0000, v19
	v_add_f32_e32 v19, v2, v19
	v_and_b32_e32 v2, 0x7f800000, v19
	v_cmp_ne_u32_e32 vcc, s97, v2
                                        ; implicit-def: $vgpr2
	s_and_saveexec_b64 s[42:43], vcc
	s_xor_b64 s[42:43], exec, s[42:43]
; %bb.5904:                             ;   in Loop: Header=BB12_2997 Depth=2
	v_bfe_u32 v2, v19, 16, 1
	v_add3_u32 v2, v19, v2, s46
                                        ; implicit-def: $vgpr19
; %bb.5905:                             ;   in Loop: Header=BB12_2997 Depth=2
	s_andn2_saveexec_b64 s[42:43], s[42:43]
	s_cbranch_execz .LBB12_5907
; %bb.5906:                             ;   in Loop: Header=BB12_2997 Depth=2
	buffer_load_dword v20, off, s[0:3], s33 offset:128 ; 4-byte Folded Reload
	buffer_load_dword v21, off, s[0:3], s33 offset:132 ; 4-byte Folded Reload
	v_or_b32_e32 v2, 0x10000, v19
	s_waitcnt vmcnt(1)
	v_cmp_eq_u32_sdwa vcc, v19, v20 src0_sel:WORD_0 src1_sel:DWORD
	v_cndmask_b32_e32 v2, v2, v19, vcc
.LBB12_5907:                            ;   in Loop: Header=BB12_2997 Depth=2
	s_or_b64 exec, exec, s[42:43]
	flat_store_short_d16_hi v[0:1], v18 glc slc
	flat_store_short_d16_hi v[0:1], v17 offset:128 glc slc
	flat_store_short_d16_hi v[0:1], v16 offset:256 glc slc
	;; [unrolled: 1-line block ×15, first 2 shown]
.LBB12_5908:                            ;   in Loop: Header=BB12_2997 Depth=2
	s_or_b64 exec, exec, s[28:29]
	buffer_load_dword v0, off, s[0:3], s33 offset:456 ; 4-byte Folded Reload
	buffer_load_dword v1, off, s[0:3], s33 offset:612 ; 4-byte Folded Reload
	;; [unrolled: 1-line block ×4, first 2 shown]
	s_waitcnt vmcnt(0)
	v_lshlrev_b32_e32 v0, 11, v0
	v_cmp_ne_u32_e32 vcc, v1, v0
	s_and_b64 s[28:29], exec, vcc
	s_mov_b64 exec, s[28:29]
	s_cbranch_execz .LBB12_5945
; %bb.5909:                             ;   in Loop: Header=BB12_2997 Depth=2
	v_lshlrev_b32_e32 v1, 6, v15
	v_sub_u32_e32 v1, v2, v1
	v_ashrrev_i32_e32 v2, 31, v1
	v_lshrrev_b32_e32 v2, 26, v2
	v_add_u32_e32 v2, v1, v2
	v_and_b32_e32 v3, 0x7fffffc0, v2
	v_sub_u32_e32 v1, v1, v3
	v_lshlrev_b32_e32 v2, 1, v2
	v_and_b32_e32 v2, 0xffffff80, v2
	v_lshlrev_b32_e32 v1, 1, v1
	v_add3_u32 v0, v2, v1, v0
	buffer_load_dword v1, off, s[0:3], s33 offset:612 ; 4-byte Folded Reload
	s_waitcnt vmcnt(0)
	v_sub_u32_e32 v2, v1, v0
	v_cmp_lt_i32_e32 vcc, 1, v2
	s_and_b64 exec, exec, vcc
	s_cbranch_execz .LBB12_5945
; %bb.5910:                             ;   in Loop: Header=BB12_2997 Depth=2
	s_trap 2
	ds_read_b64 v[7:8], v0
	v_add_u32_e32 v3, v0, v4
	buffer_load_dword v0, off, s[0:3], s33 offset:620 ; 4-byte Folded Reload
	buffer_load_dword v1, off, s[0:3], s33 offset:624 ; 4-byte Folded Reload
	;; [unrolled: 1-line block ×4, first 2 shown]
	v_ashrrev_i32_e32 v9, 31, v3
	s_mov_b64 s[92:93], 0
	s_mov_b64 s[42:43], 0
                                        ; implicit-def: $sgpr90_sgpr91
	s_waitcnt vmcnt(0)
	v_add_co_u32_e32 v0, vcc, v0, v3
	v_addc_co_u32_e32 v1, vcc, v1, v9, vcc
	v_add_co_u32_e32 v6, vcc, v3, v4
	v_addc_co_u32_e32 v5, vcc, v9, v5, vcc
	s_waitcnt lgkmcnt(0)
	v_add_co_u32_e32 v4, vcc, v7, v3
	v_addc_co_u32_e32 v3, vcc, v8, v9, vcc
	s_branch .LBB12_5912
.LBB12_5911:                            ;   in Loop: Header=BB12_5912 Depth=3
	s_or_b64 exec, exec, s[28:29]
	v_lshrrev_b32_e32 v7, 16, v8
	buffer_store_short v7, off, s[0:3], s33 offset:64
	flat_store_short v[0:1], v7 glc slc
	buffer_load_dword v9, off, s[0:3], s33 offset:388 ; 4-byte Folded Reload
	buffer_load_dword v10, off, s[0:3], s33 offset:392 ; 4-byte Folded Reload
	;; [unrolled: 1-line block ×4, first 2 shown]
	v_mov_b32_e32 v13, 0x80
	s_waitcnt vmcnt(0)
	v_add_co_u32_e32 v7, vcc, v6, v9
	v_cndmask_b32_e64 v6, v6, v7, s[92:93]
	buffer_load_dword v7, off, s[0:3], s33 offset:280 ; 4-byte Folded Reload
	v_addc_co_u32_e32 v8, vcc, v5, v10, vcc
	v_add_co_u32_e32 v9, vcc, v4, v9
	v_addc_co_u32_e32 v10, vcc, v3, v10, vcc
	v_cndmask_b32_e64 v12, v13, v12, s[92:93]
	v_cndmask_b32_e64 v11, 0, v11, s[92:93]
	v_add_co_u32_e32 v0, vcc, v0, v12
	v_addc_co_u32_e32 v1, vcc, v1, v11, vcc
	v_cndmask_b32_e64 v3, v3, v10, s[92:93]
	v_cndmask_b32_e64 v4, v4, v9, s[92:93]
	v_cndmask_b32_e64 v5, v5, v8, s[92:93]
	s_waitcnt vmcnt(0)
	v_cndmask_b32_e64 v7, 0, v7, s[92:93]
	v_sub_u32_e32 v2, v2, v7
	v_cmp_gt_i32_e32 vcc, 2, v2
	s_or_b64 s[42:43], vcc, s[42:43]
	s_andn2_b64 s[28:29], s[90:91], exec
	s_and_b64 s[90:91], s[92:93], exec
	s_or_b64 s[90:91], s[28:29], s[90:91]
	s_andn2_b64 exec, exec, s[42:43]
	s_cbranch_execz .LBB12_5935
.LBB12_5912:                            ;   Parent Loop BB12_47 Depth=1
                                        ;     Parent Loop BB12_2997 Depth=2
                                        ; =>    This Loop Header: Depth=3
                                        ;         Child Loop BB12_5913 Depth 4
                                        ;         Child Loop BB12_5926 Depth 4
	s_lshr_b32 s9, s33, 6
	s_add_i32 s9, s9, 64
	s_mov_b64 s[94:95], -1
	s_mov_b64 s[30:31], 0
.LBB12_5913:                            ;   Parent Loop BB12_47 Depth=1
                                        ;     Parent Loop BB12_2997 Depth=2
                                        ;       Parent Loop BB12_5912 Depth=3
                                        ; =>      This Inner Loop Header: Depth=4
	s_cmp_eq_u32 s30, 1
	s_cselect_b64 s[28:29], -1, 0
	v_cndmask_b32_e64 v8, v5, v3, s[28:29]
	v_cndmask_b32_e64 v7, v6, v4, s[28:29]
	flat_load_ushort v9, v[7:8] glc slc
	v_add_co_u32_e32 v7, vcc, 0x80, v7
	v_addc_co_u32_e32 v8, vcc, 0, v8, vcc
	s_cmp_eq_u32 s30, 0
	v_mov_b32_e32 v10, s9
	s_cselect_b64 vcc, -1, 0
	s_lshr_b32 s9, s33, 6
	s_addk_i32 s9, 0x60
	v_cndmask_b32_e64 v3, v3, v8, s[28:29]
	v_cndmask_b32_e64 v4, v4, v7, s[28:29]
	v_cndmask_b32_e32 v5, v5, v8, vcc
	v_cndmask_b32_e32 v6, v6, v7, vcc
	s_mov_b64 s[30:31], 1
	s_and_b64 vcc, exec, s[94:95]
	s_mov_b64 s[94:95], 0
	s_waitcnt vmcnt(0) lgkmcnt(0)
	buffer_store_short v9, v10, s[0:3], 0 offen
	s_cbranch_vccnz .LBB12_5913
; %bb.5914:                             ;   in Loop: Header=BB12_5912 Depth=3
	s_and_saveexec_b64 s[28:29], s[92:93]
	s_cbranch_execz .LBB12_5924
; %bb.5915:                             ;   in Loop: Header=BB12_5912 Depth=3
	s_trap 2
	buffer_load_ushort v7, off, s[0:3], s33 offset:56
	ds_read_b32 v8, v0
	s_waitcnt lgkmcnt(0)
	v_lshlrev_b32_e32 v8, 16, v8
	s_waitcnt vmcnt(0)
	v_lshlrev_b32_e32 v7, 16, v7
	v_mul_f32_e32 v8, v8, v7
	v_and_b32_e32 v7, 0x7f800000, v8
	v_cmp_ne_u32_e32 vcc, s97, v7
                                        ; implicit-def: $vgpr7
	s_and_saveexec_b64 s[92:93], vcc
	s_xor_b64 s[92:93], exec, s[92:93]
; %bb.5916:                             ;   in Loop: Header=BB12_5912 Depth=3
	v_bfe_u32 v7, v8, 16, 1
	v_add3_u32 v7, v8, v7, s46
                                        ; implicit-def: $vgpr8
; %bb.5917:                             ;   in Loop: Header=BB12_5912 Depth=3
	s_andn2_saveexec_b64 s[92:93], s[92:93]
	s_cbranch_execz .LBB12_5919
; %bb.5918:                             ;   in Loop: Header=BB12_5912 Depth=3
	buffer_load_dword v9, off, s[0:3], s33 offset:128 ; 4-byte Folded Reload
	buffer_load_dword v10, off, s[0:3], s33 offset:132 ; 4-byte Folded Reload
	v_or_b32_e32 v7, 0x10000, v8
	s_waitcnt vmcnt(1)
	v_cmp_eq_u32_sdwa vcc, v8, v9 src0_sel:WORD_0 src1_sel:DWORD
	v_cndmask_b32_e32 v7, v7, v8, vcc
.LBB12_5919:                            ;   in Loop: Header=BB12_5912 Depth=3
	s_or_b64 exec, exec, s[92:93]
	buffer_load_ushort v8, off, s[0:3], s33 offset:58
	v_and_b32_e32 v7, 0xffff0000, v7
	s_waitcnt vmcnt(0)
	v_lshlrev_b32_e32 v8, 16, v8
	v_add_f32_e32 v7, v7, v8
	v_and_b32_e32 v8, 0x7f800000, v7
	v_cmp_ne_u32_e32 vcc, s97, v8
                                        ; implicit-def: $vgpr8
	s_and_saveexec_b64 s[92:93], vcc
	s_xor_b64 s[92:93], exec, s[92:93]
; %bb.5920:                             ;   in Loop: Header=BB12_5912 Depth=3
	v_bfe_u32 v8, v7, 16, 1
	v_add3_u32 v8, v7, v8, s46
                                        ; implicit-def: $vgpr7
; %bb.5921:                             ;   in Loop: Header=BB12_5912 Depth=3
	s_andn2_saveexec_b64 s[92:93], s[92:93]
	s_cbranch_execz .LBB12_5923
; %bb.5922:                             ;   in Loop: Header=BB12_5912 Depth=3
	buffer_load_dword v9, off, s[0:3], s33 offset:128 ; 4-byte Folded Reload
	buffer_load_dword v10, off, s[0:3], s33 offset:132 ; 4-byte Folded Reload
	v_or_b32_e32 v8, 0x10000, v7
	s_waitcnt vmcnt(1)
	v_cmp_eq_u32_sdwa vcc, v7, v9 src0_sel:WORD_0 src1_sel:DWORD
	v_cndmask_b32_e32 v8, v8, v7, vcc
.LBB12_5923:                            ;   in Loop: Header=BB12_5912 Depth=3
	s_or_b64 exec, exec, s[92:93]
	v_lshrrev_b32_e32 v7, 16, v8
	buffer_store_short v7, off, s[0:3], s33 offset:56
	flat_store_short v[0:1], v7 glc slc
	buffer_load_dword v7, off, s[0:3], s33 offset:396 ; 4-byte Folded Reload
	s_waitcnt vmcnt(0)
	v_add_co_u32_e32 v0, vcc, v0, v7
	buffer_load_dword v7, off, s[0:3], s33 offset:400 ; 4-byte Folded Reload
	s_waitcnt vmcnt(0)
	v_addc_co_u32_e32 v1, vcc, v1, v7, vcc
.LBB12_5924:                            ;   in Loop: Header=BB12_5912 Depth=3
	s_or_b64 exec, exec, s[28:29]
	buffer_load_dword v7, off, s[0:3], s33 offset:388 ; 4-byte Folded Reload
	buffer_load_dword v8, off, s[0:3], s33 offset:392 ; 4-byte Folded Reload
	s_waitcnt vmcnt(0)
	v_add_co_u32_e32 v6, vcc, v6, v7
	v_addc_co_u32_e32 v5, vcc, v5, v8, vcc
	v_add_co_u32_e32 v4, vcc, v4, v7
	buffer_load_dword v7, off, s[0:3], s33 offset:280 ; 4-byte Folded Reload
	v_addc_co_u32_e32 v3, vcc, v3, v8, vcc
	s_waitcnt vmcnt(0)
	v_sub_u32_e32 v2, v2, v7
	v_cmp_lt_i32_e64 s[92:93], 1, v2
	s_and_saveexec_b64 s[94:95], s[92:93]
	s_cbranch_execz .LBB12_5927
; %bb.5925:                             ;   in Loop: Header=BB12_5912 Depth=3
	s_lshr_b32 s9, s33, 6
	s_add_i32 s9, s9, 56
	s_mov_b64 s[34:35], 0
	s_mov_b64 s[30:31], -1
.LBB12_5926:                            ;   Parent Loop BB12_47 Depth=1
                                        ;     Parent Loop BB12_2997 Depth=2
                                        ;       Parent Loop BB12_5912 Depth=3
                                        ; =>      This Inner Loop Header: Depth=4
	s_cmp_eq_u32 s34, 1
	s_cselect_b64 s[28:29], -1, 0
	v_cndmask_b32_e64 v8, v5, v3, s[28:29]
	v_cndmask_b32_e64 v7, v6, v4, s[28:29]
	flat_load_ushort v9, v[7:8] glc slc
	v_add_co_u32_e32 v7, vcc, 0x80, v7
	v_addc_co_u32_e32 v8, vcc, 0, v8, vcc
	s_cmp_eq_u32 s34, 0
	v_mov_b32_e32 v10, s9
	s_cselect_b64 vcc, -1, 0
	s_lshr_b32 s9, s33, 6
	s_add_i32 s9, s9, 58
	v_cndmask_b32_e32 v5, v5, v8, vcc
	v_cndmask_b32_e32 v6, v6, v7, vcc
	v_cndmask_b32_e64 v3, v3, v8, s[28:29]
	v_cndmask_b32_e64 v4, v4, v7, s[28:29]
	s_mov_b64 s[34:35], 1
	s_and_b64 vcc, exec, s[30:31]
	s_mov_b64 s[30:31], 0
	s_waitcnt vmcnt(0) lgkmcnt(0)
	buffer_store_short v9, v10, s[0:3], 0 offen
	s_cbranch_vccnz .LBB12_5926
.LBB12_5927:                            ;   in Loop: Header=BB12_5912 Depth=3
	s_or_b64 exec, exec, s[94:95]
	s_trap 2
	buffer_load_ushort v7, off, s[0:3], s33 offset:64
	ds_read_b32 v8, v0
	s_waitcnt lgkmcnt(0)
	v_lshlrev_b32_e32 v8, 16, v8
	s_waitcnt vmcnt(0)
	v_lshlrev_b32_e32 v7, 16, v7
	v_mul_f32_e32 v7, v8, v7
	v_and_b32_e32 v8, 0x7f800000, v7
	v_cmp_ne_u32_e32 vcc, s97, v8
                                        ; implicit-def: $vgpr8
	s_and_saveexec_b64 s[28:29], vcc
	s_xor_b64 s[28:29], exec, s[28:29]
; %bb.5928:                             ;   in Loop: Header=BB12_5912 Depth=3
	v_bfe_u32 v8, v7, 16, 1
	v_add3_u32 v8, v7, v8, s46
                                        ; implicit-def: $vgpr7
; %bb.5929:                             ;   in Loop: Header=BB12_5912 Depth=3
	s_andn2_saveexec_b64 s[28:29], s[28:29]
	s_cbranch_execz .LBB12_5931
; %bb.5930:                             ;   in Loop: Header=BB12_5912 Depth=3
	buffer_load_dword v9, off, s[0:3], s33 offset:128 ; 4-byte Folded Reload
	buffer_load_dword v10, off, s[0:3], s33 offset:132 ; 4-byte Folded Reload
	v_or_b32_e32 v8, 0x10000, v7
	s_waitcnt vmcnt(1)
	v_cmp_eq_u32_sdwa vcc, v7, v9 src0_sel:WORD_0 src1_sel:DWORD
	v_cndmask_b32_e32 v8, v8, v7, vcc
.LBB12_5931:                            ;   in Loop: Header=BB12_5912 Depth=3
	s_or_b64 exec, exec, s[28:29]
	buffer_load_ushort v7, off, s[0:3], s33 offset:96
	v_and_b32_e32 v8, 0xffff0000, v8
	s_waitcnt vmcnt(0)
	v_lshlrev_b32_e32 v7, 16, v7
	v_add_f32_e32 v7, v8, v7
	v_and_b32_e32 v8, 0x7f800000, v7
	v_cmp_ne_u32_e32 vcc, s97, v8
                                        ; implicit-def: $vgpr8
	s_and_saveexec_b64 s[28:29], vcc
	s_xor_b64 s[28:29], exec, s[28:29]
; %bb.5932:                             ;   in Loop: Header=BB12_5912 Depth=3
	v_bfe_u32 v8, v7, 16, 1
	v_add3_u32 v8, v7, v8, s46
                                        ; implicit-def: $vgpr7
; %bb.5933:                             ;   in Loop: Header=BB12_5912 Depth=3
	s_andn2_saveexec_b64 s[28:29], s[28:29]
	s_cbranch_execz .LBB12_5911
; %bb.5934:                             ;   in Loop: Header=BB12_5912 Depth=3
	buffer_load_dword v9, off, s[0:3], s33 offset:128 ; 4-byte Folded Reload
	buffer_load_dword v10, off, s[0:3], s33 offset:132 ; 4-byte Folded Reload
	v_or_b32_e32 v8, 0x10000, v7
	s_waitcnt vmcnt(1)
	v_cmp_eq_u32_sdwa vcc, v7, v9 src0_sel:WORD_0 src1_sel:DWORD
	v_cndmask_b32_e32 v8, v8, v7, vcc
	s_branch .LBB12_5911
.LBB12_5935:                            ;   in Loop: Header=BB12_2997 Depth=2
	s_or_b64 exec, exec, s[42:43]
	s_and_b64 exec, exec, s[90:91]
	s_cbranch_execz .LBB12_5945
; %bb.5936:                             ;   in Loop: Header=BB12_2997 Depth=2
	s_trap 2
	buffer_load_ushort v2, off, s[0:3], s33 offset:56
	ds_read_b32 v3, v0
	s_waitcnt lgkmcnt(0)
	v_lshlrev_b32_e32 v3, 16, v3
	s_waitcnt vmcnt(0)
	v_lshlrev_b32_e32 v2, 16, v2
	v_mul_f32_e32 v3, v3, v2
	v_and_b32_e32 v2, 0x7f800000, v3
	v_cmp_ne_u32_e32 vcc, s97, v2
                                        ; implicit-def: $vgpr2
	s_and_saveexec_b64 s[28:29], vcc
	s_xor_b64 s[28:29], exec, s[28:29]
; %bb.5937:                             ;   in Loop: Header=BB12_2997 Depth=2
	v_bfe_u32 v2, v3, 16, 1
	v_add3_u32 v2, v3, v2, s46
                                        ; implicit-def: $vgpr3
; %bb.5938:                             ;   in Loop: Header=BB12_2997 Depth=2
	s_andn2_saveexec_b64 s[28:29], s[28:29]
	s_cbranch_execz .LBB12_5940
; %bb.5939:                             ;   in Loop: Header=BB12_2997 Depth=2
	buffer_load_dword v4, off, s[0:3], s33 offset:128 ; 4-byte Folded Reload
	buffer_load_dword v5, off, s[0:3], s33 offset:132 ; 4-byte Folded Reload
	v_or_b32_e32 v2, 0x10000, v3
	s_waitcnt vmcnt(1)
	v_cmp_eq_u32_sdwa vcc, v3, v4 src0_sel:WORD_0 src1_sel:DWORD
	v_cndmask_b32_e32 v2, v2, v3, vcc
.LBB12_5940:                            ;   in Loop: Header=BB12_2997 Depth=2
	s_or_b64 exec, exec, s[28:29]
	buffer_load_ushort v3, off, s[0:3], s33 offset:58
	v_and_b32_e32 v2, 0xffff0000, v2
	s_waitcnt vmcnt(0)
	v_lshlrev_b32_e32 v3, 16, v3
	v_add_f32_e32 v2, v2, v3
	v_and_b32_e32 v3, 0x7f800000, v2
	v_cmp_ne_u32_e32 vcc, s97, v3
                                        ; implicit-def: $vgpr3
	s_and_saveexec_b64 s[28:29], vcc
	s_xor_b64 s[28:29], exec, s[28:29]
; %bb.5941:                             ;   in Loop: Header=BB12_2997 Depth=2
	v_bfe_u32 v3, v2, 16, 1
	v_add3_u32 v3, v2, v3, s46
                                        ; implicit-def: $vgpr2
; %bb.5942:                             ;   in Loop: Header=BB12_2997 Depth=2
	s_andn2_saveexec_b64 s[28:29], s[28:29]
	s_cbranch_execz .LBB12_5944
; %bb.5943:                             ;   in Loop: Header=BB12_2997 Depth=2
	buffer_load_dword v4, off, s[0:3], s33 offset:128 ; 4-byte Folded Reload
	buffer_load_dword v5, off, s[0:3], s33 offset:132 ; 4-byte Folded Reload
	v_or_b32_e32 v3, 0x10000, v2
	s_waitcnt vmcnt(1)
	v_cmp_eq_u32_sdwa vcc, v2, v4 src0_sel:WORD_0 src1_sel:DWORD
	v_cndmask_b32_e32 v3, v3, v2, vcc
.LBB12_5944:                            ;   in Loop: Header=BB12_2997 Depth=2
	s_or_b64 exec, exec, s[28:29]
	flat_store_short_d16_hi v[0:1], v3 glc slc
.LBB12_5945:                            ;   in Loop: Header=BB12_2997 Depth=2
	s_or_b64 exec, exec, s[40:41]
.LBB12_5946:                            ;   in Loop: Header=BB12_2997 Depth=2
	buffer_load_dword v0, off, s[0:3], s33 offset:628 ; 4-byte Folded Reload
	s_waitcnt vmcnt(0)
	v_cmp_lt_i32_e64 s[28:29], 0, v0
	s_and_saveexec_b64 s[40:41], s[10:11]
	s_cbranch_execz .LBB12_5965
.LBB12_5947:                            ;   in Loop: Header=BB12_2997 Depth=2
	s_and_saveexec_b64 s[42:43], s[56:57]
	s_xor_b64 s[42:43], exec, s[42:43]
	s_cbranch_execz .LBB12_5962
; %bb.5948:                             ;   in Loop: Header=BB12_2997 Depth=2
	s_and_saveexec_b64 s[90:91], s[16:17]
	s_cbranch_execz .LBB12_5961
; %bb.5949:                             ;   in Loop: Header=BB12_2997 Depth=2
	s_mov_b64 s[94:95], exec
	v_mbcnt_lo_u32_b32 v0, s94, 0
	v_mbcnt_hi_u32_b32 v0, s95, v0
	v_cmp_eq_u32_e32 vcc, 0, v0
	s_waitcnt vmcnt(0) lgkmcnt(0)
	buffer_wbinvl1_vol
	s_and_saveexec_b64 s[92:93], vcc
	s_cbranch_execz .LBB12_5951
; %bb.5950:                             ;   in Loop: Header=BB12_2997 Depth=2
	buffer_load_dword v1, off, s[0:3], s33 offset:128 ; 4-byte Folded Reload
	buffer_load_dword v2, off, s[0:3], s33 offset:132 ; 4-byte Folded Reload
	s_bcnt1_i32_b64 s9, s[94:95]
	v_mov_b32_e32 v0, s9
	s_waitcnt vmcnt(1)
	ds_add_u64 v0, v[0:1]
	s_trap 2
.LBB12_5951:                            ;   in Loop: Header=BB12_2997 Depth=2
	s_or_b64 exec, exec, s[92:93]
	s_trap 2
	ds_read_b64 v[0:1], v0
	s_waitcnt lgkmcnt(0)
	buffer_load_dword v2, off, s[0:3], s33 offset:152 ; 4-byte Folded Reload
	buffer_load_dword v3, off, s[0:3], s33 offset:160 ; 4-byte Folded Reload
	;; [unrolled: 1-line block ×3, first 2 shown]
	s_waitcnt vmcnt(1)
	v_add_co_u32_e32 v3, vcc, v3, v2
	s_waitcnt vmcnt(0)
	v_addc_co_u32_e32 v4, vcc, 0, v4, vcc
	buffer_store_dword v3, off, s[0:3], s33 offset:160 ; 4-byte Folded Spill
	s_nop 0
	buffer_store_dword v4, off, s[0:3], s33 offset:164 ; 4-byte Folded Spill
	v_cmp_lt_u64_e32 vcc, v[0:1], v[3:4]
	s_and_saveexec_b64 s[92:93], vcc
	s_cbranch_execz .LBB12_5960
; %bb.5952:                             ;   in Loop: Header=BB12_2997 Depth=2
	s_mov_b32 s9, 0
	s_mov_b64 s[94:95], 0
                                        ; implicit-def: $sgpr30_sgpr31
                                        ; implicit-def: $sgpr34_sgpr35
	s_branch .LBB12_5954
.LBB12_5953:                            ;   in Loop: Header=BB12_5954 Depth=3
	s_or_b64 exec, exec, s[38:39]
	s_and_b64 vcc, exec, vcc
	s_or_b64 s[94:95], vcc, s[94:95]
	s_andn2_b64 vcc, s[30:31], exec
	s_and_b64 s[30:31], s[34:35], exec
	s_or_b64 s[30:31], vcc, s[30:31]
	s_andn2_b64 exec, exec, s[94:95]
	s_cbranch_execz .LBB12_5958
.LBB12_5954:                            ;   Parent Loop BB12_47 Depth=1
                                        ;     Parent Loop BB12_2997 Depth=2
                                        ; =>    This Inner Loop Header: Depth=3
	s_add_i32 s9, s9, 1
	s_cmpk_lg_i32 s9, 0x2710
	s_cselect_b64 s[36:37], -1, 0
	s_and_b64 vcc, exec, s[36:37]
	s_cbranch_vccz .LBB12_5956
; %bb.5955:                             ;   in Loop: Header=BB12_5954 Depth=3
	s_mov_b64 vcc, -1
	s_or_b64 s[34:35], s[34:35], exec
	s_and_saveexec_b64 s[38:39], s[36:37]
	s_cbranch_execz .LBB12_5953
	s_branch .LBB12_5957
.LBB12_5956:                            ;   in Loop: Header=BB12_5954 Depth=3
	s_trap 2
	ds_read_b64 v[0:1], v0
	s_andn2_b64 s[36:37], s[36:37], exec
	s_mov_b32 s9, 0
	s_waitcnt vmcnt(0) lgkmcnt(0)
	flat_load_dword v0, v[0:1] glc
	s_waitcnt vmcnt(0) lgkmcnt(0)
	buffer_wbinvl1_vol
	v_cmp_eq_u32_e32 vcc, 0, v0
	s_and_b64 vcc, vcc, exec
	s_or_b64 s[36:37], s[36:37], vcc
	s_mov_b64 vcc, -1
	s_or_b64 s[34:35], s[34:35], exec
	s_and_saveexec_b64 s[38:39], s[36:37]
	s_cbranch_execz .LBB12_5953
.LBB12_5957:                            ;   in Loop: Header=BB12_5954 Depth=3
	s_sleep 1
	s_trap 2
	ds_read_b64 v[0:1], v0
	s_waitcnt lgkmcnt(0)
	buffer_load_dword v2, off, s[0:3], s33 offset:160 ; 4-byte Folded Reload
	buffer_load_dword v3, off, s[0:3], s33 offset:164 ; 4-byte Folded Reload
	s_andn2_b64 s[34:35], s[34:35], exec
	s_waitcnt vmcnt(0)
	v_cmp_ge_u64_e32 vcc, v[0:1], v[2:3]
	s_orn2_b64 vcc, vcc, exec
	s_branch .LBB12_5953
.LBB12_5958:                            ;   in Loop: Header=BB12_2997 Depth=2
	s_or_b64 exec, exec, s[94:95]
	s_and_saveexec_b64 s[94:95], s[30:31]
	s_xor_b64 s[94:95], exec, s[94:95]
	s_cbranch_execz .LBB12_5960
; %bb.5959:                             ;   in Loop: Header=BB12_2997 Depth=2
	v_mov_b32_e32 v0, 1
	ds_write_b32 v0, v0
	s_trap 2
.LBB12_5960:                            ;   in Loop: Header=BB12_2997 Depth=2
	s_or_b64 exec, exec, s[92:93]
	;;#ASMSTART
	s_wakeup
	;;#ASMEND
.LBB12_5961:                            ;   in Loop: Header=BB12_2997 Depth=2
	s_or_b64 exec, exec, s[90:91]
.LBB12_5962:                            ;   in Loop: Header=BB12_2997 Depth=2
	s_andn2_saveexec_b64 s[42:43], s[42:43]
	s_cbranch_execz .LBB12_5964
; %bb.5963:                             ;   in Loop: Header=BB12_2997 Depth=2
	s_waitcnt vmcnt(0) lgkmcnt(0)
	buffer_wbinvl1_vol
	s_barrier
.LBB12_5964:                            ;   in Loop: Header=BB12_2997 Depth=2
	s_or_b64 exec, exec, s[42:43]
.LBB12_5965:                            ;   in Loop: Header=BB12_2997 Depth=2
	s_or_b64 exec, exec, s[40:41]
	buffer_load_dword v0, off, s[0:3], s33 offset:156 ; 4-byte Folded Reload
	s_waitcnt vmcnt(0)
	v_and_b32_e32 v0, 16, v0
	s_and_saveexec_b64 s[40:41], s[24:25]
	s_xor_b64 s[40:41], exec, s[40:41]
	s_cbranch_execz .LBB12_5969
; %bb.5966:                             ;   in Loop: Header=BB12_2997 Depth=2
	buffer_load_dword v1, off, s[0:3], s33 offset:156 ; 4-byte Folded Reload
	s_waitcnt vmcnt(0)
	v_and_b32_e32 v0, 16, v1
	v_and_b32_e32 v1, 16, v1
	v_cmp_ne_u32_e32 vcc, 0, v1
	s_and_b64 s[42:43], vcc, s[28:29]
	s_and_saveexec_b64 s[28:29], s[42:43]
	s_cbranch_execz .LBB12_5968
; %bb.5967:                             ;   in Loop: Header=BB12_2997 Depth=2
	v_mov_b32_e32 v0, 1
	s_waitcnt lgkmcnt(0)
	buffer_wbinvl1_vol
.LBB12_5968:                            ;   in Loop: Header=BB12_2997 Depth=2
	s_or_b64 exec, exec, s[28:29]
.LBB12_5969:                            ;   in Loop: Header=BB12_2997 Depth=2
	s_andn2_saveexec_b64 s[28:29], s[40:41]
	s_cbranch_execz .LBB12_5988
; %bb.5970:                             ;   in Loop: Header=BB12_2997 Depth=2
	s_and_saveexec_b64 s[40:41], s[56:57]
	s_xor_b64 s[40:41], exec, s[40:41]
	s_cbranch_execz .LBB12_5985
; %bb.5971:                             ;   in Loop: Header=BB12_2997 Depth=2
	s_and_saveexec_b64 s[42:43], s[16:17]
	s_cbranch_execz .LBB12_5984
; %bb.5972:                             ;   in Loop: Header=BB12_2997 Depth=2
	s_mov_b64 s[92:93], exec
	v_mbcnt_lo_u32_b32 v1, s92, 0
	v_mbcnt_hi_u32_b32 v1, s93, v1
	v_cmp_eq_u32_e32 vcc, 0, v1
	;;#ASMSTART
	s_waitcnt lgkmcnt(0) vmcnt(0)
	;;#ASMEND
	s_and_saveexec_b64 s[90:91], vcc
	s_cbranch_execz .LBB12_5974
; %bb.5973:                             ;   in Loop: Header=BB12_2997 Depth=2
	buffer_load_dword v2, off, s[0:3], s33 offset:128 ; 4-byte Folded Reload
	buffer_load_dword v3, off, s[0:3], s33 offset:132 ; 4-byte Folded Reload
	s_bcnt1_i32_b64 s9, s[92:93]
	v_mov_b32_e32 v1, s9
	s_waitcnt vmcnt(0) lgkmcnt(0)
	ds_add_u64 v0, v[1:2]
	s_trap 2
.LBB12_5974:                            ;   in Loop: Header=BB12_2997 Depth=2
	s_or_b64 exec, exec, s[90:91]
	s_trap 2
	ds_read_b64 v[1:2], v0
	s_waitcnt lgkmcnt(0)
	buffer_load_dword v3, off, s[0:3], s33 offset:152 ; 4-byte Folded Reload
	buffer_load_dword v4, off, s[0:3], s33 offset:160 ; 4-byte Folded Reload
	;; [unrolled: 1-line block ×3, first 2 shown]
	s_waitcnt vmcnt(1)
	v_add_co_u32_e32 v4, vcc, v4, v3
	s_waitcnt vmcnt(0)
	v_addc_co_u32_e32 v5, vcc, 0, v5, vcc
	buffer_store_dword v4, off, s[0:3], s33 offset:160 ; 4-byte Folded Spill
	s_nop 0
	buffer_store_dword v5, off, s[0:3], s33 offset:164 ; 4-byte Folded Spill
	v_cmp_lt_u64_e32 vcc, v[1:2], v[4:5]
	s_and_saveexec_b64 s[90:91], vcc
	s_cbranch_execz .LBB12_5983
; %bb.5975:                             ;   in Loop: Header=BB12_2997 Depth=2
	s_mov_b32 s9, 0
	s_mov_b64 s[92:93], 0
                                        ; implicit-def: $sgpr94_sgpr95
                                        ; implicit-def: $sgpr30_sgpr31
	s_branch .LBB12_5977
.LBB12_5976:                            ;   in Loop: Header=BB12_5977 Depth=3
	s_or_b64 exec, exec, s[36:37]
	s_and_b64 vcc, exec, vcc
	s_or_b64 s[92:93], vcc, s[92:93]
	s_andn2_b64 s[94:95], s[94:95], exec
	s_and_b64 vcc, s[30:31], exec
	s_or_b64 s[94:95], s[94:95], vcc
	s_andn2_b64 exec, exec, s[92:93]
	s_cbranch_execz .LBB12_5981
.LBB12_5977:                            ;   Parent Loop BB12_47 Depth=1
                                        ;     Parent Loop BB12_2997 Depth=2
                                        ; =>    This Inner Loop Header: Depth=3
	s_add_i32 s9, s9, 1
	s_cmpk_lg_i32 s9, 0x2710
	s_cselect_b64 s[34:35], -1, 0
	s_and_b64 vcc, exec, s[34:35]
	s_cbranch_vccz .LBB12_5979
; %bb.5978:                             ;   in Loop: Header=BB12_5977 Depth=3
	s_mov_b64 vcc, -1
	s_or_b64 s[30:31], s[30:31], exec
	s_and_saveexec_b64 s[36:37], s[34:35]
	s_cbranch_execz .LBB12_5976
	s_branch .LBB12_5980
.LBB12_5979:                            ;   in Loop: Header=BB12_5977 Depth=3
	s_trap 2
	ds_read_b64 v[1:2], v0
	s_andn2_b64 s[34:35], s[34:35], exec
	s_mov_b32 s9, 0
	s_waitcnt vmcnt(0) lgkmcnt(0)
	flat_load_dword v1, v[1:2] glc
	s_waitcnt vmcnt(0) lgkmcnt(0)
	buffer_wbinvl1_vol
	v_cmp_eq_u32_e32 vcc, 0, v1
	s_and_b64 vcc, vcc, exec
	s_or_b64 s[34:35], s[34:35], vcc
	s_mov_b64 vcc, -1
	s_or_b64 s[30:31], s[30:31], exec
	s_and_saveexec_b64 s[36:37], s[34:35]
	s_cbranch_execz .LBB12_5976
.LBB12_5980:                            ;   in Loop: Header=BB12_5977 Depth=3
	s_sleep 1
	s_trap 2
	ds_read_b64 v[1:2], v0
	s_waitcnt lgkmcnt(0)
	buffer_load_dword v3, off, s[0:3], s33 offset:160 ; 4-byte Folded Reload
	buffer_load_dword v4, off, s[0:3], s33 offset:164 ; 4-byte Folded Reload
	s_andn2_b64 s[30:31], s[30:31], exec
	s_waitcnt vmcnt(0)
	v_cmp_ge_u64_e32 vcc, v[1:2], v[3:4]
	s_orn2_b64 vcc, vcc, exec
	s_branch .LBB12_5976
.LBB12_5981:                            ;   in Loop: Header=BB12_2997 Depth=2
	s_or_b64 exec, exec, s[92:93]
	s_and_saveexec_b64 s[92:93], s[94:95]
	s_xor_b64 s[92:93], exec, s[92:93]
	s_cbranch_execz .LBB12_5983
; %bb.5982:                             ;   in Loop: Header=BB12_2997 Depth=2
	v_mov_b32_e32 v1, 1
	ds_write_b32 v0, v1
	s_trap 2
.LBB12_5983:                            ;   in Loop: Header=BB12_2997 Depth=2
	s_or_b64 exec, exec, s[90:91]
	;;#ASMSTART
	s_wakeup
	;;#ASMEND
.LBB12_5984:                            ;   in Loop: Header=BB12_2997 Depth=2
	s_or_b64 exec, exec, s[42:43]
.LBB12_5985:                            ;   in Loop: Header=BB12_2997 Depth=2
	s_andn2_saveexec_b64 s[40:41], s[40:41]
	s_cbranch_execz .LBB12_5987
; %bb.5986:                             ;   in Loop: Header=BB12_2997 Depth=2
	;;#ASMSTART
	s_waitcnt lgkmcnt(0) vmcnt(0)
	;;#ASMEND
	s_waitcnt vmcnt(0) lgkmcnt(0)
	s_barrier
.LBB12_5987:                            ;   in Loop: Header=BB12_2997 Depth=2
	s_or_b64 exec, exec, s[40:41]
.LBB12_5988:                            ;   in Loop: Header=BB12_2997 Depth=2
	s_or_b64 exec, exec, s[28:29]
	v_cmp_ne_u32_e32 vcc, 0, v0
	s_xor_b64 s[28:29], s[12:13], -1
	s_and_b64 s[40:41], vcc, s[28:29]
	s_and_saveexec_b64 s[28:29], s[40:41]
	s_cbranch_execz .LBB12_5990
; %bb.5989:                             ;   in Loop: Header=BB12_2997 Depth=2
	buffer_load_dword v0, off, s[0:3], s33 offset:548 ; 4-byte Folded Reload
	buffer_load_dword v1, off, s[0:3], s33 offset:552 ; 4-byte Folded Reload
	v_mov_b32_e32 v2, 1
	s_waitcnt vmcnt(0)
	flat_store_dword v[0:1], v2
.LBB12_5990:                            ;   in Loop: Header=BB12_2997 Depth=2
	s_or_b64 exec, exec, s[28:29]
	buffer_load_dword v0, off, s[0:3], s33 offset:156 ; 4-byte Folded Reload
	s_waitcnt vmcnt(0)
	v_and_b32_e32 v0, 48, v0
	v_cmp_ne_u32_e32 vcc, 0, v0
	s_and_saveexec_b64 s[28:29], vcc
	s_cbranch_execz .LBB12_2996
; %bb.5991:                             ;   in Loop: Header=BB12_2997 Depth=2
	buffer_load_dword v2, off, s[0:3], s33 offset:256 ; 4-byte Folded Reload
	buffer_load_dword v3, off, s[0:3], s33 offset:260 ; 4-byte Folded Reload
	;; [unrolled: 1-line block ×4, first 2 shown]
	s_waitcnt vmcnt(0)
	v_add_co_u32_e32 v2, vcc, 2, v2
	v_addc_co_u32_e32 v3, vcc, 0, v3, vcc
	buffer_store_dword v2, off, s[0:3], s33 offset:256 ; 4-byte Folded Spill
	s_nop 0
	buffer_store_dword v3, off, s[0:3], s33 offset:260 ; 4-byte Folded Spill
	flat_store_dwordx2 v[0:1], v[2:3]
	s_branch .LBB12_2996
.LBB12_5992:                            ;   in Loop: Header=BB12_47 Depth=1
	s_or_b64 exec, exec, s[76:77]
	v_cmp_gt_i32_e32 vcc, 2, v2
	s_and_saveexec_b64 s[40:41], vcc
	s_cbranch_execz .LBB12_6068
.LBB12_5993:                            ;   in Loop: Header=BB12_47 Depth=1
	v_cmp_eq_u32_e64 s[76:77], 0, v2
	buffer_load_dword v10, off, s[0:3], s33 offset:324 ; 4-byte Folded Reload
	buffer_load_dword v11, off, s[0:3], s33 offset:328 ; 4-byte Folded Reload
	;; [unrolled: 1-line block ×4, first 2 shown]
	s_mov_b64 s[42:43], 0
	s_branch .LBB12_5995
.LBB12_5994:                            ;   in Loop: Header=BB12_5995 Depth=2
	s_or_b64 exec, exec, s[28:29]
	v_mov_b32_e32 v1, v11
	v_add_u32_e32 v1, v10, v1
	s_mov_b64 s[76:77], 0
	s_andn2_b64 exec, exec, s[42:43]
	s_cbranch_execz .LBB12_6069
.LBB12_5995:                            ;   Parent Loop BB12_47 Depth=1
                                        ; =>  This Loop Header: Depth=2
                                        ;       Child Loop BB12_6001 Depth 3
                                        ;       Child Loop BB12_6029 Depth 3
	;; [unrolled: 1-line block ×3, first 2 shown]
	buffer_load_dword v0, off, s[0:3], s33 offset:436 ; 4-byte Folded Reload
	s_waitcnt vmcnt(0)
	v_mov_b32_e32 v11, v1
	v_sub_u32_e32 v0, v0, v1
	v_min_i32_e32 v10, v10, v0
	buffer_load_dword v0, off, s[0:3], s33 offset:156 ; 4-byte Folded Reload
	s_waitcnt vmcnt(0)
	v_and_b32_e32 v0, 12, v0
	v_cmp_ne_u32_e32 vcc, 0, v0
	s_and_saveexec_b64 s[78:79], vcc
	s_cbranch_execz .LBB12_6021
; %bb.5996:                             ;   in Loop: Header=BB12_5995 Depth=2
	buffer_load_dword v0, off, s[0:3], s33 offset:156 ; 4-byte Folded Reload
	s_waitcnt vmcnt(0)
	v_and_b32_e32 v6, 8, v0
	buffer_load_dword v0, off, s[0:3], s33 offset:136 ; 4-byte Folded Reload
	buffer_load_dword v1, off, s[0:3], s33 offset:140 ; 4-byte Folded Reload
	s_waitcnt vmcnt(0)
	v_add_co_u32_e32 v2, vcc, v0, v6
	v_addc_co_u32_e32 v3, vcc, 0, v1, vcc
	buffer_load_dword v0, off, s[0:3], s33 offset:256 ; 4-byte Folded Reload
	buffer_load_dword v1, off, s[0:3], s33 offset:260 ; 4-byte Folded Reload
	s_waitcnt vmcnt(0)
	v_add_co_u32_e32 v0, vcc, 2, v0
	v_addc_co_u32_e32 v1, vcc, 0, v1, vcc
	v_cmp_lt_u64_e32 vcc, v[2:3], v[0:1]
	s_and_saveexec_b64 s[88:89], vcc
	s_cbranch_execz .LBB12_6008
; %bb.5997:                             ;   in Loop: Header=BB12_5995 Depth=2
	buffer_load_dword v2, off, s[0:3], s33 offset:156 ; 4-byte Folded Reload
	s_mov_b32 s45, 0
	s_mov_b64 s[90:91], 0
                                        ; implicit-def: $sgpr92_sgpr93
                                        ; implicit-def: $sgpr94_sgpr95
                                        ; implicit-def: $sgpr30_sgpr31
	s_waitcnt vmcnt(0)
	v_and_b32_e32 v2, 64, v2
	v_cmp_eq_u32_e32 vcc, 0, v2
	s_branch .LBB12_6001
.LBB12_5998:                            ;   in Loop: Header=BB12_6001 Depth=3
	buffer_load_dword v3, off, s[0:3], s33 offset:136 ; 4-byte Folded Reload
	buffer_load_dword v4, off, s[0:3], s33 offset:140 ; 4-byte Folded Reload
	s_or_b64 s[38:39], s[38:39], exec
	s_waitcnt vmcnt(1)
	v_add_co_u32_e64 v3, s[28:29], v3, v6
	s_waitcnt vmcnt(0)
	v_addc_co_u32_e64 v4, s[28:29], 0, v4, s[28:29]
	v_cmp_ge_u64_e64 s[28:29], v[3:4], v[0:1]
	s_orn2_b64 s[36:37], s[28:29], exec
.LBB12_5999:                            ;   in Loop: Header=BB12_6001 Depth=3
	s_or_b64 exec, exec, s[50:51]
	s_andn2_b64 s[28:29], s[30:31], exec
	s_and_b64 s[30:31], s[38:39], exec
	s_or_b64 s[30:31], s[28:29], s[30:31]
	s_andn2_b64 s[28:29], s[94:95], exec
	s_and_b64 s[94:95], s[36:37], exec
	s_or_b64 s[94:95], s[28:29], s[94:95]
.LBB12_6000:                            ;   in Loop: Header=BB12_6001 Depth=3
	s_or_b64 exec, exec, s[34:35]
	s_and_b64 s[28:29], exec, s[94:95]
	s_or_b64 s[90:91], s[28:29], s[90:91]
	s_andn2_b64 s[28:29], s[92:93], exec
	s_and_b64 s[92:93], s[30:31], exec
	s_or_b64 s[92:93], s[28:29], s[92:93]
	s_andn2_b64 exec, exec, s[90:91]
	s_cbranch_execz .LBB12_6005
.LBB12_6001:                            ;   Parent Loop BB12_47 Depth=1
                                        ;     Parent Loop BB12_5995 Depth=2
                                        ; =>    This Inner Loop Header: Depth=3
	s_sleep 1
	buffer_load_dword v2, off, s[0:3], s33 offset:144 ; 4-byte Folded Reload
	buffer_load_dword v3, off, s[0:3], s33 offset:148 ; 4-byte Folded Reload
	s_or_b64 s[30:31], s[30:31], exec
	s_or_b64 s[94:95], s[94:95], exec
	s_waitcnt vmcnt(0)
	flat_load_dwordx2 v[2:3], v[2:3] glc
	s_waitcnt vmcnt(0) lgkmcnt(0)
	buffer_store_dword v2, off, s[0:3], s33 offset:136 ; 4-byte Folded Spill
	s_nop 0
	buffer_store_dword v3, off, s[0:3], s33 offset:140 ; 4-byte Folded Spill
                                        ; implicit-def: $vgpr2
	s_and_saveexec_b64 s[34:35], vcc
	s_cbranch_execz .LBB12_6000
; %bb.6002:                             ;   in Loop: Header=BB12_6001 Depth=3
	s_cmpk_lt_i32 s45, 0x270f
	s_cselect_b64 s[48:49], -1, 0
	s_cmpk_gt_i32 s45, 0x270e
	s_mov_b64 s[36:37], -1
	s_cbranch_scc0 .LBB12_6004
; %bb.6003:                             ;   in Loop: Header=BB12_6001 Depth=3
	s_trap 2
	ds_read_b64 v[2:3], v0
	s_andn2_b64 s[48:49], s[48:49], exec
	s_mov_b32 s45, 0
	s_mov_b64 s[38:39], 0
	s_waitcnt vmcnt(0) lgkmcnt(0)
	flat_load_dword v2, v[2:3] glc
	s_waitcnt vmcnt(0) lgkmcnt(0)
	buffer_wbinvl1_vol
	v_cmp_eq_u32_e64 s[28:29], 0, v2
	s_and_b64 s[28:29], s[28:29], exec
	s_or_b64 s[48:49], s[48:49], s[28:29]
	s_and_saveexec_b64 s[50:51], s[48:49]
	s_cbranch_execz .LBB12_5999
	s_branch .LBB12_5998
.LBB12_6004:                            ;   in Loop: Header=BB12_6001 Depth=3
	s_add_i32 s45, s45, 1
	s_mov_b64 s[38:39], -1
                                        ; implicit-def: $vgpr2
	s_and_saveexec_b64 s[50:51], s[48:49]
	s_cbranch_execz .LBB12_5999
	s_branch .LBB12_5998
.LBB12_6005:                            ;   in Loop: Header=BB12_5995 Depth=2
	s_or_b64 exec, exec, s[90:91]
	s_xor_b64 s[28:29], s[92:93], -1
	s_and_saveexec_b64 s[90:91], s[28:29]
	s_xor_b64 s[28:29], exec, s[90:91]
	s_cbranch_execz .LBB12_6007
; %bb.6006:                             ;   in Loop: Header=BB12_5995 Depth=2
	ds_write_b32 v0, v2
	s_trap 2
	buffer_load_dword v2, off, s[0:3], s33 offset:156 ; 4-byte Folded Reload
	s_waitcnt vmcnt(0)
	v_or_b32_e32 v2, 64, v2
	buffer_store_dword v2, off, s[0:3], s33 offset:156 ; 4-byte Folded Spill
.LBB12_6007:                            ;   in Loop: Header=BB12_5995 Depth=2
	s_or_b64 exec, exec, s[28:29]
.LBB12_6008:                            ;   in Loop: Header=BB12_5995 Depth=2
	s_or_b64 exec, exec, s[88:89]
	;;#ASMSTART
	s_wakeup
	;;#ASMEND
	buffer_load_dword v2, off, s[0:3], s33 offset:156 ; 4-byte Folded Reload
	s_waitcnt vmcnt(0)
	v_and_b32_e32 v2, 0x108, v2
	v_cmp_ne_u32_e32 vcc, s44, v2
	buffer_load_dword v2, off, s[0:3], s33 offset:256 ; 4-byte Folded Reload
	buffer_load_dword v3, off, s[0:3], s33 offset:260 ; 4-byte Folded Reload
	s_waitcnt vmcnt(0)
	v_and_b32_e32 v7, 7, v2
	s_and_saveexec_b64 s[28:29], vcc
	s_xor_b64 s[28:29], exec, s[28:29]
                                        ; implicit-def: $vgpr8
	s_cbranch_execz .LBB12_6010
; %bb.6009:                             ;   in Loop: Header=BB12_5995 Depth=2
	buffer_load_dword v2, off, s[0:3], s33 offset:128 ; 4-byte Folded Reload
	buffer_load_dword v3, off, s[0:3], s33 offset:132 ; 4-byte Folded Reload
	s_waitcnt vmcnt(0)
	v_mov_b32_e32 v8, v2
.LBB12_6010:                            ;   in Loop: Header=BB12_5995 Depth=2
	s_andn2_saveexec_b64 s[28:29], s[28:29]
	s_cbranch_execz .LBB12_6012
; %bb.6011:                             ;   in Loop: Header=BB12_5995 Depth=2
	buffer_load_dword v2, off, s[0:3], s33 offset:532 ; 4-byte Folded Reload
	buffer_load_dword v3, off, s[0:3], s33 offset:536 ; 4-byte Folded Reload
	;; [unrolled: 1-line block ×6, first 2 shown]
	s_waitcnt vmcnt(0)
	v_mov_b32_e32 v4, v10
	v_ashrrev_i32_e32 v5, 31, v4
	v_lshlrev_b64 v[4:5], 1, v[4:5]
	v_mad_u64_u32 v[2:3], s[88:89], v7, 24, v[2:3]
	flat_store_dwordx2 v[2:3], v[4:5] offset:8
.LBB12_6012:                            ;   in Loop: Header=BB12_5995 Depth=2
	s_or_b64 exec, exec, s[28:29]
	buffer_load_dword v2, off, s[0:3], s33 offset:156 ; 4-byte Folded Reload
	s_mov_b64 s[28:29], -1
	s_waitcnt vmcnt(0)
	v_and_b32_e32 v2, 0x100, v2
	v_cmp_ne_u32_e32 vcc, 0, v2
                                        ; implicit-def: $vgpr2_vgpr3
	s_and_saveexec_b64 s[88:89], vcc
	s_cbranch_execz .LBB12_6016
; %bb.6013:                             ;   in Loop: Header=BB12_5995 Depth=2
	buffer_load_dword v2, off, s[0:3], s33 offset:532 ; 4-byte Folded Reload
	buffer_load_dword v3, off, s[0:3], s33 offset:536 ; 4-byte Folded Reload
	;; [unrolled: 1-line block ×4, first 2 shown]
	s_waitcnt vmcnt(0)
	v_mad_u64_u32 v[4:5], s[28:29], v7, 24, v[2:3]
	v_mov_b32_e32 v2, v5
	v_mad_u64_u32 v[2:3], s[28:29], v8, 24, v[2:3]
	v_mov_b32_e32 v5, v2
	flat_load_dword v2, v[4:5]
	s_waitcnt vmcnt(0) lgkmcnt(0)
	v_cmp_ne_u32_e32 vcc, 1, v2
	v_cmp_eq_u32_e64 s[28:29], 1, v2
                                        ; implicit-def: $vgpr2_vgpr3
	s_and_saveexec_b64 s[90:91], s[28:29]
	s_cbranch_execz .LBB12_6015
; %bb.6014:                             ;   in Loop: Header=BB12_5995 Depth=2
	flat_load_dword v2, v[4:5] offset:4 glc
	s_waitcnt vmcnt(0) lgkmcnt(0)
	v_ashrrev_i32_e32 v3, 31, v2
	v_lshrrev_b64 v[2:3], 1, v[2:3]
.LBB12_6015:                            ;   in Loop: Header=BB12_5995 Depth=2
	s_or_b64 exec, exec, s[90:91]
	s_orn2_b64 s[28:29], vcc, exec
.LBB12_6016:                            ;   in Loop: Header=BB12_5995 Depth=2
	s_or_b64 exec, exec, s[88:89]
	s_and_saveexec_b64 s[88:89], s[28:29]
	s_cbranch_execz .LBB12_6018
; %bb.6017:                             ;   in Loop: Header=BB12_5995 Depth=2
	buffer_load_dword v2, off, s[0:3], s33 offset:564 ; 4-byte Folded Reload
	buffer_load_dword v3, off, s[0:3], s33 offset:576 ; 4-byte Folded Reload
	s_waitcnt vmcnt(0)
	v_mul_lo_u32 v4, v8, v2
	v_mul_lo_u32 v5, v7, v3
	v_mad_u64_u32 v[2:3], s[28:29], v7, v2, 0
	v_add3_u32 v3, v3, v5, v4
.LBB12_6018:                            ;   in Loop: Header=BB12_5995 Depth=2
	s_or_b64 exec, exec, s[88:89]
	v_cmp_eq_u32_e32 vcc, 0, v6
	v_mov_b32_e32 v4, 0x90
	v_mov_b32_e32 v5, 0xd0
	v_cndmask_b32_e32 v4, v5, v4, vcc
	buffer_load_dword v5, off, s[0:3], s33 offset:524 ; 4-byte Folded Reload
	buffer_load_dword v6, off, s[0:3], s33 offset:528 ; 4-byte Folded Reload
	v_lshlrev_b64 v[2:3], 1, v[2:3]
	v_add_u32_e32 v4, v0, v4
	s_waitcnt vmcnt(0)
	v_add_co_u32_e32 v2, vcc, v5, v2
	v_addc_co_u32_e32 v3, vcc, v6, v3, vcc
	ds_write_b64 v4, v[2:3] offset:584
	buffer_load_dword v2, off, s[0:3], s33 offset:156 ; 4-byte Folded Reload
	s_waitcnt vmcnt(0)
	v_and_b32_e32 v2, 0x2000, v2
	v_cmp_ne_u32_e32 vcc, 0, v2
	s_and_saveexec_b64 s[28:29], vcc
	s_cbranch_execz .LBB12_6020
; %bb.6019:                             ;   in Loop: Header=BB12_5995 Depth=2
	ds_read_b64 v[2:3], v0 offset:872
	s_waitcnt lgkmcnt(0)
	v_add_co_u32_e32 v2, vcc, 1, v2
	v_addc_co_u32_e32 v3, vcc, 0, v3, vcc
	ds_write_b64 v0, v[2:3] offset:872
.LBB12_6020:                            ;   in Loop: Header=BB12_5995 Depth=2
	s_or_b64 exec, exec, s[28:29]
	buffer_store_dword v0, off, s[0:3], s33 offset:256 ; 4-byte Folded Spill
	s_nop 0
	buffer_store_dword v1, off, s[0:3], s33 offset:260 ; 4-byte Folded Spill
.LBB12_6021:                            ;   in Loop: Header=BB12_5995 Depth=2
	s_or_b64 exec, exec, s[78:79]
	s_xor_b64 s[28:29], s[76:77], -1
	s_and_b64 s[28:29], exec, s[28:29]
	s_or_b64 s[42:43], s[28:29], s[42:43]
	s_and_saveexec_b64 s[28:29], s[10:11]
	s_cbranch_execz .LBB12_6040
; %bb.6022:                             ;   in Loop: Header=BB12_5995 Depth=2
	s_and_saveexec_b64 s[76:77], s[56:57]
	s_xor_b64 s[76:77], exec, s[76:77]
	s_cbranch_execz .LBB12_6037
; %bb.6023:                             ;   in Loop: Header=BB12_5995 Depth=2
	s_and_saveexec_b64 s[78:79], s[16:17]
	s_cbranch_execz .LBB12_6036
; %bb.6024:                             ;   in Loop: Header=BB12_5995 Depth=2
	s_mov_b64 s[90:91], exec
	v_mbcnt_lo_u32_b32 v0, s90, 0
	v_mbcnt_hi_u32_b32 v0, s91, v0
	v_cmp_eq_u32_e32 vcc, 0, v0
	s_waitcnt vmcnt(0) lgkmcnt(0)
	buffer_wbinvl1_vol
	s_and_saveexec_b64 s[88:89], vcc
	s_cbranch_execz .LBB12_6026
; %bb.6025:                             ;   in Loop: Header=BB12_5995 Depth=2
	buffer_load_dword v1, off, s[0:3], s33 offset:128 ; 4-byte Folded Reload
	buffer_load_dword v2, off, s[0:3], s33 offset:132 ; 4-byte Folded Reload
	s_bcnt1_i32_b64 s9, s[90:91]
	v_mov_b32_e32 v0, s9
	s_waitcnt vmcnt(1)
	ds_add_u64 v0, v[0:1]
	s_trap 2
.LBB12_6026:                            ;   in Loop: Header=BB12_5995 Depth=2
	s_or_b64 exec, exec, s[88:89]
	s_trap 2
	ds_read_b64 v[0:1], v0
	s_waitcnt lgkmcnt(0)
	buffer_load_dword v2, off, s[0:3], s33 offset:152 ; 4-byte Folded Reload
	buffer_load_dword v3, off, s[0:3], s33 offset:160 ; 4-byte Folded Reload
	;; [unrolled: 1-line block ×3, first 2 shown]
	s_waitcnt vmcnt(1)
	v_add_co_u32_e32 v3, vcc, v3, v2
	s_waitcnt vmcnt(0)
	v_addc_co_u32_e32 v4, vcc, 0, v4, vcc
	buffer_store_dword v3, off, s[0:3], s33 offset:160 ; 4-byte Folded Spill
	s_nop 0
	buffer_store_dword v4, off, s[0:3], s33 offset:164 ; 4-byte Folded Spill
	v_cmp_lt_u64_e32 vcc, v[0:1], v[3:4]
	s_and_saveexec_b64 s[88:89], vcc
	s_cbranch_execz .LBB12_6035
; %bb.6027:                             ;   in Loop: Header=BB12_5995 Depth=2
	s_mov_b32 s9, 0
	s_mov_b64 s[90:91], 0
                                        ; implicit-def: $sgpr92_sgpr93
                                        ; implicit-def: $sgpr94_sgpr95
	s_branch .LBB12_6029
.LBB12_6028:                            ;   in Loop: Header=BB12_6029 Depth=3
	s_or_b64 exec, exec, s[34:35]
	s_and_b64 vcc, exec, vcc
	s_or_b64 s[90:91], vcc, s[90:91]
	s_andn2_b64 s[92:93], s[92:93], exec
	s_and_b64 vcc, s[94:95], exec
	s_or_b64 s[92:93], s[92:93], vcc
	s_andn2_b64 exec, exec, s[90:91]
	s_cbranch_execz .LBB12_6033
.LBB12_6029:                            ;   Parent Loop BB12_47 Depth=1
                                        ;     Parent Loop BB12_5995 Depth=2
                                        ; =>    This Inner Loop Header: Depth=3
	s_add_i32 s9, s9, 1
	s_cmpk_lg_i32 s9, 0x2710
	s_cselect_b64 s[30:31], -1, 0
	s_and_b64 vcc, exec, s[30:31]
	s_cbranch_vccz .LBB12_6031
; %bb.6030:                             ;   in Loop: Header=BB12_6029 Depth=3
	s_mov_b64 vcc, -1
	s_or_b64 s[94:95], s[94:95], exec
	s_and_saveexec_b64 s[34:35], s[30:31]
	s_cbranch_execz .LBB12_6028
	s_branch .LBB12_6032
.LBB12_6031:                            ;   in Loop: Header=BB12_6029 Depth=3
	s_trap 2
	ds_read_b64 v[0:1], v0
	s_andn2_b64 s[30:31], s[30:31], exec
	s_mov_b32 s9, 0
	s_waitcnt vmcnt(0) lgkmcnt(0)
	flat_load_dword v0, v[0:1] glc
	s_waitcnt vmcnt(0) lgkmcnt(0)
	buffer_wbinvl1_vol
	v_cmp_eq_u32_e32 vcc, 0, v0
	s_and_b64 vcc, vcc, exec
	s_or_b64 s[30:31], s[30:31], vcc
	s_mov_b64 vcc, -1
	s_or_b64 s[94:95], s[94:95], exec
	s_and_saveexec_b64 s[34:35], s[30:31]
	s_cbranch_execz .LBB12_6028
.LBB12_6032:                            ;   in Loop: Header=BB12_6029 Depth=3
	s_sleep 1
	s_trap 2
	ds_read_b64 v[0:1], v0
	s_waitcnt lgkmcnt(0)
	buffer_load_dword v2, off, s[0:3], s33 offset:160 ; 4-byte Folded Reload
	buffer_load_dword v3, off, s[0:3], s33 offset:164 ; 4-byte Folded Reload
	s_andn2_b64 s[94:95], s[94:95], exec
	s_waitcnt vmcnt(0)
	v_cmp_ge_u64_e32 vcc, v[0:1], v[2:3]
	s_orn2_b64 vcc, vcc, exec
	s_branch .LBB12_6028
.LBB12_6033:                            ;   in Loop: Header=BB12_5995 Depth=2
	s_or_b64 exec, exec, s[90:91]
	s_and_saveexec_b64 s[90:91], s[92:93]
	s_xor_b64 s[90:91], exec, s[90:91]
	s_cbranch_execz .LBB12_6035
; %bb.6034:                             ;   in Loop: Header=BB12_5995 Depth=2
	v_mov_b32_e32 v0, 1
	ds_write_b32 v0, v0
	s_trap 2
.LBB12_6035:                            ;   in Loop: Header=BB12_5995 Depth=2
	s_or_b64 exec, exec, s[88:89]
	;;#ASMSTART
	s_wakeup
	;;#ASMEND
.LBB12_6036:                            ;   in Loop: Header=BB12_5995 Depth=2
	s_or_b64 exec, exec, s[78:79]
.LBB12_6037:                            ;   in Loop: Header=BB12_5995 Depth=2
	s_andn2_saveexec_b64 s[76:77], s[76:77]
	s_cbranch_execz .LBB12_6039
; %bb.6038:                             ;   in Loop: Header=BB12_5995 Depth=2
	s_waitcnt vmcnt(0) lgkmcnt(0)
	buffer_wbinvl1_vol
	s_barrier
.LBB12_6039:                            ;   in Loop: Header=BB12_5995 Depth=2
	s_or_b64 exec, exec, s[76:77]
.LBB12_6040:                            ;   in Loop: Header=BB12_5995 Depth=2
	s_or_b64 exec, exec, s[28:29]
	buffer_load_dword v0, off, s[0:3], s33 offset:156 ; 4-byte Folded Reload
	s_waitcnt vmcnt(0)
	v_and_b32_e32 v0, 16, v0
	s_and_saveexec_b64 s[28:29], s[24:25]
	s_xor_b64 s[28:29], exec, s[28:29]
	s_cbranch_execz .LBB12_6044
; %bb.6041:                             ;   in Loop: Header=BB12_5995 Depth=2
	s_trap 2
	buffer_load_dword v1, off, s[0:3], s33 offset:156 ; 4-byte Folded Reload
	ds_read_b32 v0, v0
	v_cmp_lt_i32_e32 vcc, 0, v10
	s_waitcnt lgkmcnt(0)
	v_readfirstlane_b32 s9, v0
	s_cmp_eq_u32 s9, 0
	s_cselect_b64 s[76:77], -1, 0
	s_and_b64 s[76:77], vcc, s[76:77]
	s_waitcnt vmcnt(0)
	v_and_b32_e32 v0, 16, v1
	v_and_b32_e32 v1, 16, v1
	v_cmp_ne_u32_e32 vcc, 0, v1
	s_and_b64 s[78:79], vcc, s[76:77]
	s_and_saveexec_b64 s[76:77], s[78:79]
	s_cbranch_execz .LBB12_6043
; %bb.6042:                             ;   in Loop: Header=BB12_5995 Depth=2
	v_mov_b32_e32 v0, 1
	buffer_wbinvl1_vol
.LBB12_6043:                            ;   in Loop: Header=BB12_5995 Depth=2
	s_or_b64 exec, exec, s[76:77]
.LBB12_6044:                            ;   in Loop: Header=BB12_5995 Depth=2
	s_andn2_saveexec_b64 s[28:29], s[28:29]
	s_cbranch_execz .LBB12_6063
; %bb.6045:                             ;   in Loop: Header=BB12_5995 Depth=2
	s_and_saveexec_b64 s[76:77], s[56:57]
	s_xor_b64 s[76:77], exec, s[76:77]
	s_cbranch_execz .LBB12_6060
; %bb.6046:                             ;   in Loop: Header=BB12_5995 Depth=2
	s_and_saveexec_b64 s[78:79], s[16:17]
	s_cbranch_execz .LBB12_6059
; %bb.6047:                             ;   in Loop: Header=BB12_5995 Depth=2
	s_mov_b64 s[90:91], exec
	v_mbcnt_lo_u32_b32 v1, s90, 0
	v_mbcnt_hi_u32_b32 v1, s91, v1
	v_cmp_eq_u32_e32 vcc, 0, v1
	;;#ASMSTART
	s_waitcnt lgkmcnt(0) vmcnt(0)
	;;#ASMEND
	s_and_saveexec_b64 s[88:89], vcc
	s_cbranch_execz .LBB12_6049
; %bb.6048:                             ;   in Loop: Header=BB12_5995 Depth=2
	buffer_load_dword v2, off, s[0:3], s33 offset:128 ; 4-byte Folded Reload
	buffer_load_dword v3, off, s[0:3], s33 offset:132 ; 4-byte Folded Reload
	s_bcnt1_i32_b64 s9, s[90:91]
	v_mov_b32_e32 v1, s9
	s_waitcnt vmcnt(0) lgkmcnt(0)
	ds_add_u64 v0, v[1:2]
	s_trap 2
.LBB12_6049:                            ;   in Loop: Header=BB12_5995 Depth=2
	s_or_b64 exec, exec, s[88:89]
	s_trap 2
	ds_read_b64 v[1:2], v0
	s_waitcnt lgkmcnt(0)
	buffer_load_dword v3, off, s[0:3], s33 offset:152 ; 4-byte Folded Reload
	buffer_load_dword v4, off, s[0:3], s33 offset:160 ; 4-byte Folded Reload
	;; [unrolled: 1-line block ×3, first 2 shown]
	s_waitcnt vmcnt(1)
	v_add_co_u32_e32 v4, vcc, v4, v3
	s_waitcnt vmcnt(0)
	v_addc_co_u32_e32 v5, vcc, 0, v5, vcc
	buffer_store_dword v4, off, s[0:3], s33 offset:160 ; 4-byte Folded Spill
	s_nop 0
	buffer_store_dword v5, off, s[0:3], s33 offset:164 ; 4-byte Folded Spill
	v_cmp_lt_u64_e32 vcc, v[1:2], v[4:5]
	s_and_saveexec_b64 s[88:89], vcc
	s_cbranch_execz .LBB12_6058
; %bb.6050:                             ;   in Loop: Header=BB12_5995 Depth=2
	s_mov_b32 s9, 0
	s_mov_b64 s[90:91], 0
                                        ; implicit-def: $sgpr92_sgpr93
                                        ; implicit-def: $sgpr94_sgpr95
	s_branch .LBB12_6052
.LBB12_6051:                            ;   in Loop: Header=BB12_6052 Depth=3
	s_or_b64 exec, exec, s[34:35]
	s_and_b64 vcc, exec, vcc
	s_or_b64 s[90:91], vcc, s[90:91]
	s_andn2_b64 s[92:93], s[92:93], exec
	s_and_b64 vcc, s[94:95], exec
	s_or_b64 s[92:93], s[92:93], vcc
	s_andn2_b64 exec, exec, s[90:91]
	s_cbranch_execz .LBB12_6056
.LBB12_6052:                            ;   Parent Loop BB12_47 Depth=1
                                        ;     Parent Loop BB12_5995 Depth=2
                                        ; =>    This Inner Loop Header: Depth=3
	s_add_i32 s9, s9, 1
	s_cmpk_lg_i32 s9, 0x2710
	s_cselect_b64 s[30:31], -1, 0
	s_and_b64 vcc, exec, s[30:31]
	s_cbranch_vccz .LBB12_6054
; %bb.6053:                             ;   in Loop: Header=BB12_6052 Depth=3
	s_mov_b64 vcc, -1
	s_or_b64 s[94:95], s[94:95], exec
	s_and_saveexec_b64 s[34:35], s[30:31]
	s_cbranch_execz .LBB12_6051
	s_branch .LBB12_6055
.LBB12_6054:                            ;   in Loop: Header=BB12_6052 Depth=3
	s_trap 2
	ds_read_b64 v[1:2], v0
	s_andn2_b64 s[30:31], s[30:31], exec
	s_mov_b32 s9, 0
	s_waitcnt vmcnt(0) lgkmcnt(0)
	flat_load_dword v1, v[1:2] glc
	s_waitcnt vmcnt(0) lgkmcnt(0)
	buffer_wbinvl1_vol
	v_cmp_eq_u32_e32 vcc, 0, v1
	s_and_b64 vcc, vcc, exec
	s_or_b64 s[30:31], s[30:31], vcc
	s_mov_b64 vcc, -1
	s_or_b64 s[94:95], s[94:95], exec
	s_and_saveexec_b64 s[34:35], s[30:31]
	s_cbranch_execz .LBB12_6051
.LBB12_6055:                            ;   in Loop: Header=BB12_6052 Depth=3
	s_sleep 1
	s_trap 2
	ds_read_b64 v[1:2], v0
	s_waitcnt lgkmcnt(0)
	buffer_load_dword v3, off, s[0:3], s33 offset:160 ; 4-byte Folded Reload
	buffer_load_dword v4, off, s[0:3], s33 offset:164 ; 4-byte Folded Reload
	s_andn2_b64 s[94:95], s[94:95], exec
	s_waitcnt vmcnt(0)
	v_cmp_ge_u64_e32 vcc, v[1:2], v[3:4]
	s_orn2_b64 vcc, vcc, exec
	s_branch .LBB12_6051
.LBB12_6056:                            ;   in Loop: Header=BB12_5995 Depth=2
	s_or_b64 exec, exec, s[90:91]
	s_and_saveexec_b64 s[90:91], s[92:93]
	s_xor_b64 s[90:91], exec, s[90:91]
	s_cbranch_execz .LBB12_6058
; %bb.6057:                             ;   in Loop: Header=BB12_5995 Depth=2
	v_mov_b32_e32 v1, 1
	ds_write_b32 v0, v1
	s_trap 2
.LBB12_6058:                            ;   in Loop: Header=BB12_5995 Depth=2
	s_or_b64 exec, exec, s[88:89]
	;;#ASMSTART
	s_wakeup
	;;#ASMEND
.LBB12_6059:                            ;   in Loop: Header=BB12_5995 Depth=2
	s_or_b64 exec, exec, s[78:79]
.LBB12_6060:                            ;   in Loop: Header=BB12_5995 Depth=2
	s_andn2_saveexec_b64 s[76:77], s[76:77]
	s_cbranch_execz .LBB12_6062
; %bb.6061:                             ;   in Loop: Header=BB12_5995 Depth=2
	;;#ASMSTART
	s_waitcnt lgkmcnt(0) vmcnt(0)
	;;#ASMEND
	s_waitcnt vmcnt(0) lgkmcnt(0)
	s_barrier
.LBB12_6062:                            ;   in Loop: Header=BB12_5995 Depth=2
	s_or_b64 exec, exec, s[76:77]
.LBB12_6063:                            ;   in Loop: Header=BB12_5995 Depth=2
	s_or_b64 exec, exec, s[28:29]
	v_cmp_ne_u32_e32 vcc, 0, v0
	s_xor_b64 s[28:29], s[12:13], -1
	s_and_b64 s[76:77], vcc, s[28:29]
	s_and_saveexec_b64 s[28:29], s[76:77]
	s_cbranch_execz .LBB12_6065
; %bb.6064:                             ;   in Loop: Header=BB12_5995 Depth=2
	buffer_load_dword v0, off, s[0:3], s33 offset:548 ; 4-byte Folded Reload
	buffer_load_dword v1, off, s[0:3], s33 offset:552 ; 4-byte Folded Reload
	v_mov_b32_e32 v2, 1
	s_waitcnt vmcnt(0)
	flat_store_dword v[0:1], v2
.LBB12_6065:                            ;   in Loop: Header=BB12_5995 Depth=2
	s_or_b64 exec, exec, s[28:29]
	buffer_load_dword v0, off, s[0:3], s33 offset:156 ; 4-byte Folded Reload
	s_waitcnt vmcnt(0)
	v_and_b32_e32 v0, 48, v0
	v_cmp_ne_u32_e32 vcc, 0, v0
	s_and_saveexec_b64 s[28:29], vcc
	s_cbranch_execz .LBB12_5994
; %bb.6066:                             ;   in Loop: Header=BB12_5995 Depth=2
	buffer_load_dword v2, off, s[0:3], s33 offset:256 ; 4-byte Folded Reload
	buffer_load_dword v3, off, s[0:3], s33 offset:260 ; 4-byte Folded Reload
	;; [unrolled: 1-line block ×4, first 2 shown]
	s_waitcnt vmcnt(0)
	v_add_co_u32_e32 v2, vcc, 2, v2
	v_addc_co_u32_e32 v3, vcc, 0, v3, vcc
	buffer_store_dword v2, off, s[0:3], s33 offset:256 ; 4-byte Folded Spill
	s_nop 0
	buffer_store_dword v3, off, s[0:3], s33 offset:260 ; 4-byte Folded Spill
	flat_store_dwordx2 v[0:1], v[2:3]
	s_branch .LBB12_5994
.LBB12_6067:                            ;   in Loop: Header=BB12_47 Depth=1
	s_or_b64 exec, exec, s[78:79]
	s_or_b64 exec, exec, s[76:77]
	v_cmp_gt_i32_e32 vcc, 2, v2
	s_and_saveexec_b64 s[40:41], vcc
	s_cbranch_execnz .LBB12_5993
.LBB12_6068:                            ;   in Loop: Header=BB12_47 Depth=1
	s_or_b64 exec, exec, s[40:41]
	s_and_b64 vcc, exec, s[26:27]
	s_cbranch_vccz .LBB12_6070
	s_branch .LBB12_6392
.LBB12_6069:                            ;   in Loop: Header=BB12_47 Depth=1
	s_or_b64 exec, exec, s[42:43]
	s_or_b64 exec, exec, s[40:41]
	s_and_b64 vcc, exec, s[26:27]
	s_cbranch_vccnz .LBB12_6392
.LBB12_6070:                            ;   in Loop: Header=BB12_47 Depth=1
	s_mov_b32 s45, 1
.LBB12_6071:                            ;   Parent Loop BB12_47 Depth=1
                                        ; =>  This Loop Header: Depth=2
                                        ;       Child Loop BB12_6074 Depth 3
                                        ;         Child Loop BB12_6082 Depth 4
                                        ;         Child Loop BB12_6110 Depth 4
	;; [unrolled: 1-line block ×5, first 2 shown]
                                        ;           Child Loop BB12_6172 Depth 5
                                        ;           Child Loop BB12_6177 Depth 5
                                        ;         Child Loop BB12_6183 Depth 4
                                        ;         Child Loop BB12_6191 Depth 4
                                        ;         Child Loop BB12_6201 Depth 4
                                        ;           Child Loop BB12_6203 Depth 5
                                        ;           Child Loop BB12_6208 Depth 5
                                        ;         Child Loop BB12_6212 Depth 4
                                        ;         Child Loop BB12_6224 Depth 4
	;; [unrolled: 1-line block ×7, first 2 shown]
                                        ;       Child Loop BB12_6316 Depth 3
                                        ;         Child Loop BB12_6322 Depth 4
                                        ;         Child Loop BB12_6350 Depth 4
                                        ;         Child Loop BB12_6373 Depth 4
	buffer_load_dword v4, off, s[0:3], s33 offset:680 ; 4-byte Folded Reload
	buffer_load_dword v5, off, s[0:3], s33 offset:684 ; 4-byte Folded Reload
	s_sub_i32 s9, s67, s45
	s_cmp_ge_i32 s9, s52
	s_cselect_b32 s26, s52, 0
	s_sub_i32 s9, s9, s26
	s_ashr_i32 s28, s9, 31
	v_mov_b32_e32 v43, 0
	s_waitcnt vmcnt(0)
	v_mad_u64_u32 v[0:1], s[26:27], v4, s9, 0
	v_mul_lo_u32 v2, v5, s9
	v_mul_lo_u32 v3, v4, s28
	v_add3_u32 v1, v1, v3, v2
	buffer_load_dword v2, off, s[0:3], s33 offset:672 ; 4-byte Folded Reload
	buffer_load_dword v3, off, s[0:3], s33 offset:676 ; 4-byte Folded Reload
	s_waitcnt vmcnt(0)
	v_sub_co_u32_e32 v2, vcc, v2, v0
	v_subb_co_u32_e32 v3, vcc, v3, v1, vcc
	v_cmp_lt_i64_e32 vcc, v[4:5], v[2:3]
	v_cndmask_b32_e32 v2, v2, v4, vcc
	v_max_i32_e32 v40, 0, v2
	v_add_u32_e32 v3, 31, v40
	v_lshrrev_b32_e32 v3, 1, v3
	v_and_b32_e32 v3, 0x3ffffff0, v3
	v_cmp_lt_i32_e32 vcc, 0, v2
	v_max_i32_e32 v41, s70, v3
	s_and_b64 s[26:27], s[72:73], vcc
	v_mov_b32_e32 v2, 0
	s_and_saveexec_b64 s[42:43], s[26:27]
	s_cbranch_execz .LBB12_6313
; %bb.6072:                             ;   in Loop: Header=BB12_6071 Depth=2
	buffer_load_dword v2, off, s[0:3], s33 offset:584 ; 4-byte Folded Reload
	buffer_load_dword v3, off, s[0:3], s33 offset:588 ; 4-byte Folded Reload
	s_mov_b32 s75, 1
	s_mov_b64 s[78:79], -1
	v_mov_b32_e32 v43, 0
	s_mov_b64 s[76:77], 0
	s_waitcnt vmcnt(0)
	v_add_co_u32_e32 v0, vcc, v0, v2
	v_addc_co_u32_e32 v1, vcc, v1, v3, vcc
	v_lshlrev_b64 v[45:46], 1, v[0:1]
	buffer_store_dword v40, off, s[0:3], s33 offset:340 ; 4-byte Folded Spill
	buffer_store_dword v45, off, s[0:3], s33 offset:344 ; 4-byte Folded Spill
	s_nop 0
	buffer_store_dword v46, off, s[0:3], s33 offset:348 ; 4-byte Folded Spill
	s_branch .LBB12_6074
.LBB12_6073:                            ;   in Loop: Header=BB12_6074 Depth=3
	s_or_b64 exec, exec, s[26:27]
	v_add_u32_e32 v43, v41, v43
	v_cmp_ge_i32_e32 vcc, v43, v40
	s_xor_b64 s[26:27], s[78:79], -1
	s_or_b64 s[26:27], s[26:27], vcc
	s_and_b64 s[26:27], exec, s[26:27]
	s_or_b64 s[76:77], s[26:27], s[76:77]
	s_mov_b64 s[78:79], 0
	v_mov_b32_e32 v2, s75
	s_mov_b32 s75, 2
	s_andn2_b64 exec, exec, s[76:77]
	s_cbranch_execz .LBB12_6388
.LBB12_6074:                            ;   Parent Loop BB12_47 Depth=1
                                        ;     Parent Loop BB12_6071 Depth=2
                                        ; =>    This Loop Header: Depth=3
                                        ;         Child Loop BB12_6082 Depth 4
                                        ;         Child Loop BB12_6110 Depth 4
                                        ;         Child Loop BB12_6129 Depth 4
                                        ;         Child Loop BB12_6152 Depth 4
                                        ;         Child Loop BB12_6170 Depth 4
                                        ;           Child Loop BB12_6172 Depth 5
                                        ;           Child Loop BB12_6177 Depth 5
                                        ;         Child Loop BB12_6183 Depth 4
                                        ;         Child Loop BB12_6191 Depth 4
	;; [unrolled: 1-line block ×3, first 2 shown]
                                        ;           Child Loop BB12_6203 Depth 5
                                        ;           Child Loop BB12_6208 Depth 5
                                        ;         Child Loop BB12_6212 Depth 4
                                        ;         Child Loop BB12_6224 Depth 4
	;; [unrolled: 1-line block ×7, first 2 shown]
	s_and_saveexec_b64 s[26:27], s[4:5]
	s_cbranch_execz .LBB12_6076
; %bb.6075:                             ;   in Loop: Header=BB12_6074 Depth=3
	s_trap 2
	ds_read_b128 v[0:3], v0
	v_ashrrev_i32_e32 v44, 31, v43
	s_waitcnt lgkmcnt(0)
	v_add_co_u32_e32 v4, vcc, v0, v45
	v_addc_co_u32_e32 v5, vcc, v1, v46, vcc
	v_lshlrev_b64 v[0:1], 1, v[43:44]
	v_add_co_u32_e32 v4, vcc, v4, v0
	v_addc_co_u32_e32 v5, vcc, v5, v1, vcc
	ds_write_b64 v0, v[4:5]
	v_add_co_u32_e32 v4, vcc, v2, v45
	v_addc_co_u32_e32 v5, vcc, v3, v46, vcc
	v_add_co_u32_e32 v0, vcc, v4, v0
	v_addc_co_u32_e32 v1, vcc, v5, v1, vcc
	v_cmp_ne_u64_e32 vcc, 0, v[2:3]
	v_cndmask_b32_e32 v1, 0, v1, vcc
	v_cndmask_b32_e32 v0, 0, v0, vcc
	ds_write_b64 v0, v[0:1]
.LBB12_6076:                            ;   in Loop: Header=BB12_6074 Depth=3
	s_or_b64 exec, exec, s[26:27]
	v_sub_u32_e32 v0, v40, v43
	v_min_i32_e32 v41, v41, v0
	buffer_load_dword v0, off, s[0:3], s33 offset:156 ; 4-byte Folded Reload
	s_waitcnt vmcnt(0)
	v_and_b32_e32 v0, 12, v0
	v_cmp_ne_u32_e32 vcc, 0, v0
	s_and_saveexec_b64 s[28:29], vcc
	s_cbranch_execz .LBB12_6102
; %bb.6077:                             ;   in Loop: Header=BB12_6074 Depth=3
	buffer_load_dword v0, off, s[0:3], s33 offset:156 ; 4-byte Folded Reload
	s_waitcnt vmcnt(0)
	v_and_b32_e32 v8, 8, v0
	buffer_load_dword v0, off, s[0:3], s33 offset:136 ; 4-byte Folded Reload
	buffer_load_dword v1, off, s[0:3], s33 offset:140 ; 4-byte Folded Reload
	s_waitcnt vmcnt(0)
	v_add_co_u32_e32 v2, vcc, v0, v8
	v_addc_co_u32_e32 v3, vcc, 0, v1, vcc
	buffer_load_dword v0, off, s[0:3], s33 offset:256 ; 4-byte Folded Reload
	buffer_load_dword v1, off, s[0:3], s33 offset:260 ; 4-byte Folded Reload
	s_waitcnt vmcnt(0)
	v_add_co_u32_e32 v0, vcc, 2, v0
	v_addc_co_u32_e32 v1, vcc, 0, v1, vcc
	v_cmp_lt_u64_e32 vcc, v[2:3], v[0:1]
	s_and_saveexec_b64 s[40:41], vcc
	s_cbranch_execz .LBB12_6089
; %bb.6078:                             ;   in Loop: Header=BB12_6074 Depth=3
	buffer_load_dword v2, off, s[0:3], s33 offset:156 ; 4-byte Folded Reload
	s_mov_b32 s9, 0
	s_mov_b64 s[88:89], 0
                                        ; implicit-def: $sgpr90_sgpr91
                                        ; implicit-def: $sgpr92_sgpr93
                                        ; implicit-def: $sgpr94_sgpr95
	s_waitcnt vmcnt(0)
	v_and_b32_e32 v2, 64, v2
	v_cmp_eq_u32_e32 vcc, 0, v2
	s_branch .LBB12_6082
.LBB12_6079:                            ;   in Loop: Header=BB12_6082 Depth=4
	buffer_load_dword v3, off, s[0:3], s33 offset:136 ; 4-byte Folded Reload
	buffer_load_dword v4, off, s[0:3], s33 offset:140 ; 4-byte Folded Reload
	s_or_b64 s[36:37], s[36:37], exec
	s_waitcnt vmcnt(1)
	v_add_co_u32_e64 v3, s[26:27], v3, v8
	s_waitcnt vmcnt(0)
	v_addc_co_u32_e64 v4, s[26:27], 0, v4, s[26:27]
	v_cmp_ge_u64_e64 s[26:27], v[3:4], v[0:1]
	s_orn2_b64 s[34:35], s[26:27], exec
.LBB12_6080:                            ;   in Loop: Header=BB12_6082 Depth=4
	s_or_b64 exec, exec, s[48:49]
	s_andn2_b64 s[26:27], s[94:95], exec
	s_and_b64 s[94:95], s[36:37], exec
	s_or_b64 s[94:95], s[26:27], s[94:95]
	s_andn2_b64 s[26:27], s[92:93], exec
	s_and_b64 s[92:93], s[34:35], exec
	s_or_b64 s[92:93], s[26:27], s[92:93]
.LBB12_6081:                            ;   in Loop: Header=BB12_6082 Depth=4
	s_or_b64 exec, exec, s[30:31]
	s_and_b64 s[26:27], exec, s[92:93]
	s_or_b64 s[88:89], s[26:27], s[88:89]
	s_andn2_b64 s[26:27], s[90:91], exec
	s_and_b64 s[90:91], s[94:95], exec
	s_or_b64 s[90:91], s[26:27], s[90:91]
	s_andn2_b64 exec, exec, s[88:89]
	s_cbranch_execz .LBB12_6086
.LBB12_6082:                            ;   Parent Loop BB12_47 Depth=1
                                        ;     Parent Loop BB12_6071 Depth=2
                                        ;       Parent Loop BB12_6074 Depth=3
                                        ; =>      This Inner Loop Header: Depth=4
	s_sleep 1
	buffer_load_dword v2, off, s[0:3], s33 offset:144 ; 4-byte Folded Reload
	buffer_load_dword v3, off, s[0:3], s33 offset:148 ; 4-byte Folded Reload
	s_or_b64 s[94:95], s[94:95], exec
	s_or_b64 s[92:93], s[92:93], exec
	s_waitcnt vmcnt(0)
	flat_load_dwordx2 v[2:3], v[2:3] glc
	s_waitcnt vmcnt(0) lgkmcnt(0)
	buffer_store_dword v2, off, s[0:3], s33 offset:136 ; 4-byte Folded Spill
	s_nop 0
	buffer_store_dword v3, off, s[0:3], s33 offset:140 ; 4-byte Folded Spill
                                        ; implicit-def: $vgpr2
	s_and_saveexec_b64 s[30:31], vcc
	s_cbranch_execz .LBB12_6081
; %bb.6083:                             ;   in Loop: Header=BB12_6082 Depth=4
	s_cmpk_lt_i32 s9, 0x270f
	s_cselect_b64 s[38:39], -1, 0
	s_cmpk_gt_i32 s9, 0x270e
	s_mov_b64 s[34:35], -1
	s_cbranch_scc0 .LBB12_6085
; %bb.6084:                             ;   in Loop: Header=BB12_6082 Depth=4
	s_trap 2
	ds_read_b64 v[2:3], v0
	s_andn2_b64 s[38:39], s[38:39], exec
	s_mov_b32 s9, 0
	s_mov_b64 s[36:37], 0
	s_waitcnt vmcnt(0) lgkmcnt(0)
	flat_load_dword v2, v[2:3] glc
	s_waitcnt vmcnt(0) lgkmcnt(0)
	buffer_wbinvl1_vol
	v_cmp_eq_u32_e64 s[26:27], 0, v2
	s_and_b64 s[26:27], s[26:27], exec
	s_or_b64 s[38:39], s[38:39], s[26:27]
	s_and_saveexec_b64 s[48:49], s[38:39]
	s_cbranch_execz .LBB12_6080
	s_branch .LBB12_6079
.LBB12_6085:                            ;   in Loop: Header=BB12_6082 Depth=4
	s_add_i32 s9, s9, 1
	s_mov_b64 s[36:37], -1
                                        ; implicit-def: $vgpr2
	s_and_saveexec_b64 s[48:49], s[38:39]
	s_cbranch_execz .LBB12_6080
	s_branch .LBB12_6079
.LBB12_6086:                            ;   in Loop: Header=BB12_6074 Depth=3
	s_or_b64 exec, exec, s[88:89]
	s_xor_b64 s[26:27], s[90:91], -1
	s_and_saveexec_b64 s[88:89], s[26:27]
	s_xor_b64 s[26:27], exec, s[88:89]
	s_cbranch_execz .LBB12_6088
; %bb.6087:                             ;   in Loop: Header=BB12_6074 Depth=3
	ds_write_b32 v0, v2
	s_trap 2
	buffer_load_dword v2, off, s[0:3], s33 offset:156 ; 4-byte Folded Reload
	s_waitcnt vmcnt(0)
	v_or_b32_e32 v2, 64, v2
	buffer_store_dword v2, off, s[0:3], s33 offset:156 ; 4-byte Folded Spill
.LBB12_6088:                            ;   in Loop: Header=BB12_6074 Depth=3
	s_or_b64 exec, exec, s[26:27]
.LBB12_6089:                            ;   in Loop: Header=BB12_6074 Depth=3
	s_or_b64 exec, exec, s[40:41]
	;;#ASMSTART
	s_wakeup
	;;#ASMEND
	buffer_load_dword v2, off, s[0:3], s33 offset:156 ; 4-byte Folded Reload
	s_waitcnt vmcnt(0)
	v_and_b32_e32 v2, 0x108, v2
	v_cmp_ne_u32_e32 vcc, s44, v2
                                        ; implicit-def: $vgpr2_vgpr3
	s_and_saveexec_b64 s[26:27], vcc
	s_xor_b64 s[26:27], exec, s[26:27]
	s_cbranch_execz .LBB12_6091
; %bb.6090:                             ;   in Loop: Header=BB12_6074 Depth=3
	buffer_load_dword v2, off, s[0:3], s33 offset:256 ; 4-byte Folded Reload
	buffer_load_dword v3, off, s[0:3], s33 offset:260 ; 4-byte Folded Reload
	;; [unrolled: 1-line block ×4, first 2 shown]
                                        ; implicit-def: $vgpr4_vgpr5
                                        ; kill: killed $vgpr4_vgpr5
	s_waitcnt vmcnt(0)
	v_and_b32_e32 v2, 7, v2
.LBB12_6091:                            ;   in Loop: Header=BB12_6074 Depth=3
	s_andn2_saveexec_b64 s[26:27], s[26:27]
	s_cbranch_execz .LBB12_6093
; %bb.6092:                             ;   in Loop: Header=BB12_6074 Depth=3
	buffer_load_dword v2, off, s[0:3], s33 offset:256 ; 4-byte Folded Reload
	buffer_load_dword v3, off, s[0:3], s33 offset:260 ; 4-byte Folded Reload
	;; [unrolled: 1-line block ×8, first 2 shown]
	v_ashrrev_i32_e32 v42, 31, v41
	s_waitcnt vmcnt(0)
	v_lshlrev_b64 v[6:7], 1, v[41:42]
	v_and_b32_e32 v2, 7, v2
	v_mad_u64_u32 v[4:5], s[40:41], v2, 24, v[3:4]
	v_mov_b32_e32 v3, v9
	flat_store_dwordx2 v[4:5], v[6:7] offset:8
.LBB12_6093:                            ;   in Loop: Header=BB12_6074 Depth=3
	s_or_b64 exec, exec, s[26:27]
	buffer_load_dword v4, off, s[0:3], s33 offset:156 ; 4-byte Folded Reload
	s_mov_b64 s[26:27], -1
	s_waitcnt vmcnt(0)
	v_and_b32_e32 v4, 0x100, v4
	v_cmp_ne_u32_e32 vcc, 0, v4
                                        ; implicit-def: $vgpr4_vgpr5
	s_and_saveexec_b64 s[40:41], vcc
	s_cbranch_execz .LBB12_6097
; %bb.6094:                             ;   in Loop: Header=BB12_6074 Depth=3
	buffer_load_dword v4, off, s[0:3], s33 offset:532 ; 4-byte Folded Reload
	buffer_load_dword v5, off, s[0:3], s33 offset:536 ; 4-byte Folded Reload
	;; [unrolled: 1-line block ×4, first 2 shown]
	s_waitcnt vmcnt(0)
	v_mad_u64_u32 v[6:7], s[26:27], v2, 24, v[4:5]
	v_mov_b32_e32 v4, v7
	v_mad_u64_u32 v[4:5], s[26:27], v3, 24, v[4:5]
	v_mov_b32_e32 v7, v4
	flat_load_dword v4, v[6:7]
	s_waitcnt vmcnt(0) lgkmcnt(0)
	v_cmp_ne_u32_e32 vcc, 1, v4
	v_cmp_eq_u32_e64 s[26:27], 1, v4
                                        ; implicit-def: $vgpr4_vgpr5
	s_and_saveexec_b64 s[88:89], s[26:27]
	s_cbranch_execz .LBB12_6096
; %bb.6095:                             ;   in Loop: Header=BB12_6074 Depth=3
	flat_load_dword v4, v[6:7] offset:4 glc
	s_waitcnt vmcnt(0) lgkmcnt(0)
	v_ashrrev_i32_e32 v5, 31, v4
	v_lshrrev_b64 v[4:5], 1, v[4:5]
.LBB12_6096:                            ;   in Loop: Header=BB12_6074 Depth=3
	s_or_b64 exec, exec, s[88:89]
	s_orn2_b64 s[26:27], vcc, exec
.LBB12_6097:                            ;   in Loop: Header=BB12_6074 Depth=3
	s_or_b64 exec, exec, s[40:41]
	s_and_saveexec_b64 s[40:41], s[26:27]
	s_cbranch_execz .LBB12_6099
; %bb.6098:                             ;   in Loop: Header=BB12_6074 Depth=3
	buffer_load_dword v4, off, s[0:3], s33 offset:564 ; 4-byte Folded Reload
	buffer_load_dword v5, off, s[0:3], s33 offset:576 ; 4-byte Folded Reload
	s_waitcnt vmcnt(0)
	v_mul_lo_u32 v3, v3, v4
	v_mul_lo_u32 v6, v2, v5
	v_mad_u64_u32 v[4:5], s[26:27], v2, v4, 0
	v_add3_u32 v5, v5, v6, v3
.LBB12_6099:                            ;   in Loop: Header=BB12_6074 Depth=3
	s_or_b64 exec, exec, s[40:41]
	v_cmp_eq_u32_e32 vcc, 0, v8
	v_mov_b32_e32 v2, 0xd0
	v_mov_b32_e32 v3, 0x88
	v_cndmask_b32_e32 v6, v2, v3, vcc
	v_lshlrev_b64 v[2:3], 1, v[4:5]
	buffer_load_dword v4, off, s[0:3], s33 offset:524 ; 4-byte Folded Reload
	buffer_load_dword v5, off, s[0:3], s33 offset:528 ; 4-byte Folded Reload
	s_waitcnt vmcnt(0)
	v_add_co_u32_e32 v2, vcc, v4, v2
	v_addc_co_u32_e32 v3, vcc, v5, v3, vcc
	v_add_u32_e32 v4, v0, v6
	ds_write_b64 v4, v[2:3] offset:584
	buffer_load_dword v2, off, s[0:3], s33 offset:156 ; 4-byte Folded Reload
	s_waitcnt vmcnt(0)
	v_and_b32_e32 v2, 0x2000, v2
	v_cmp_ne_u32_e32 vcc, 0, v2
	s_and_saveexec_b64 s[26:27], vcc
	s_cbranch_execz .LBB12_6101
; %bb.6100:                             ;   in Loop: Header=BB12_6074 Depth=3
	ds_read_b64 v[2:3], v0 offset:872
	s_waitcnt lgkmcnt(0)
	v_add_co_u32_e32 v2, vcc, 1, v2
	v_addc_co_u32_e32 v3, vcc, 0, v3, vcc
	ds_write_b64 v0, v[2:3] offset:872
.LBB12_6101:                            ;   in Loop: Header=BB12_6074 Depth=3
	s_or_b64 exec, exec, s[26:27]
	buffer_store_dword v0, off, s[0:3], s33 offset:256 ; 4-byte Folded Spill
	s_nop 0
	buffer_store_dword v1, off, s[0:3], s33 offset:260 ; 4-byte Folded Spill
.LBB12_6102:                            ;   in Loop: Header=BB12_6074 Depth=3
	s_or_b64 exec, exec, s[28:29]
	s_and_saveexec_b64 s[26:27], s[10:11]
	s_cbranch_execz .LBB12_6121
; %bb.6103:                             ;   in Loop: Header=BB12_6074 Depth=3
	s_and_saveexec_b64 s[28:29], s[56:57]
	s_xor_b64 s[28:29], exec, s[28:29]
	s_cbranch_execz .LBB12_6118
; %bb.6104:                             ;   in Loop: Header=BB12_6074 Depth=3
	s_and_saveexec_b64 s[40:41], s[16:17]
	s_cbranch_execz .LBB12_6117
; %bb.6105:                             ;   in Loop: Header=BB12_6074 Depth=3
	s_mov_b64 s[90:91], exec
	v_mbcnt_lo_u32_b32 v0, s90, 0
	v_mbcnt_hi_u32_b32 v0, s91, v0
	v_cmp_eq_u32_e32 vcc, 0, v0
	s_waitcnt vmcnt(0) lgkmcnt(0)
	buffer_wbinvl1_vol
	s_and_saveexec_b64 s[88:89], vcc
	s_cbranch_execz .LBB12_6107
; %bb.6106:                             ;   in Loop: Header=BB12_6074 Depth=3
	buffer_load_dword v1, off, s[0:3], s33 offset:128 ; 4-byte Folded Reload
	buffer_load_dword v2, off, s[0:3], s33 offset:132 ; 4-byte Folded Reload
	s_bcnt1_i32_b64 s9, s[90:91]
	v_mov_b32_e32 v0, s9
	s_waitcnt vmcnt(1)
	ds_add_u64 v0, v[0:1]
	s_trap 2
.LBB12_6107:                            ;   in Loop: Header=BB12_6074 Depth=3
	s_or_b64 exec, exec, s[88:89]
	s_trap 2
	ds_read_b64 v[0:1], v0
	s_waitcnt lgkmcnt(0)
	buffer_load_dword v2, off, s[0:3], s33 offset:152 ; 4-byte Folded Reload
	buffer_load_dword v3, off, s[0:3], s33 offset:160 ; 4-byte Folded Reload
	;; [unrolled: 1-line block ×3, first 2 shown]
	s_waitcnt vmcnt(1)
	v_add_co_u32_e32 v3, vcc, v3, v2
	s_waitcnt vmcnt(0)
	v_addc_co_u32_e32 v4, vcc, 0, v4, vcc
	buffer_store_dword v3, off, s[0:3], s33 offset:160 ; 4-byte Folded Spill
	s_nop 0
	buffer_store_dword v4, off, s[0:3], s33 offset:164 ; 4-byte Folded Spill
	v_cmp_lt_u64_e32 vcc, v[0:1], v[3:4]
	s_and_saveexec_b64 s[88:89], vcc
	s_cbranch_execz .LBB12_6116
; %bb.6108:                             ;   in Loop: Header=BB12_6074 Depth=3
	s_mov_b32 s9, 0
	s_mov_b64 s[90:91], 0
                                        ; implicit-def: $sgpr92_sgpr93
                                        ; implicit-def: $sgpr94_sgpr95
	s_branch .LBB12_6110
.LBB12_6109:                            ;   in Loop: Header=BB12_6110 Depth=4
	s_or_b64 exec, exec, s[34:35]
	s_and_b64 vcc, exec, vcc
	s_or_b64 s[90:91], vcc, s[90:91]
	s_andn2_b64 s[92:93], s[92:93], exec
	s_and_b64 vcc, s[94:95], exec
	s_or_b64 s[92:93], s[92:93], vcc
	s_andn2_b64 exec, exec, s[90:91]
	s_cbranch_execz .LBB12_6114
.LBB12_6110:                            ;   Parent Loop BB12_47 Depth=1
                                        ;     Parent Loop BB12_6071 Depth=2
                                        ;       Parent Loop BB12_6074 Depth=3
                                        ; =>      This Inner Loop Header: Depth=4
	s_add_i32 s9, s9, 1
	s_cmpk_lg_i32 s9, 0x2710
	s_cselect_b64 s[30:31], -1, 0
	s_and_b64 vcc, exec, s[30:31]
	s_cbranch_vccz .LBB12_6112
; %bb.6111:                             ;   in Loop: Header=BB12_6110 Depth=4
	s_mov_b64 vcc, -1
	s_or_b64 s[94:95], s[94:95], exec
	s_and_saveexec_b64 s[34:35], s[30:31]
	s_cbranch_execz .LBB12_6109
	s_branch .LBB12_6113
.LBB12_6112:                            ;   in Loop: Header=BB12_6110 Depth=4
	s_trap 2
	ds_read_b64 v[0:1], v0
	s_andn2_b64 s[30:31], s[30:31], exec
	s_mov_b32 s9, 0
	s_waitcnt vmcnt(0) lgkmcnt(0)
	flat_load_dword v0, v[0:1] glc
	s_waitcnt vmcnt(0) lgkmcnt(0)
	buffer_wbinvl1_vol
	v_cmp_eq_u32_e32 vcc, 0, v0
	s_and_b64 vcc, vcc, exec
	s_or_b64 s[30:31], s[30:31], vcc
	s_mov_b64 vcc, -1
	s_or_b64 s[94:95], s[94:95], exec
	s_and_saveexec_b64 s[34:35], s[30:31]
	s_cbranch_execz .LBB12_6109
.LBB12_6113:                            ;   in Loop: Header=BB12_6110 Depth=4
	s_sleep 1
	s_trap 2
	ds_read_b64 v[0:1], v0
	s_waitcnt lgkmcnt(0)
	buffer_load_dword v2, off, s[0:3], s33 offset:160 ; 4-byte Folded Reload
	buffer_load_dword v3, off, s[0:3], s33 offset:164 ; 4-byte Folded Reload
	s_andn2_b64 s[94:95], s[94:95], exec
	s_waitcnt vmcnt(0)
	v_cmp_ge_u64_e32 vcc, v[0:1], v[2:3]
	s_orn2_b64 vcc, vcc, exec
	s_branch .LBB12_6109
.LBB12_6114:                            ;   in Loop: Header=BB12_6074 Depth=3
	s_or_b64 exec, exec, s[90:91]
	s_and_saveexec_b64 s[90:91], s[92:93]
	s_xor_b64 s[90:91], exec, s[90:91]
	s_cbranch_execz .LBB12_6116
; %bb.6115:                             ;   in Loop: Header=BB12_6074 Depth=3
	v_mov_b32_e32 v0, 1
	ds_write_b32 v0, v0
	s_trap 2
.LBB12_6116:                            ;   in Loop: Header=BB12_6074 Depth=3
	s_or_b64 exec, exec, s[88:89]
	;;#ASMSTART
	s_wakeup
	;;#ASMEND
.LBB12_6117:                            ;   in Loop: Header=BB12_6074 Depth=3
	s_or_b64 exec, exec, s[40:41]
.LBB12_6118:                            ;   in Loop: Header=BB12_6074 Depth=3
	s_andn2_saveexec_b64 s[28:29], s[28:29]
	s_cbranch_execz .LBB12_6120
; %bb.6119:                             ;   in Loop: Header=BB12_6074 Depth=3
	s_waitcnt vmcnt(0) lgkmcnt(0)
	buffer_wbinvl1_vol
	s_barrier
.LBB12_6120:                            ;   in Loop: Header=BB12_6074 Depth=3
	s_or_b64 exec, exec, s[28:29]
.LBB12_6121:                            ;   in Loop: Header=BB12_6074 Depth=3
	s_or_b64 exec, exec, s[26:27]
	s_trap 2
	buffer_load_dword v1, off, s[0:3], s33 offset:156 ; 4-byte Folded Reload
	ds_read_b32 v0, v0
	s_xor_b64 s[26:27], s[6:7], -1
	s_waitcnt vmcnt(0)
	v_and_b32_e32 v1, 0x4000, v1
	v_cmp_ne_u32_e32 vcc, 0, v1
	s_and_b64 s[28:29], s[26:27], vcc
	s_and_saveexec_b64 s[26:27], s[28:29]
	s_cbranch_execz .LBB12_6140
; %bb.6122:                             ;   in Loop: Header=BB12_6074 Depth=3
	s_and_saveexec_b64 s[28:29], s[56:57]
	s_xor_b64 s[28:29], exec, s[28:29]
	s_cbranch_execz .LBB12_6137
; %bb.6123:                             ;   in Loop: Header=BB12_6074 Depth=3
	s_and_saveexec_b64 s[40:41], s[16:17]
	s_cbranch_execz .LBB12_6136
; %bb.6124:                             ;   in Loop: Header=BB12_6074 Depth=3
	s_mov_b64 s[90:91], exec
	v_mbcnt_lo_u32_b32 v1, s90, 0
	v_mbcnt_hi_u32_b32 v1, s91, v1
	v_cmp_eq_u32_e32 vcc, 0, v1
	s_waitcnt lgkmcnt(0)
	buffer_wbinvl1_vol
	s_and_saveexec_b64 s[88:89], vcc
	s_cbranch_execz .LBB12_6126
; %bb.6125:                             ;   in Loop: Header=BB12_6074 Depth=3
	buffer_load_dword v2, off, s[0:3], s33 offset:128 ; 4-byte Folded Reload
	buffer_load_dword v3, off, s[0:3], s33 offset:132 ; 4-byte Folded Reload
	s_bcnt1_i32_b64 s9, s[90:91]
	v_mov_b32_e32 v1, s9
	s_waitcnt vmcnt(1)
	ds_add_u64 v0, v[1:2]
	s_trap 2
.LBB12_6126:                            ;   in Loop: Header=BB12_6074 Depth=3
	s_or_b64 exec, exec, s[88:89]
	s_trap 2
	ds_read_b64 v[1:2], v0
	s_waitcnt lgkmcnt(0)
	buffer_load_dword v3, off, s[0:3], s33 offset:152 ; 4-byte Folded Reload
	buffer_load_dword v4, off, s[0:3], s33 offset:160 ; 4-byte Folded Reload
	;; [unrolled: 1-line block ×3, first 2 shown]
	s_waitcnt vmcnt(1)
	v_add_co_u32_e32 v4, vcc, v4, v3
	s_waitcnt vmcnt(0)
	v_addc_co_u32_e32 v5, vcc, 0, v5, vcc
	buffer_store_dword v4, off, s[0:3], s33 offset:160 ; 4-byte Folded Spill
	s_nop 0
	buffer_store_dword v5, off, s[0:3], s33 offset:164 ; 4-byte Folded Spill
	v_cmp_lt_u64_e32 vcc, v[1:2], v[4:5]
	s_and_saveexec_b64 s[88:89], vcc
	s_cbranch_execz .LBB12_6135
; %bb.6127:                             ;   in Loop: Header=BB12_6074 Depth=3
	s_mov_b32 s9, 0
	s_mov_b64 s[90:91], 0
                                        ; implicit-def: $sgpr92_sgpr93
                                        ; implicit-def: $sgpr94_sgpr95
	s_branch .LBB12_6129
.LBB12_6128:                            ;   in Loop: Header=BB12_6129 Depth=4
	s_or_b64 exec, exec, s[34:35]
	s_and_b64 vcc, exec, vcc
	s_or_b64 s[90:91], vcc, s[90:91]
	s_andn2_b64 s[92:93], s[92:93], exec
	s_and_b64 vcc, s[94:95], exec
	s_or_b64 s[92:93], s[92:93], vcc
	s_andn2_b64 exec, exec, s[90:91]
	s_cbranch_execz .LBB12_6133
.LBB12_6129:                            ;   Parent Loop BB12_47 Depth=1
                                        ;     Parent Loop BB12_6071 Depth=2
                                        ;       Parent Loop BB12_6074 Depth=3
                                        ; =>      This Inner Loop Header: Depth=4
	s_add_i32 s9, s9, 1
	s_cmpk_lg_i32 s9, 0x2710
	s_cselect_b64 s[30:31], -1, 0
	s_and_b64 vcc, exec, s[30:31]
	s_cbranch_vccz .LBB12_6131
; %bb.6130:                             ;   in Loop: Header=BB12_6129 Depth=4
	s_mov_b64 vcc, -1
	s_or_b64 s[94:95], s[94:95], exec
	s_and_saveexec_b64 s[34:35], s[30:31]
	s_cbranch_execz .LBB12_6128
	s_branch .LBB12_6132
.LBB12_6131:                            ;   in Loop: Header=BB12_6129 Depth=4
	s_trap 2
	ds_read_b64 v[1:2], v0
	s_andn2_b64 s[30:31], s[30:31], exec
	s_mov_b32 s9, 0
	s_waitcnt vmcnt(0) lgkmcnt(0)
	flat_load_dword v1, v[1:2] glc
	s_waitcnt vmcnt(0) lgkmcnt(0)
	buffer_wbinvl1_vol
	v_cmp_eq_u32_e32 vcc, 0, v1
	s_and_b64 vcc, vcc, exec
	s_or_b64 s[30:31], s[30:31], vcc
	s_mov_b64 vcc, -1
	s_or_b64 s[94:95], s[94:95], exec
	s_and_saveexec_b64 s[34:35], s[30:31]
	s_cbranch_execz .LBB12_6128
.LBB12_6132:                            ;   in Loop: Header=BB12_6129 Depth=4
	s_sleep 1
	s_trap 2
	ds_read_b64 v[1:2], v0
	s_waitcnt lgkmcnt(0)
	buffer_load_dword v3, off, s[0:3], s33 offset:160 ; 4-byte Folded Reload
	buffer_load_dword v4, off, s[0:3], s33 offset:164 ; 4-byte Folded Reload
	s_andn2_b64 s[94:95], s[94:95], exec
	s_waitcnt vmcnt(0)
	v_cmp_ge_u64_e32 vcc, v[1:2], v[3:4]
	s_orn2_b64 vcc, vcc, exec
	s_branch .LBB12_6128
.LBB12_6133:                            ;   in Loop: Header=BB12_6074 Depth=3
	s_or_b64 exec, exec, s[90:91]
	s_and_saveexec_b64 s[90:91], s[92:93]
	s_xor_b64 s[90:91], exec, s[90:91]
	s_cbranch_execz .LBB12_6135
; %bb.6134:                             ;   in Loop: Header=BB12_6074 Depth=3
	v_mov_b32_e32 v1, 1
	ds_write_b32 v0, v1
	s_trap 2
.LBB12_6135:                            ;   in Loop: Header=BB12_6074 Depth=3
	s_or_b64 exec, exec, s[88:89]
	;;#ASMSTART
	s_wakeup
	;;#ASMEND
.LBB12_6136:                            ;   in Loop: Header=BB12_6074 Depth=3
	s_or_b64 exec, exec, s[40:41]
.LBB12_6137:                            ;   in Loop: Header=BB12_6074 Depth=3
	s_andn2_saveexec_b64 s[28:29], s[28:29]
	s_cbranch_execz .LBB12_6139
; %bb.6138:                             ;   in Loop: Header=BB12_6074 Depth=3
	s_waitcnt vmcnt(0) lgkmcnt(0)
	buffer_wbinvl1_vol
	s_barrier
.LBB12_6139:                            ;   in Loop: Header=BB12_6074 Depth=3
	s_or_b64 exec, exec, s[28:29]
.LBB12_6140:                            ;   in Loop: Header=BB12_6074 Depth=3
	s_or_b64 exec, exec, s[26:27]
	s_trap 2
	s_waitcnt lgkmcnt(0)
	ds_read_b64 v[1:2], v0
	s_waitcnt lgkmcnt(0)
	buffer_store_dword v1, off, s[0:3], s33 offset:240 ; 4-byte Folded Spill
	s_nop 0
	buffer_store_dword v2, off, s[0:3], s33 offset:244 ; 4-byte Folded Spill
	v_cmp_eq_u64_e32 vcc, 0, v[1:2]
	s_cbranch_vccnz .LBB12_6156
; %bb.6141:                             ;   in Loop: Header=BB12_6074 Depth=3
	s_trap 2
	ds_read_b64 v[1:2], v0
	s_waitcnt lgkmcnt(0)
	buffer_store_dword v1, off, s[0:3], s33 offset:284 ; 4-byte Folded Spill
	s_nop 0
	buffer_store_dword v2, off, s[0:3], s33 offset:288 ; 4-byte Folded Spill
	v_cmp_eq_u64_e32 vcc, 0, v[1:2]
	s_cbranch_vccnz .LBB12_6156
; %bb.6142:                             ;   in Loop: Header=BB12_6074 Depth=3
	s_trap 2
	ds_read_b64 v[34:35], v0
	v_cmp_eq_u32_e32 vcc, 0, v0
	v_cndmask_b32_e32 v42, 0, v41, vcc
	v_lshlrev_b32_e32 v61, 1, v42
	s_mov_b64 s[26:27], -1
	s_waitcnt lgkmcnt(0)
	v_cmp_ne_u64_e32 vcc, 0, v[34:35]
	s_cbranch_vccz .LBB12_6214
; %bb.6143:                             ;   in Loop: Header=BB12_6074 Depth=3
	s_and_saveexec_b64 s[28:29], s[20:21]
	s_cbranch_execz .LBB12_6145
; %bb.6144:                             ;   in Loop: Header=BB12_6074 Depth=3
	ds_read_b32 v0, v0 offset:720
	s_waitcnt lgkmcnt(0)
	v_and_b32_e32 v0, 15, v0
	v_cmp_eq_u32_e32 vcc, 0, v0
	s_orn2_b64 s[26:27], vcc, exec
.LBB12_6145:                            ;   in Loop: Header=BB12_6074 Depth=3
	s_or_b64 exec, exec, s[28:29]
	s_and_saveexec_b64 s[28:29], s[22:23]
	s_cbranch_execz .LBB12_6147
; %bb.6146:                             ;   in Loop: Header=BB12_6074 Depth=3
	ds_read_b32 v0, v0 offset:784
	s_waitcnt lgkmcnt(0)
	v_and_b32_e32 v0, 15, v0
	v_cmp_eq_u32_e32 vcc, 0, v0
	s_and_b64 s[40:41], s[26:27], vcc
	s_andn2_b64 s[26:27], s[26:27], exec
	s_and_b64 s[40:41], s[40:41], exec
	s_or_b64 s[26:27], s[26:27], s[40:41]
.LBB12_6147:                            ;   in Loop: Header=BB12_6074 Depth=3
	s_or_b64 exec, exec, s[28:29]
	s_xor_b64 s[26:27], s[26:27], -1
	v_cndmask_b32_e64 v0, 0, 1, s[26:27]
	s_mov_b64 s[28:29], -1
	v_cmp_ne_u32_e32 vcc, 0, v0
	s_cbranch_vccz .LBB12_6161
; %bb.6148:                             ;   in Loop: Header=BB12_6074 Depth=3
	s_mov_b64 s[88:89], -1
	v_mov_b32_e32 v8, 0
	s_cbranch_execnz .LBB12_6162
.LBB12_6149:                            ;   in Loop: Header=BB12_6074 Depth=3
	v_ashrrev_i32_e32 v0, 31, v61
	v_lshrrev_b32_e32 v0, 20, v0
	v_add_u32_e32 v0, v61, v0
	v_ashrrev_i32_e32 v50, 12, v0
	buffer_load_dword v0, off, s[0:3], s33 offset:592 ; 4-byte Folded Reload
	buffer_load_dword v1, off, s[0:3], s33 offset:284 ; 4-byte Folded Reload
	;; [unrolled: 1-line block ×3, first 2 shown]
	s_mov_b64 s[28:29], 0
                                        ; implicit-def: $vgpr6_vgpr7
                                        ; implicit-def: $vgpr10_vgpr11
                                        ; implicit-def: $vgpr14_vgpr15
	s_waitcnt vmcnt(1)
	v_add_co_u32_e32 v36, vcc, v1, v0
	s_waitcnt vmcnt(0)
	v_addc_co_u32_e32 v37, vcc, 0, v2, vcc
	buffer_load_dword v2, off, s[0:3], s33 offset:600 ; 4-byte Folded Reload
	v_add_co_u32_e32 v0, vcc, v34, v0
	v_addc_co_u32_e32 v1, vcc, 0, v35, vcc
	s_waitcnt vmcnt(0)
	v_sub_u32_e32 v48, v50, v2
	v_cmp_lt_i32_e32 vcc, 0, v48
                                        ; implicit-def: $vgpr2_vgpr3
	s_and_saveexec_b64 s[26:27], vcc
	s_cbranch_execz .LBB12_6164
; %bb.6150:                             ;   in Loop: Header=BB12_6074 Depth=3
	buffer_load_dword v2, off, s[0:3], s33 offset:592 ; 4-byte Folded Reload
	buffer_load_dword v3, off, s[0:3], s33 offset:240 ; 4-byte Folded Reload
	;; [unrolled: 1-line block ×3, first 2 shown]
	s_mov_b64 s[90:91], 0
                                        ; implicit-def: $sgpr40_sgpr41
                                        ; implicit-def: $vgpr6_vgpr7
                                        ; implicit-def: $vgpr10_vgpr11
                                        ; implicit-def: $vgpr14_vgpr15
	s_waitcnt vmcnt(1)
	v_add_co_u32_e32 v38, vcc, v3, v2
	s_waitcnt vmcnt(0)
	v_addc_co_u32_e32 v39, vcc, 0, v4, vcc
                                        ; implicit-def: $vgpr2_vgpr3
	s_branch .LBB12_6152
.LBB12_6151:                            ;   in Loop: Header=BB12_6152 Depth=4
	s_or_b64 exec, exec, s[92:93]
	global_store_dwordx4 v[36:37], v[18:21], off glc slc
	global_store_dwordx4 v[36:37], v[22:25], off offset:1024 glc slc
	global_store_dwordx4 v[36:37], v[26:29], off offset:2048 glc slc
	;; [unrolled: 1-line block ×3, first 2 shown]
	global_store_dwordx4 v[0:1], v[18:21], off glc slc
	global_store_dwordx4 v[0:1], v[22:25], off offset:1024 glc slc
	global_store_dwordx4 v[0:1], v[26:29], off offset:2048 glc slc
	;; [unrolled: 1-line block ×3, first 2 shown]
	buffer_load_dword v20, off, s[0:3], s33 offset:404 ; 4-byte Folded Reload
	s_nop 0
	buffer_load_dword v21, off, s[0:3], s33 offset:408 ; 4-byte Folded Reload
	v_add_co_u32_e32 v36, vcc, s81, v36
	v_addc_co_u32_e32 v37, vcc, 0, v37, vcc
	v_add_co_u32_e32 v0, vcc, s81, v0
	v_addc_co_u32_e32 v1, vcc, 0, v1, vcc
	s_waitcnt vmcnt(1)
	v_add_co_u32_e32 v18, vcc, v36, v20
	s_waitcnt vmcnt(0)
	v_addc_co_u32_e32 v19, vcc, v37, v21, vcc
	v_add_co_u32_e32 v20, vcc, v0, v20
	v_addc_co_u32_e32 v21, vcc, v1, v21, vcc
	v_add_co_u32_e32 v38, vcc, v38, v48
	v_addc_co_u32_e32 v39, vcc, v39, v49, vcc
	v_sub_u32_e32 v48, v51, v52
	v_cmp_gt_i32_e32 vcc, 1, v48
	s_or_b64 s[28:29], vcc, s[28:29]
	s_andn2_b64 s[40:41], s[40:41], exec
	s_and_b64 s[92:93], s[90:91], exec
	v_cndmask_b32_e64 v37, v37, v19, s[90:91]
	v_cndmask_b32_e64 v36, v36, v18, s[90:91]
	;; [unrolled: 1-line block ×4, first 2 shown]
	s_or_b64 s[40:41], s[40:41], s[92:93]
	s_andn2_b64 exec, exec, s[28:29]
	s_cbranch_execz .LBB12_6163
.LBB12_6152:                            ;   Parent Loop BB12_47 Depth=1
                                        ;     Parent Loop BB12_6071 Depth=2
                                        ;       Parent Loop BB12_6074 Depth=3
                                        ; =>      This Inner Loop Header: Depth=4
	global_load_dwordx4 v[18:21], v[38:39], off glc slc
	global_load_dwordx4 v[22:25], v[38:39], off offset:1024 glc slc
	global_load_dwordx4 v[26:29], v[38:39], off offset:2048 glc slc
	global_load_dwordx4 v[30:33], v[38:39], off offset:3072 glc slc
	s_and_saveexec_b64 s[92:93], s[90:91]
	s_cbranch_execz .LBB12_6154
; %bb.6153:                             ;   in Loop: Header=BB12_6152 Depth=4
	global_store_dwordx4 v[36:37], v[2:5], off glc slc
	global_store_dwordx4 v[36:37], v[6:9], off offset:1024 glc slc
	global_store_dwordx4 v[36:37], v[10:13], off offset:2048 glc slc
	;; [unrolled: 1-line block ×3, first 2 shown]
	global_store_dwordx4 v[0:1], v[2:5], off glc slc
	global_store_dwordx4 v[0:1], v[6:9], off offset:1024 glc slc
	global_store_dwordx4 v[0:1], v[10:13], off offset:2048 glc slc
	;; [unrolled: 1-line block ×3, first 2 shown]
	buffer_load_dword v49, off, s[0:3], s33 offset:264 ; 4-byte Folded Reload
	buffer_load_dword v51, off, s[0:3], s33 offset:268 ; 4-byte Folded Reload
	s_waitcnt vmcnt(1)
	v_add_co_u32_e32 v36, vcc, v36, v49
	s_waitcnt vmcnt(0)
	v_addc_co_u32_e32 v37, vcc, v37, v51, vcc
	v_add_co_u32_e32 v0, vcc, v0, v49
	v_addc_co_u32_e32 v1, vcc, v1, v51, vcc
.LBB12_6154:                            ;   in Loop: Header=BB12_6152 Depth=4
	s_or_b64 exec, exec, s[92:93]
	buffer_load_dword v49, off, s[0:3], s33 offset:264 ; 4-byte Folded Reload
	v_mov_b32_e32 v52, 0
	s_waitcnt vmcnt(0)
	v_add_co_u32_e32 v38, vcc, v38, v49
	buffer_load_dword v49, off, s[0:3], s33 offset:268 ; 4-byte Folded Reload
	s_waitcnt vmcnt(0)
	v_addc_co_u32_e32 v39, vcc, v39, v49, vcc
	buffer_load_dword v49, off, s[0:3], s33 offset:152 ; 4-byte Folded Reload
	s_waitcnt vmcnt(0)
	v_sub_u32_e32 v51, v48, v49
	v_mov_b32_e32 v48, 0
	v_mov_b32_e32 v49, 0
	v_cmp_lt_i32_e64 s[90:91], 0, v51
	s_and_saveexec_b64 s[92:93], s[90:91]
	s_cbranch_execz .LBB12_6151
; %bb.6155:                             ;   in Loop: Header=BB12_6152 Depth=4
	global_load_dwordx4 v[2:5], v[38:39], off glc slc
	global_load_dwordx4 v[6:9], v[38:39], off offset:1024 glc slc
	global_load_dwordx4 v[10:13], v[38:39], off offset:2048 glc slc
	;; [unrolled: 1-line block ×3, first 2 shown]
	buffer_load_dword v52, off, s[0:3], s33 offset:152 ; 4-byte Folded Reload
	buffer_load_dword v48, off, s[0:3], s33 offset:404 ; 4-byte Folded Reload
	;; [unrolled: 1-line block ×3, first 2 shown]
	v_add_co_u32_e32 v38, vcc, 0x1000, v38
	v_addc_co_u32_e32 v39, vcc, 0, v39, vcc
	s_branch .LBB12_6151
.LBB12_6156:                            ;   in Loop: Header=BB12_6074 Depth=3
	s_mov_b64 s[26:27], 0
	s_and_saveexec_b64 s[28:29], s[10:11]
	s_cbranch_execnz .LBB12_6272
.LBB12_6157:                            ;   in Loop: Header=BB12_6074 Depth=3
	s_or_b64 exec, exec, s[28:29]
                                        ; implicit-def: $vgpr0
	s_and_saveexec_b64 s[28:29], s[24:25]
	s_xor_b64 s[28:29], exec, s[28:29]
	s_cbranch_execz .LBB12_6290
.LBB12_6158:                            ;   in Loop: Header=BB12_6074 Depth=3
	buffer_load_dword v1, off, s[0:3], s33 offset:156 ; 4-byte Folded Reload
	s_waitcnt vmcnt(0)
	v_and_b32_e32 v0, 16, v1
	v_and_b32_e32 v1, 16, v1
	v_cmp_ne_u32_e32 vcc, 0, v1
	s_and_b64 s[40:41], vcc, s[26:27]
	s_and_saveexec_b64 s[26:27], s[40:41]
	s_cbranch_execz .LBB12_6160
; %bb.6159:                             ;   in Loop: Header=BB12_6074 Depth=3
	v_mov_b32_e32 v0, 1
	s_waitcnt lgkmcnt(0)
	buffer_wbinvl1_vol
.LBB12_6160:                            ;   in Loop: Header=BB12_6074 Depth=3
	s_or_b64 exec, exec, s[26:27]
	s_andn2_saveexec_b64 s[26:27], s[28:29]
	s_cbranch_execz .LBB12_6309
	s_branch .LBB12_6291
.LBB12_6161:                            ;   in Loop: Header=BB12_6074 Depth=3
	s_mov_b64 s[88:89], 0
	s_andn2_b64 vcc, exec, s[28:29]
	v_mov_b32_e32 v8, 0
	s_cbranch_vccz .LBB12_6149
.LBB12_6162:                            ;   in Loop: Header=BB12_6074 Depth=3
	buffer_load_dword v0, off, s[0:3], s33 offset:596 ; 4-byte Folded Reload
	buffer_load_dword v10, off, s[0:3], s33 offset:580 ; 4-byte Folded Reload
	v_mov_b32_e32 v9, v61
	s_and_saveexec_b64 s[40:41], s[88:89]
	s_cbranch_execnz .LBB12_6188
	s_branch .LBB12_6213
.LBB12_6163:                            ;   in Loop: Header=BB12_6074 Depth=3
	s_or_b64 exec, exec, s[28:29]
	s_and_b64 s[28:29], s[40:41], exec
.LBB12_6164:                            ;   in Loop: Header=BB12_6074 Depth=3
	s_or_b64 exec, exec, s[26:27]
	s_and_saveexec_b64 s[26:27], s[28:29]
	s_cbranch_execz .LBB12_6166
; %bb.6165:                             ;   in Loop: Header=BB12_6074 Depth=3
	global_store_dwordx4 v[36:37], v[2:5], off glc slc
	global_store_dwordx4 v[36:37], v[6:9], off offset:1024 glc slc
	global_store_dwordx4 v[36:37], v[10:13], off offset:2048 glc slc
	;; [unrolled: 1-line block ×3, first 2 shown]
	global_store_dwordx4 v[0:1], v[2:5], off glc slc
	global_store_dwordx4 v[0:1], v[6:9], off offset:1024 glc slc
	global_store_dwordx4 v[0:1], v[10:13], off offset:2048 glc slc
	;; [unrolled: 1-line block ×3, first 2 shown]
.LBB12_6166:                            ;   in Loop: Header=BB12_6074 Depth=3
	s_or_b64 exec, exec, s[26:27]
	v_lshlrev_b32_e32 v11, 12, v50
	v_cmp_ne_u32_e32 vcc, v61, v11
                                        ; implicit-def: $vgpr9
                                        ; implicit-def: $vgpr8
                                        ; implicit-def: $vgpr0
                                        ; implicit-def: $vgpr10
	s_and_saveexec_b64 s[90:91], vcc
	s_cbranch_execz .LBB12_6187
; %bb.6167:                             ;   in Loop: Header=BB12_6074 Depth=3
	buffer_load_dword v2, off, s[0:3], s33 offset:580 ; 4-byte Folded Reload
	v_lshlrev_b32_e32 v0, 6, v48
	v_sub_u32_e32 v1, v61, v11
	s_mov_b64 s[28:29], 0
	s_waitcnt vmcnt(0)
	v_sub_u32_e32 v0, v2, v0
	v_ashrrev_i32_e32 v2, 31, v0
	v_lshrrev_b32_e32 v2, 26, v2
	v_add_u32_e32 v2, v0, v2
	v_ashrrev_i32_e32 v3, 6, v2
	v_and_b32_e32 v2, 0xffffffc0, v2
	v_sub_u32_e32 v12, v0, v2
	v_lshlrev_b32_e32 v0, 4, v12
	v_lshl_add_u32 v2, v3, 10, v0
	v_add_u32_e32 v0, v2, v11
	v_sub_u32_e32 v19, v1, v2
	v_ashrrev_i32_e32 v2, 31, v1
	v_lshrrev_b32_e32 v2, 22, v2
	v_add_u32_e32 v2, v1, v2
	v_and_b32_e32 v13, 0xfffffc00, v2
	v_sub_u32_e32 v14, v1, v13
	v_ashrrev_i32_e32 v4, 10, v2
	v_cmp_lt_i32_e64 s[26:27], 15, v14
	v_addc_co_u32_e64 v2, vcc, 0, v4, s[26:27]
	buffer_load_dword v4, off, s[0:3], s33 offset:284 ; 4-byte Folded Reload
	buffer_load_dword v5, off, s[0:3], s33 offset:288 ; 4-byte Folded Reload
	v_ashrrev_i32_e32 v1, 31, v0
	v_sub_u32_e32 v15, v2, v3
	s_waitcnt vmcnt(1)
	v_add_co_u32_e32 v10, vcc, v0, v4
	s_waitcnt vmcnt(0)
	v_addc_co_u32_e32 v16, vcc, v1, v5, vcc
	v_add_co_u32_e32 v17, vcc, v0, v34
	v_addc_co_u32_e32 v18, vcc, v1, v35, vcc
	v_cmp_lt_i32_e32 vcc, 15, v19
                                        ; implicit-def: $vgpr2_vgpr3
	s_and_saveexec_b64 s[92:93], vcc
	s_cbranch_execz .LBB12_6181
; %bb.6168:                             ;   in Loop: Header=BB12_6074 Depth=3
	buffer_load_dword v2, off, s[0:3], s33 offset:240 ; 4-byte Folded Reload
	buffer_load_dword v3, off, s[0:3], s33 offset:244 ; 4-byte Folded Reload
	s_mov_b64 s[34:35], 0
	s_mov_b64 s[94:95], 0
                                        ; implicit-def: $sgpr30_sgpr31
	s_waitcnt vmcnt(1)
	v_add_co_u32_e32 v0, vcc, v0, v2
	s_waitcnt vmcnt(0)
	v_addc_co_u32_e32 v1, vcc, v1, v3, vcc
                                        ; implicit-def: $vgpr2_vgpr3
	s_branch .LBB12_6170
.LBB12_6169:                            ;   in Loop: Header=BB12_6170 Depth=4
	s_or_b64 exec, exec, s[28:29]
	v_cmp_gt_i32_e32 vcc, 16, v19
	s_or_b64 s[94:95], vcc, s[94:95]
	s_andn2_b64 s[28:29], s[30:31], exec
	s_and_b64 s[40:41], s[34:35], exec
	s_or_b64 s[30:31], s[28:29], s[40:41]
	s_andn2_b64 exec, exec, s[94:95]
	s_cbranch_execz .LBB12_6180
.LBB12_6170:                            ;   Parent Loop BB12_47 Depth=1
                                        ;     Parent Loop BB12_6071 Depth=2
                                        ;       Parent Loop BB12_6074 Depth=3
                                        ; =>      This Loop Header: Depth=4
                                        ;           Child Loop BB12_6172 Depth 5
                                        ;           Child Loop BB12_6177 Depth 5
	global_load_dwordx4 v[6:9], v[0:1], off glc slc
	s_and_saveexec_b64 s[36:37], s[34:35]
	s_cbranch_execz .LBB12_6174
; %bb.6171:                             ;   in Loop: Header=BB12_6170 Depth=4
	s_mov_b64 s[38:39], 0
	s_mov_b64 s[34:35], -1
.LBB12_6172:                            ;   Parent Loop BB12_47 Depth=1
                                        ;     Parent Loop BB12_6071 Depth=2
                                        ;       Parent Loop BB12_6074 Depth=3
                                        ;         Parent Loop BB12_6170 Depth=4
                                        ; =>        This Inner Loop Header: Depth=5
	s_cmp_eq_u32 s38, 1
	s_cselect_b64 s[28:29], -1, 0
	v_cndmask_b32_e64 v21, v16, v18, s[28:29]
	v_cndmask_b32_e64 v20, v10, v17, s[28:29]
	global_store_dwordx4 v[20:21], v[2:5], off glc slc
	v_add_co_u32_e32 v20, vcc, 0x400, v20
	s_cmp_eq_u32 s38, 0
	v_addc_co_u32_e32 v21, vcc, 0, v21, vcc
	s_cselect_b64 vcc, -1, 0
	s_and_b64 s[40:41], exec, s[34:35]
	s_mov_b64 s[38:39], 1
	v_cndmask_b32_e64 v17, v17, v20, s[28:29]
	s_mov_b64 s[34:35], 0
	v_cndmask_b32_e64 v18, v18, v21, s[28:29]
	v_cndmask_b32_e32 v16, v16, v21, vcc
	v_cndmask_b32_e32 v10, v10, v20, vcc
	s_mov_b64 vcc, s[40:41]
	s_cbranch_vccnz .LBB12_6172
; %bb.6173:                             ;   in Loop: Header=BB12_6170 Depth=4
	buffer_load_dword v20, off, s[0:3], s33 offset:412 ; 4-byte Folded Reload
	buffer_load_dword v21, off, s[0:3], s33 offset:416 ; 4-byte Folded Reload
	s_waitcnt vmcnt(1)
	v_add_co_u32_e32 v10, vcc, v10, v20
	s_waitcnt vmcnt(0)
	v_addc_co_u32_e32 v16, vcc, v16, v21, vcc
	v_add_co_u32_e32 v17, vcc, v17, v20
	v_addc_co_u32_e32 v18, vcc, v18, v21, vcc
.LBB12_6174:                            ;   in Loop: Header=BB12_6170 Depth=4
	s_or_b64 exec, exec, s[36:37]
	buffer_load_dword v20, off, s[0:3], s33 offset:420 ; 4-byte Folded Reload
	s_waitcnt vmcnt(0)
	v_add_co_u32_e32 v0, vcc, v20, v0
	buffer_load_dword v20, off, s[0:3], s33 offset:424 ; 4-byte Folded Reload
	s_waitcnt vmcnt(0)
	v_addc_co_u32_e32 v1, vcc, v20, v1, vcc
	buffer_load_dword v20, off, s[0:3], s33 offset:384 ; 4-byte Folded Reload
	s_waitcnt vmcnt(0)
	v_sub_u32_e32 v19, v19, v20
	v_cmp_lt_i32_e64 s[34:35], 15, v19
	s_and_saveexec_b64 s[28:29], s[34:35]
	s_cbranch_execz .LBB12_6176
; %bb.6175:                             ;   in Loop: Header=BB12_6170 Depth=4
	global_load_dwordx4 v[2:5], v[0:1], off glc slc
	v_add_co_u32_e32 v0, vcc, 0x400, v0
	v_addc_co_u32_e32 v1, vcc, 0, v1, vcc
.LBB12_6176:                            ;   in Loop: Header=BB12_6170 Depth=4
	s_or_b64 exec, exec, s[28:29]
	s_mov_b64 s[38:39], 0
	s_mov_b64 s[36:37], -1
.LBB12_6177:                            ;   Parent Loop BB12_47 Depth=1
                                        ;     Parent Loop BB12_6071 Depth=2
                                        ;       Parent Loop BB12_6074 Depth=3
                                        ;         Parent Loop BB12_6170 Depth=4
                                        ; =>        This Inner Loop Header: Depth=5
	s_cmp_eq_u32 s38, 1
	s_cselect_b64 s[28:29], -1, 0
	v_cndmask_b32_e64 v21, v16, v18, s[28:29]
	v_cndmask_b32_e64 v20, v10, v17, s[28:29]
	global_store_dwordx4 v[20:21], v[6:9], off glc slc
	v_add_co_u32_e32 v20, vcc, 0x400, v20
	s_cmp_eq_u32 s38, 0
	v_addc_co_u32_e32 v21, vcc, 0, v21, vcc
	s_cselect_b64 vcc, -1, 0
	s_and_b64 s[40:41], exec, s[36:37]
	s_mov_b64 s[38:39], 1
	v_cndmask_b32_e64 v17, v17, v20, s[28:29]
	s_mov_b64 s[36:37], 0
	v_cndmask_b32_e64 v18, v18, v21, s[28:29]
	v_cndmask_b32_e32 v16, v16, v21, vcc
	v_cndmask_b32_e32 v10, v10, v20, vcc
	s_mov_b64 vcc, s[40:41]
	s_cbranch_vccnz .LBB12_6177
; %bb.6178:                             ;   in Loop: Header=BB12_6170 Depth=4
	buffer_load_dword v6, off, s[0:3], s33 offset:152 ; 4-byte Folded Reload
	s_waitcnt vmcnt(0)
	v_sub_u32_e32 v15, v15, v6
	s_and_saveexec_b64 s[28:29], s[34:35]
	s_cbranch_execz .LBB12_6169
; %bb.6179:                             ;   in Loop: Header=BB12_6170 Depth=4
	buffer_load_dword v6, off, s[0:3], s33 offset:412 ; 4-byte Folded Reload
	buffer_load_dword v7, off, s[0:3], s33 offset:416 ; 4-byte Folded Reload
	s_waitcnt vmcnt(1)
	v_add_co_u32_e32 v10, vcc, v10, v6
	s_waitcnt vmcnt(0)
	v_addc_co_u32_e32 v16, vcc, v16, v7, vcc
	v_add_co_u32_e32 v17, vcc, v17, v6
	v_addc_co_u32_e32 v18, vcc, v18, v7, vcc
	v_add_co_u32_e32 v0, vcc, v0, v6
	buffer_load_dword v6, off, s[0:3], s33 offset:384 ; 4-byte Folded Reload
	v_addc_co_u32_e32 v1, vcc, v1, v7, vcc
	s_waitcnt vmcnt(0)
	v_sub_u32_e32 v19, v19, v6
	buffer_load_dword v6, off, s[0:3], s33 offset:152 ; 4-byte Folded Reload
	s_waitcnt vmcnt(0)
	v_sub_u32_e32 v15, v15, v6
	s_branch .LBB12_6169
.LBB12_6180:                            ;   in Loop: Header=BB12_6074 Depth=3
	s_or_b64 exec, exec, s[94:95]
	s_and_b64 s[28:29], s[30:31], exec
.LBB12_6181:                            ;   in Loop: Header=BB12_6074 Depth=3
	s_or_b64 exec, exec, s[92:93]
	s_and_saveexec_b64 s[92:93], s[28:29]
	s_cbranch_execz .LBB12_6184
; %bb.6182:                             ;   in Loop: Header=BB12_6074 Depth=3
	s_mov_b64 s[30:31], 0
	s_mov_b64 s[94:95], -1
.LBB12_6183:                            ;   Parent Loop BB12_47 Depth=1
                                        ;     Parent Loop BB12_6071 Depth=2
                                        ;       Parent Loop BB12_6074 Depth=3
                                        ; =>      This Inner Loop Header: Depth=4
	s_cmp_eq_u32 s30, 1
	s_cselect_b64 s[28:29], -1, 0
	v_cndmask_b32_e64 v1, v16, v18, s[28:29]
	v_cndmask_b32_e64 v0, v10, v17, s[28:29]
	global_store_dwordx4 v[0:1], v[2:5], off glc slc
	v_add_co_u32_e32 v0, vcc, 0x400, v0
	s_cmp_eq_u32 s30, 0
	v_addc_co_u32_e32 v1, vcc, 0, v1, vcc
	s_cselect_b64 vcc, -1, 0
	s_and_b64 s[40:41], exec, s[94:95]
	s_mov_b64 s[30:31], 1
	v_cndmask_b32_e64 v17, v17, v0, s[28:29]
	s_mov_b64 s[94:95], 0
	v_cndmask_b32_e64 v18, v18, v1, s[28:29]
	v_cndmask_b32_e32 v16, v16, v1, vcc
	v_cndmask_b32_e32 v10, v10, v0, vcc
	s_mov_b64 vcc, s[40:41]
	s_cbranch_vccnz .LBB12_6183
.LBB12_6184:                            ;   in Loop: Header=BB12_6074 Depth=3
	s_or_b64 exec, exec, s[92:93]
	v_and_b32_e32 v1, 14, v61
	v_cndmask_b32_e64 v9, v14, v1, s[26:27]
	v_cmp_ne_u32_e32 vcc, 0, v9
	s_mov_b64 s[28:29], s[88:89]
                                        ; implicit-def: $vgpr8
                                        ; implicit-def: $vgpr0
                                        ; implicit-def: $vgpr10
	s_and_saveexec_b64 s[40:41], vcc
	s_cbranch_execz .LBB12_6186
; %bb.6185:                             ;   in Loop: Header=BB12_6074 Depth=3
	v_sub_u32_e32 v0, v14, v1
	v_cndmask_b32_e64 v0, 0, v0, s[26:27]
	v_add3_u32 v8, v13, v11, v0
	buffer_load_dword v0, off, s[0:3], s33 offset:152 ; 4-byte Folded Reload
	v_cmp_lt_i32_e32 vcc, 0, v15
	s_or_b64 s[28:29], s[88:89], exec
	s_waitcnt vmcnt(0)
	v_cndmask_b32_e32 v0, 0, v0, vcc
	v_sub_u32_e32 v0, v0, v15
	v_lshl_add_u32 v0, v0, 6, v12
	v_ashrrev_i32_e32 v1, 31, v0
	v_lshrrev_b32_e32 v1, 26, v1
	v_add_u32_e32 v1, v0, v1
	v_and_b32_e32 v1, 0xffffffc0, v1
	v_sub_u32_e32 v10, v0, v1
.LBB12_6186:                            ;   in Loop: Header=BB12_6074 Depth=3
	s_or_b64 exec, exec, s[40:41]
	s_andn2_b64 s[26:27], s[88:89], exec
	s_and_b64 s[28:29], s[28:29], exec
	s_or_b64 s[88:89], s[26:27], s[28:29]
.LBB12_6187:                            ;   in Loop: Header=BB12_6074 Depth=3
	s_or_b64 exec, exec, s[90:91]
	s_and_saveexec_b64 s[40:41], s[88:89]
	s_cbranch_execz .LBB12_6213
.LBB12_6188:                            ;   in Loop: Header=BB12_6074 Depth=3
	s_waitcnt vmcnt(1)
	v_ashrrev_i32_e32 v1, 31, v0
	v_lshrrev_b32_e32 v1, 26, v1
	v_add_u32_e32 v0, v0, v1
	v_ashrrev_i32_e32 v6, 6, v0
	v_lshlrev_b32_e32 v0, 11, v6
	s_waitcnt vmcnt(0)
	v_lshlrev_b32_e32 v1, 1, v10
	v_add3_u32 v4, v8, v1, v0
	v_ashrrev_i32_e32 v0, 31, v9
	v_lshrrev_b32_e32 v0, 21, v0
	v_add_u32_e32 v0, v9, v0
	v_ashrrev_i32_e32 v11, 11, v0
	buffer_load_dword v0, off, s[0:3], s33 offset:284 ; 4-byte Folded Reload
	buffer_load_dword v1, off, s[0:3], s33 offset:288 ; 4-byte Folded Reload
	v_ashrrev_i32_e32 v5, 31, v4
	v_sub_u32_e32 v6, v11, v6
	s_mov_b64 s[28:29], 0
                                        ; implicit-def: $vgpr12
                                        ; implicit-def: $vgpr13
                                        ; implicit-def: $vgpr14
                                        ; implicit-def: $vgpr15
                                        ; implicit-def: $vgpr16
                                        ; implicit-def: $vgpr17
                                        ; implicit-def: $vgpr18
                                        ; implicit-def: $vgpr19
                                        ; implicit-def: $vgpr20
                                        ; implicit-def: $vgpr21
                                        ; implicit-def: $vgpr22
                                        ; implicit-def: $vgpr23
                                        ; implicit-def: $vgpr24
                                        ; implicit-def: $vgpr25
                                        ; implicit-def: $vgpr26
                                        ; implicit-def: $vgpr27
	s_waitcnt vmcnt(1)
	v_add_co_u32_e32 v2, vcc, v0, v4
	s_waitcnt vmcnt(0)
	v_addc_co_u32_e32 v3, vcc, v1, v5, vcc
	v_add_co_u32_e32 v0, vcc, v34, v4
	v_addc_co_u32_e32 v1, vcc, v35, v5, vcc
	v_cmp_lt_i32_e32 vcc, 0, v6
	s_and_saveexec_b64 s[26:27], vcc
	s_cbranch_execz .LBB12_6196
; %bb.6189:                             ;   in Loop: Header=BB12_6074 Depth=3
	buffer_load_dword v12, off, s[0:3], s33 offset:240 ; 4-byte Folded Reload
	buffer_load_dword v13, off, s[0:3], s33 offset:244 ; 4-byte Folded Reload
	s_mov_b64 s[90:91], 0
                                        ; implicit-def: $sgpr88_sgpr89
                                        ; implicit-def: $vgpr14
                                        ; implicit-def: $vgpr15
                                        ; implicit-def: $vgpr16
                                        ; implicit-def: $vgpr17
                                        ; implicit-def: $vgpr18
                                        ; implicit-def: $vgpr19
                                        ; implicit-def: $vgpr20
                                        ; implicit-def: $vgpr21
                                        ; implicit-def: $vgpr22
                                        ; implicit-def: $vgpr23
                                        ; implicit-def: $vgpr24
                                        ; implicit-def: $vgpr25
                                        ; implicit-def: $vgpr26
                                        ; implicit-def: $vgpr27
	s_waitcnt vmcnt(1)
	v_add_co_u32_e32 v4, vcc, v4, v12
	s_waitcnt vmcnt(0)
	v_addc_co_u32_e32 v5, vcc, v5, v13, vcc
                                        ; implicit-def: $vgpr12
                                        ; implicit-def: $vgpr13
	s_branch .LBB12_6191
.LBB12_6190:                            ;   in Loop: Header=BB12_6191 Depth=4
	s_or_b64 exec, exec, s[92:93]
	s_waitcnt lgkmcnt(0)
	flat_store_short v[2:3], v28 glc slc
	flat_store_short v[2:3], v29 offset:128 glc slc
	flat_store_short v[2:3], v30 offset:256 glc slc
	;; [unrolled: 1-line block ×15, first 2 shown]
	flat_store_short v[0:1], v28 glc slc
	flat_store_short v[0:1], v29 offset:128 glc slc
	flat_store_short v[0:1], v30 offset:256 glc slc
	;; [unrolled: 1-line block ×15, first 2 shown]
	buffer_load_dword v30, off, s[0:3], s33 offset:272 ; 4-byte Folded Reload
	buffer_load_dword v31, off, s[0:3], s33 offset:276 ; 4-byte Folded Reload
	v_add_co_u32_e32 v2, vcc, s64, v2
	v_addc_co_u32_e32 v3, vcc, 0, v3, vcc
	v_add_co_u32_e32 v0, vcc, s64, v0
	v_addc_co_u32_e32 v1, vcc, 0, v1, vcc
	s_waitcnt vmcnt(0)
	v_add_co_u32_e32 v28, vcc, v2, v30
	v_addc_co_u32_e32 v29, vcc, v3, v31, vcc
	v_add_co_u32_e32 v30, vcc, v0, v30
	v_addc_co_u32_e32 v31, vcc, v1, v31, vcc
	;; [unrolled: 2-line block ×3, first 2 shown]
	v_sub_u32_e32 v6, v54, v55
	v_cmp_gt_i32_e32 vcc, 1, v6
	s_or_b64 s[28:29], vcc, s[28:29]
	s_andn2_b64 s[88:89], s[88:89], exec
	s_and_b64 s[92:93], s[90:91], exec
	v_cndmask_b32_e64 v3, v3, v29, s[90:91]
	v_cndmask_b32_e64 v2, v2, v28, s[90:91]
	v_cndmask_b32_e64 v1, v1, v31, s[90:91]
	v_cndmask_b32_e64 v0, v0, v30, s[90:91]
	s_or_b64 s[88:89], s[88:89], s[92:93]
	s_andn2_b64 exec, exec, s[28:29]
	s_cbranch_execz .LBB12_6195
.LBB12_6191:                            ;   Parent Loop BB12_47 Depth=1
                                        ;     Parent Loop BB12_6071 Depth=2
                                        ;       Parent Loop BB12_6074 Depth=3
                                        ; =>      This Inner Loop Header: Depth=4
	flat_load_ushort v28, v[4:5] glc slc
	flat_load_ushort v29, v[4:5] offset:128 glc slc
	flat_load_ushort v30, v[4:5] offset:256 glc slc
	;; [unrolled: 1-line block ×15, first 2 shown]
	s_and_saveexec_b64 s[92:93], s[90:91]
	s_cbranch_execz .LBB12_6193
; %bb.6192:                             ;   in Loop: Header=BB12_6191 Depth=4
	flat_store_short v[2:3], v12 glc slc
	flat_store_short v[2:3], v13 offset:128 glc slc
	flat_store_short v[2:3], v14 offset:256 glc slc
	;; [unrolled: 1-line block ×15, first 2 shown]
	flat_store_short v[0:1], v12 glc slc
	flat_store_short v[0:1], v13 offset:128 glc slc
	flat_store_short v[0:1], v14 offset:256 glc slc
	flat_store_short v[0:1], v15 offset:384 glc slc
	flat_store_short v[0:1], v16 offset:512 glc slc
	flat_store_short v[0:1], v17 offset:640 glc slc
	flat_store_short v[0:1], v18 offset:768 glc slc
	flat_store_short v[0:1], v19 offset:896 glc slc
	flat_store_short v[0:1], v20 offset:1024 glc slc
	flat_store_short v[0:1], v21 offset:1152 glc slc
	flat_store_short v[0:1], v22 offset:1280 glc slc
	flat_store_short v[0:1], v23 offset:1408 glc slc
	flat_store_short v[0:1], v24 offset:1536 glc slc
	flat_store_short v[0:1], v25 offset:1664 glc slc
	flat_store_short v[0:1], v26 offset:1792 glc slc
	flat_store_short v[0:1], v27 offset:1920 glc slc
	buffer_load_dword v7, off, s[0:3], s33 offset:232 ; 4-byte Folded Reload
	buffer_load_dword v54, off, s[0:3], s33 offset:236 ; 4-byte Folded Reload
	s_waitcnt vmcnt(0)
	v_add_co_u32_e32 v2, vcc, v2, v7
	v_addc_co_u32_e32 v3, vcc, v3, v54, vcc
	v_add_co_u32_e32 v0, vcc, v0, v7
	v_addc_co_u32_e32 v1, vcc, v1, v54, vcc
.LBB12_6193:                            ;   in Loop: Header=BB12_6191 Depth=4
	s_or_b64 exec, exec, s[92:93]
	buffer_load_dword v7, off, s[0:3], s33 offset:232 ; 4-byte Folded Reload
	v_mov_b32_e32 v55, 0
	s_waitcnt vmcnt(0)
	v_add_co_u32_e32 v4, vcc, v4, v7
	buffer_load_dword v7, off, s[0:3], s33 offset:236 ; 4-byte Folded Reload
	s_waitcnt vmcnt(0)
	v_addc_co_u32_e32 v5, vcc, v5, v7, vcc
	buffer_load_dword v7, off, s[0:3], s33 offset:152 ; 4-byte Folded Reload
	s_waitcnt vmcnt(0)
	v_sub_u32_e32 v54, v6, v7
	v_mov_b32_e32 v6, 0
	v_mov_b32_e32 v7, 0
	v_cmp_lt_i32_e64 s[90:91], 0, v54
	s_and_saveexec_b64 s[92:93], s[90:91]
	s_cbranch_execz .LBB12_6190
; %bb.6194:                             ;   in Loop: Header=BB12_6191 Depth=4
	flat_load_ushort v12, v[4:5] glc slc
	flat_load_ushort v13, v[4:5] offset:128 glc slc
	flat_load_ushort v14, v[4:5] offset:256 glc slc
	;; [unrolled: 1-line block ×15, first 2 shown]
	buffer_load_dword v55, off, s[0:3], s33 offset:152 ; 4-byte Folded Reload
	buffer_load_dword v6, off, s[0:3], s33 offset:272 ; 4-byte Folded Reload
	;; [unrolled: 1-line block ×3, first 2 shown]
	v_add_co_u32_e32 v4, vcc, 0x800, v4
	v_addc_co_u32_e32 v5, vcc, 0, v5, vcc
	s_branch .LBB12_6190
.LBB12_6195:                            ;   in Loop: Header=BB12_6074 Depth=3
	s_or_b64 exec, exec, s[28:29]
	s_and_b64 s[28:29], s[88:89], exec
.LBB12_6196:                            ;   in Loop: Header=BB12_6074 Depth=3
	s_or_b64 exec, exec, s[26:27]
	s_and_saveexec_b64 s[26:27], s[28:29]
	s_cbranch_execz .LBB12_6198
; %bb.6197:                             ;   in Loop: Header=BB12_6074 Depth=3
	flat_store_short v[2:3], v12 glc slc
	flat_store_short v[2:3], v13 offset:128 glc slc
	flat_store_short v[2:3], v14 offset:256 glc slc
	;; [unrolled: 1-line block ×15, first 2 shown]
	flat_store_short v[0:1], v12 glc slc
	flat_store_short v[0:1], v13 offset:128 glc slc
	flat_store_short v[0:1], v14 offset:256 glc slc
	;; [unrolled: 1-line block ×15, first 2 shown]
.LBB12_6198:                            ;   in Loop: Header=BB12_6074 Depth=3
	s_or_b64 exec, exec, s[26:27]
	v_lshlrev_b32_e32 v0, 11, v11
	v_cmp_ne_u32_e32 vcc, v9, v0
	s_and_b64 exec, exec, vcc
	s_cbranch_execz .LBB12_6213
; %bb.6199:                             ;   in Loop: Header=BB12_6074 Depth=3
	v_lshlrev_b32_e32 v1, 6, v6
	v_sub_u32_e32 v1, v10, v1
	v_ashrrev_i32_e32 v2, 31, v1
	v_lshrrev_b32_e32 v2, 26, v2
	v_add_u32_e32 v2, v1, v2
	v_and_b32_e32 v3, 0x7fffffc0, v2
	v_sub_u32_e32 v1, v1, v3
	v_lshlrev_b32_e32 v2, 1, v2
	v_and_b32_e32 v2, 0xffffff80, v2
	v_lshlrev_b32_e32 v1, 1, v1
	v_add3_u32 v0, v2, v1, v0
	v_sub_u32_e32 v9, v9, v0
	v_cmp_lt_i32_e32 vcc, 1, v9
	s_and_b64 exec, exec, vcc
	s_cbranch_execz .LBB12_6213
; %bb.6200:                             ;   in Loop: Header=BB12_6074 Depth=3
	v_add_u32_e32 v2, v0, v8
	buffer_load_dword v0, off, s[0:3], s33 offset:284 ; 4-byte Folded Reload
	buffer_load_dword v1, off, s[0:3], s33 offset:288 ; 4-byte Folded Reload
	v_ashrrev_i32_e32 v7, 31, v2
	s_trap 2
	s_mov_b64 s[92:93], 0
	s_mov_b64 s[88:89], 0
                                        ; implicit-def: $sgpr90_sgpr91
	s_waitcnt vmcnt(0)
	v_add_co_u32_e32 v3, vcc, v0, v2
	v_addc_co_u32_e32 v4, vcc, v1, v7, vcc
	ds_read_b64 v[0:1], v0
	v_add_co_u32_e32 v5, vcc, v34, v2
	v_addc_co_u32_e32 v6, vcc, v35, v7, vcc
	s_waitcnt lgkmcnt(0)
	v_add_co_u32_e32 v0, vcc, v0, v2
	v_addc_co_u32_e32 v1, vcc, v1, v7, vcc
                                        ; implicit-def: $vgpr2
.LBB12_6201:                            ;   Parent Loop BB12_47 Depth=1
                                        ;     Parent Loop BB12_6071 Depth=2
                                        ;       Parent Loop BB12_6074 Depth=3
                                        ; =>      This Loop Header: Depth=4
                                        ;           Child Loop BB12_6203 Depth 5
                                        ;           Child Loop BB12_6208 Depth 5
	flat_load_ushort v7, v[0:1] glc slc
	s_and_saveexec_b64 s[94:95], s[92:93]
	s_cbranch_execz .LBB12_6205
; %bb.6202:                             ;   in Loop: Header=BB12_6201 Depth=4
	s_mov_b64 s[30:31], 0
	s_mov_b64 s[92:93], -1
.LBB12_6203:                            ;   Parent Loop BB12_47 Depth=1
                                        ;     Parent Loop BB12_6071 Depth=2
                                        ;       Parent Loop BB12_6074 Depth=3
                                        ;         Parent Loop BB12_6201 Depth=4
                                        ; =>        This Inner Loop Header: Depth=5
	s_cmp_eq_u32 s30, 1
	s_cselect_b64 s[26:27], -1, 0
	v_cndmask_b32_e64 v10, v3, v5, s[26:27]
	v_cndmask_b32_e64 v11, v4, v6, s[26:27]
	v_add_co_u32_e32 v8, vcc, 0x80, v10
	s_cmp_eq_u32 s30, 0
	flat_store_short v[10:11], v2 glc slc
	v_addc_co_u32_e32 v10, vcc, 0, v11, vcc
	s_cselect_b64 vcc, -1, 0
	s_and_b64 s[28:29], exec, s[92:93]
	s_mov_b64 s[30:31], 1
	v_cndmask_b32_e64 v5, v5, v8, s[26:27]
	s_mov_b64 s[92:93], 0
	v_cndmask_b32_e64 v6, v6, v10, s[26:27]
	v_cndmask_b32_e32 v4, v4, v10, vcc
	v_cndmask_b32_e32 v3, v3, v8, vcc
	s_mov_b64 vcc, s[28:29]
	s_cbranch_vccnz .LBB12_6203
; %bb.6204:                             ;   in Loop: Header=BB12_6201 Depth=4
	buffer_load_dword v10, off, s[0:3], s33 offset:388 ; 4-byte Folded Reload
	buffer_load_dword v11, off, s[0:3], s33 offset:392 ; 4-byte Folded Reload
	s_waitcnt vmcnt(0)
	v_add_co_u32_e32 v3, vcc, v3, v10
	v_addc_co_u32_e32 v4, vcc, v4, v11, vcc
	v_add_co_u32_e32 v5, vcc, v5, v10
	v_addc_co_u32_e32 v6, vcc, v6, v11, vcc
.LBB12_6205:                            ;   in Loop: Header=BB12_6201 Depth=4
	s_or_b64 exec, exec, s[94:95]
	buffer_load_dword v8, off, s[0:3], s33 offset:396 ; 4-byte Folded Reload
	s_waitcnt vmcnt(0)
	v_add_co_u32_e32 v0, vcc, v8, v0
	buffer_load_dword v8, off, s[0:3], s33 offset:400 ; 4-byte Folded Reload
	s_waitcnt vmcnt(0)
	v_addc_co_u32_e32 v1, vcc, v8, v1, vcc
	buffer_load_dword v8, off, s[0:3], s33 offset:280 ; 4-byte Folded Reload
	s_waitcnt vmcnt(0)
	v_sub_u32_e32 v8, v9, v8
	v_cmp_lt_i32_e64 s[92:93], 1, v8
	s_and_saveexec_b64 s[26:27], s[92:93]
	s_cbranch_execz .LBB12_6207
; %bb.6206:                             ;   in Loop: Header=BB12_6201 Depth=4
	flat_load_ushort v2, v[0:1] glc slc
	v_add_co_u32_e32 v0, vcc, 0x80, v0
	v_addc_co_u32_e32 v1, vcc, 0, v1, vcc
.LBB12_6207:                            ;   in Loop: Header=BB12_6201 Depth=4
	s_or_b64 exec, exec, s[26:27]
	s_mov_b64 s[30:31], 0
	s_mov_b64 s[94:95], -1
.LBB12_6208:                            ;   Parent Loop BB12_47 Depth=1
                                        ;     Parent Loop BB12_6071 Depth=2
                                        ;       Parent Loop BB12_6074 Depth=3
                                        ;         Parent Loop BB12_6201 Depth=4
                                        ; =>        This Inner Loop Header: Depth=5
	s_cmp_eq_u32 s30, 1
	s_cselect_b64 s[26:27], -1, 0
	v_cndmask_b32_e64 v10, v4, v6, s[26:27]
	v_cndmask_b32_e64 v9, v3, v5, s[26:27]
	s_waitcnt lgkmcnt(0)
	flat_store_short v[9:10], v7 glc slc
	v_add_co_u32_e32 v9, vcc, 0x80, v9
	s_cmp_eq_u32 s30, 0
	v_addc_co_u32_e32 v10, vcc, 0, v10, vcc
	s_cselect_b64 vcc, -1, 0
	s_and_b64 s[28:29], exec, s[94:95]
	s_mov_b64 s[30:31], 1
	v_cndmask_b32_e64 v5, v5, v9, s[26:27]
	s_mov_b64 s[94:95], 0
	v_cndmask_b32_e64 v6, v6, v10, s[26:27]
	v_cndmask_b32_e32 v4, v4, v10, vcc
	v_cndmask_b32_e32 v3, v3, v9, vcc
	s_mov_b64 vcc, s[28:29]
	s_cbranch_vccnz .LBB12_6208
; %bb.6209:                             ;   in Loop: Header=BB12_6201 Depth=4
	buffer_load_dword v13, off, s[0:3], s33 offset:388 ; 4-byte Folded Reload
	buffer_load_dword v14, off, s[0:3], s33 offset:392 ; 4-byte Folded Reload
	s_waitcnt vmcnt(0)
	v_add_co_u32_e32 v7, vcc, v3, v13
	v_addc_co_u32_e32 v10, vcc, v4, v14, vcc
	v_add_co_u32_e32 v11, vcc, v5, v13
	v_addc_co_u32_e32 v12, vcc, v6, v14, vcc
	v_cndmask_b32_e64 v13, 0, v13, s[92:93]
	v_cndmask_b32_e64 v9, 0, v14, s[92:93]
	v_add_co_u32_e32 v0, vcc, v0, v13
	v_addc_co_u32_e32 v1, vcc, v1, v9, vcc
	buffer_load_dword v9, off, s[0:3], s33 offset:280 ; 4-byte Folded Reload
	v_cndmask_b32_e64 v6, v6, v12, s[92:93]
	v_cndmask_b32_e64 v5, v5, v11, s[92:93]
	;; [unrolled: 1-line block ×4, first 2 shown]
	s_waitcnt vmcnt(0)
	v_cndmask_b32_e64 v9, 0, v9, s[92:93]
	v_sub_u32_e32 v9, v8, v9
	v_cmp_gt_i32_e32 vcc, 2, v9
	s_or_b64 s[88:89], vcc, s[88:89]
	s_andn2_b64 s[26:27], s[90:91], exec
	s_and_b64 s[28:29], s[92:93], exec
	s_or_b64 s[90:91], s[26:27], s[28:29]
	s_andn2_b64 exec, exec, s[88:89]
	s_cbranch_execnz .LBB12_6201
; %bb.6210:                             ;   in Loop: Header=BB12_6074 Depth=3
	s_or_b64 exec, exec, s[88:89]
	s_and_b64 exec, exec, s[90:91]
	s_cbranch_execz .LBB12_6213
; %bb.6211:                             ;   in Loop: Header=BB12_6074 Depth=3
	s_mov_b64 s[90:91], 0
	s_mov_b64 s[88:89], -1
.LBB12_6212:                            ;   Parent Loop BB12_47 Depth=1
                                        ;     Parent Loop BB12_6071 Depth=2
                                        ;       Parent Loop BB12_6074 Depth=3
                                        ; =>      This Inner Loop Header: Depth=4
	s_cmp_eq_u32 s90, 1
	s_cselect_b64 s[26:27], -1, 0
	v_cndmask_b32_e64 v1, v10, v12, s[26:27]
	v_cndmask_b32_e64 v0, v7, v11, s[26:27]
	flat_store_short v[0:1], v2 glc slc
	v_add_co_u32_e32 v0, vcc, 0x80, v0
	s_cmp_eq_u32 s90, 0
	v_addc_co_u32_e32 v1, vcc, 0, v1, vcc
	s_cselect_b64 vcc, -1, 0
	s_and_b64 s[28:29], exec, s[88:89]
	s_mov_b64 s[90:91], 1
	v_cndmask_b32_e64 v11, v11, v0, s[26:27]
	s_mov_b64 s[88:89], 0
	v_cndmask_b32_e32 v10, v10, v1, vcc
	v_cndmask_b32_e32 v7, v7, v0, vcc
	v_cndmask_b32_e64 v12, v12, v1, s[26:27]
	s_mov_b64 vcc, s[28:29]
	s_cbranch_vccnz .LBB12_6212
.LBB12_6213:                            ;   in Loop: Header=BB12_6074 Depth=3
	s_or_b64 exec, exec, s[40:41]
	s_mov_b64 s[26:27], 0
.LBB12_6214:                            ;   in Loop: Header=BB12_6074 Depth=3
	s_and_b64 vcc, exec, s[26:27]
	s_cbranch_vccz .LBB12_6228
; %bb.6215:                             ;   in Loop: Header=BB12_6074 Depth=3
	s_mov_b64 s[26:27], -1
	s_and_saveexec_b64 s[28:29], s[20:21]
	s_cbranch_execz .LBB12_6217
; %bb.6216:                             ;   in Loop: Header=BB12_6074 Depth=3
	s_waitcnt vmcnt(0)
	ds_read_b32 v0, v0 offset:720
	s_waitcnt lgkmcnt(0)
	v_and_b32_e32 v0, 15, v0
	v_cmp_eq_u32_e32 vcc, 0, v0
	s_orn2_b64 s[26:27], vcc, exec
.LBB12_6217:                            ;   in Loop: Header=BB12_6074 Depth=3
	s_or_b64 exec, exec, s[28:29]
	s_and_saveexec_b64 s[28:29], s[18:19]
	s_cbranch_execz .LBB12_6219
; %bb.6218:                             ;   in Loop: Header=BB12_6074 Depth=3
	s_waitcnt vmcnt(0)
	ds_read_b32 v0, v0 offset:784
	s_waitcnt lgkmcnt(0)
	v_and_b32_e32 v0, 15, v0
	v_cmp_eq_u32_e32 vcc, 0, v0
	s_and_b64 s[40:41], s[26:27], vcc
	s_andn2_b64 s[26:27], s[26:27], exec
	s_and_b64 s[40:41], s[40:41], exec
	s_or_b64 s[26:27], s[26:27], s[40:41]
.LBB12_6219:                            ;   in Loop: Header=BB12_6074 Depth=3
	s_or_b64 exec, exec, s[28:29]
	s_xor_b64 s[26:27], s[26:27], -1
	s_waitcnt vmcnt(0)
	v_cndmask_b32_e64 v0, 0, 1, s[26:27]
	s_mov_b64 s[40:41], -1
	v_cmp_ne_u32_e32 vcc, 0, v0
	s_cbranch_vccz .LBB12_6229
; %bb.6220:                             ;   in Loop: Header=BB12_6074 Depth=3
	s_mov_b64 s[28:29], -1
	v_mov_b32_e32 v6, 0
	s_cbranch_execnz .LBB12_6230
.LBB12_6221:                            ;   in Loop: Header=BB12_6074 Depth=3
	v_ashrrev_i32_e32 v0, 31, v61
	v_lshrrev_b32_e32 v0, 19, v0
	v_add_u32_e32 v0, v61, v0
	v_ashrrev_i32_e32 v3, 13, v0
	buffer_load_dword v0, off, s[0:3], s33 offset:600 ; 4-byte Folded Reload
	s_mov_b64 s[40:41], 0
                                        ; implicit-def: $vgpr4_vgpr5
	s_waitcnt vmcnt(0)
	v_sub_u32_e32 v10, v3, v0
	buffer_load_dword v0, off, s[0:3], s33 offset:668 ; 4-byte Folded Reload
	buffer_load_dword v1, off, s[0:3], s33 offset:284 ; 4-byte Folded Reload
	;; [unrolled: 1-line block ×3, first 2 shown]
	s_nop 0
	buffer_store_dword v4, off, s[0:3], s33 offset:184 ; 4-byte Folded Spill
	s_nop 0
	buffer_store_dword v5, off, s[0:3], s33 offset:188 ; 4-byte Folded Spill
	buffer_store_dword v6, off, s[0:3], s33 offset:192 ; 4-byte Folded Spill
	;; [unrolled: 1-line block ×3, first 2 shown]
                                        ; implicit-def: $vgpr14_vgpr15
                                        ; implicit-def: $vgpr18_vgpr19
                                        ; implicit-def: $vgpr22_vgpr23
                                        ; implicit-def: $vgpr26_vgpr27
                                        ; implicit-def: $vgpr30_vgpr31
                                        ; implicit-def: $vgpr4_vgpr5
	buffer_store_dword v4, off, s[0:3], s33 offset:200 ; 4-byte Folded Spill
	s_nop 0
	buffer_store_dword v5, off, s[0:3], s33 offset:204 ; 4-byte Folded Spill
	buffer_store_dword v6, off, s[0:3], s33 offset:208 ; 4-byte Folded Spill
	;; [unrolled: 1-line block ×3, first 2 shown]
                                        ; implicit-def: $vgpr4_vgpr5
	buffer_store_dword v4, off, s[0:3], s33 offset:216 ; 4-byte Folded Spill
	s_nop 0
	buffer_store_dword v5, off, s[0:3], s33 offset:220 ; 4-byte Folded Spill
	buffer_store_dword v6, off, s[0:3], s33 offset:224 ; 4-byte Folded Spill
	;; [unrolled: 1-line block ×3, first 2 shown]
	s_waitcnt vmcnt(0)
	v_add_co_u32_e32 v0, vcc, v1, v0
	v_addc_co_u32_e32 v1, vcc, 0, v2, vcc
	v_cmp_lt_i32_e32 vcc, 0, v10
	s_and_saveexec_b64 s[26:27], vcc
	s_cbranch_execz .LBB12_6232
; %bb.6222:                             ;   in Loop: Header=BB12_6074 Depth=3
	buffer_store_dword v3, off, s[0:3], s33 offset:332 ; 4-byte Folded Spill
	buffer_store_dword v42, off, s[0:3], s33 offset:324 ; 4-byte Folded Spill
	;; [unrolled: 1-line block ×3, first 2 shown]
	s_nop 0
	buffer_store_dword v44, off, s[0:3], s33 offset:320 ; 4-byte Folded Spill
	buffer_store_dword v41, off, s[0:3], s33 offset:300 ; 4-byte Folded Spill
	s_nop 0
	buffer_store_dword v42, off, s[0:3], s33 offset:304 ; 4-byte Folded Spill
	buffer_load_dword v2, off, s[0:3], s33 offset:668 ; 4-byte Folded Reload
	buffer_load_dword v3, off, s[0:3], s33 offset:240 ; 4-byte Folded Reload
	;; [unrolled: 1-line block ×3, first 2 shown]
	s_mov_b64 s[90:91], 0
                                        ; implicit-def: $sgpr88_sgpr89
	s_waitcnt vmcnt(0)
	v_add_co_u32_e32 v46, vcc, v3, v2
	v_addc_co_u32_e32 v47, vcc, 0, v4, vcc
                                        ; implicit-def: $vgpr2_vgpr3
	buffer_store_dword v2, off, s[0:3], s33 offset:184 ; 4-byte Folded Spill
	s_nop 0
	buffer_store_dword v3, off, s[0:3], s33 offset:188 ; 4-byte Folded Spill
	buffer_store_dword v4, off, s[0:3], s33 offset:192 ; 4-byte Folded Spill
	;; [unrolled: 1-line block ×3, first 2 shown]
                                        ; implicit-def: $vgpr14_vgpr15
                                        ; implicit-def: $vgpr18_vgpr19
                                        ; implicit-def: $vgpr22_vgpr23
                                        ; implicit-def: $vgpr26_vgpr27
                                        ; implicit-def: $vgpr30_vgpr31
                                        ; implicit-def: $vgpr2_vgpr3
	buffer_store_dword v2, off, s[0:3], s33 offset:200 ; 4-byte Folded Spill
	s_nop 0
	buffer_store_dword v3, off, s[0:3], s33 offset:204 ; 4-byte Folded Spill
	buffer_store_dword v4, off, s[0:3], s33 offset:208 ; 4-byte Folded Spill
	buffer_store_dword v5, off, s[0:3], s33 offset:212 ; 4-byte Folded Spill
                                        ; implicit-def: $vgpr2_vgpr3
	buffer_store_dword v2, off, s[0:3], s33 offset:216 ; 4-byte Folded Spill
	s_nop 0
	buffer_store_dword v3, off, s[0:3], s33 offset:220 ; 4-byte Folded Spill
	buffer_store_dword v4, off, s[0:3], s33 offset:224 ; 4-byte Folded Spill
	;; [unrolled: 1-line block ×3, first 2 shown]
	s_branch .LBB12_6224
.LBB12_6223:                            ;   in Loop: Header=BB12_6224 Depth=4
	s_or_b64 exec, exec, s[92:93]
	global_store_dwordx4 v[0:1], v[34:37], off glc slc
	global_store_dwordx4 v[0:1], v[48:51], off offset:1024 glc slc
	global_store_dwordx4 v[0:1], v[52:55], off offset:2048 glc slc
	;; [unrolled: 1-line block ×3, first 2 shown]
	v_add_co_u32_e32 v34, vcc, s81, v0
	v_addc_co_u32_e32 v35, vcc, 0, v1, vcc
	global_store_dwordx4 v[34:35], v[42:45], off glc slc
	global_store_dwordx4 v[34:35], v[56:59], off offset:1024 glc slc
	buffer_load_dword v2, off, s[0:3], s33 offset:168 ; 4-byte Folded Reload
	buffer_load_dword v3, off, s[0:3], s33 offset:172 ; 4-byte Folded Reload
	;; [unrolled: 1-line block ×4, first 2 shown]
	s_waitcnt vmcnt(0)
	v_add_co_u32_e32 v0, vcc, v0, v10
	v_addc_co_u32_e32 v1, vcc, v1, v11, vcc
	v_add_co_u32_e32 v0, vcc, s54, v0
	v_addc_co_u32_e32 v1, vcc, 0, v1, vcc
	;; [unrolled: 2-line block ×3, first 2 shown]
	v_sub_u32_e32 v10, v13, v60
	v_cmp_gt_i32_e32 vcc, 1, v10
	s_or_b64 s[40:41], vcc, s[40:41]
	s_andn2_b64 s[88:89], s[88:89], exec
	s_and_b64 s[92:93], s[90:91], exec
	s_or_b64 s[88:89], s[88:89], s[92:93]
	global_store_dwordx4 v[34:35], v[2:5], off offset:2048 glc slc
	global_store_dwordx4 v[34:35], v[6:9], off offset:3072 glc slc
	s_andn2_b64 exec, exec, s[40:41]
	s_cbranch_execz .LBB12_6231
.LBB12_6224:                            ;   Parent Loop BB12_47 Depth=1
                                        ;     Parent Loop BB12_6071 Depth=2
                                        ;       Parent Loop BB12_6074 Depth=3
                                        ; =>      This Inner Loop Header: Depth=4
	v_add_co_u32_e32 v6, vcc, 0x1000, v46
	v_addc_co_u32_e32 v7, vcc, 0, v47, vcc
	global_load_dwordx4 v[34:37], v[46:47], off glc slc
	global_load_dwordx4 v[48:51], v[46:47], off offset:1024 glc slc
	global_load_dwordx4 v[52:55], v[46:47], off offset:2048 glc slc
	;; [unrolled: 1-line block ×3, first 2 shown]
	global_load_dwordx4 v[42:45], v[6:7], off glc slc
	global_load_dwordx4 v[56:59], v[6:7], off offset:1024 glc slc
	global_load_dwordx4 v[2:5], v[6:7], off offset:2048 glc slc
	s_waitcnt vmcnt(0)
	buffer_store_dword v2, off, s[0:3], s33 offset:168 ; 4-byte Folded Spill
	s_nop 0
	buffer_store_dword v3, off, s[0:3], s33 offset:172 ; 4-byte Folded Spill
	buffer_store_dword v4, off, s[0:3], s33 offset:176 ; 4-byte Folded Spill
	buffer_store_dword v5, off, s[0:3], s33 offset:180 ; 4-byte Folded Spill
	global_load_dwordx4 v[6:9], v[6:7], off offset:3072 glc slc
	s_and_saveexec_b64 s[92:93], s[90:91]
	s_cbranch_execz .LBB12_6226
; %bb.6225:                             ;   in Loop: Header=BB12_6224 Depth=4
	v_mov_b32_e32 v2, v30
	v_mov_b32_e32 v3, v31
	;; [unrolled: 1-line block ×20, first 2 shown]
	buffer_load_dword v11, off, s[0:3], s33 offset:184 ; 4-byte Folded Reload
	buffer_load_dword v12, off, s[0:3], s33 offset:188 ; 4-byte Folded Reload
	;; [unrolled: 1-line block ×4, first 2 shown]
	s_waitcnt vmcnt(0)
	global_store_dwordx4 v[0:1], v[11:14], off glc slc
	s_nop 0
	v_mov_b32_e32 v14, v15
	v_mov_b32_e32 v15, v16
	;; [unrolled: 1-line block ×13, first 2 shown]
	v_add_co_u32_e32 v11, vcc, 0x1000, v0
	v_mov_b32_e32 v27, v28
	v_mov_b32_e32 v28, v29
	;; [unrolled: 1-line block ×3, first 2 shown]
	v_addc_co_u32_e32 v12, vcc, 0, v1, vcc
	v_mov_b32_e32 v33, v5
	global_store_dwordx4 v[0:1], v[14:17], off offset:1024 glc slc
	global_store_dwordx4 v[0:1], v[18:21], off offset:2048 glc slc
	;; [unrolled: 1-line block ×3, first 2 shown]
	global_store_dwordx4 v[11:12], v[26:29], off glc slc
	global_store_dwordx4 v[11:12], v[2:5], off offset:1024 glc slc
	v_mov_b32_e32 v32, v4
	v_mov_b32_e32 v31, v3
	;; [unrolled: 1-line block ×3, first 2 shown]
	buffer_load_dword v2, off, s[0:3], s33 offset:200 ; 4-byte Folded Reload
	buffer_load_dword v3, off, s[0:3], s33 offset:204 ; 4-byte Folded Reload
	;; [unrolled: 1-line block ×4, first 2 shown]
	s_waitcnt vmcnt(0)
	global_store_dwordx4 v[11:12], v[2:5], off offset:2048 glc slc
	buffer_load_dword v2, off, s[0:3], s33 offset:216 ; 4-byte Folded Reload
	s_nop 0
	buffer_load_dword v3, off, s[0:3], s33 offset:220 ; 4-byte Folded Reload
	buffer_load_dword v4, off, s[0:3], s33 offset:224 ; 4-byte Folded Reload
	;; [unrolled: 1-line block ×3, first 2 shown]
	s_waitcnt vmcnt(0)
	global_store_dwordx4 v[11:12], v[2:5], off offset:3072 glc slc
	buffer_load_dword v11, off, s[0:3], s33 offset:428 ; 4-byte Folded Reload
	s_waitcnt vmcnt(0)
	v_add_co_u32_e32 v0, vcc, v0, v11
	buffer_load_dword v11, off, s[0:3], s33 offset:432 ; 4-byte Folded Reload
	s_waitcnt vmcnt(0)
	v_addc_co_u32_e32 v1, vcc, v1, v11, vcc
.LBB12_6226:                            ;   in Loop: Header=BB12_6224 Depth=4
	s_or_b64 exec, exec, s[92:93]
	buffer_load_dword v11, off, s[0:3], s33 offset:428 ; 4-byte Folded Reload
	v_mov_b32_e32 v60, 0
	s_waitcnt vmcnt(0)
	v_add_co_u32_e32 v46, vcc, v46, v11
	buffer_load_dword v11, off, s[0:3], s33 offset:432 ; 4-byte Folded Reload
	s_waitcnt vmcnt(0)
	v_addc_co_u32_e32 v47, vcc, v47, v11, vcc
	buffer_load_dword v11, off, s[0:3], s33 offset:152 ; 4-byte Folded Reload
	s_waitcnt vmcnt(0)
	v_sub_u32_e32 v13, v10, v11
	v_mov_b32_e32 v10, 0
	v_mov_b32_e32 v11, 0
	v_cmp_lt_i32_e64 s[90:91], 0, v13
	s_and_saveexec_b64 s[92:93], s[90:91]
	s_cbranch_execz .LBB12_6223
; %bb.6227:                             ;   in Loop: Header=BB12_6224 Depth=4
	global_load_dwordx4 v[14:17], v[46:47], off glc slc
	v_add_co_u32_e32 v10, vcc, s81, v46
	v_addc_co_u32_e32 v11, vcc, 0, v47, vcc
	s_waitcnt vmcnt(0)
	buffer_store_dword v14, off, s[0:3], s33 offset:184 ; 4-byte Folded Spill
	s_nop 0
	buffer_store_dword v15, off, s[0:3], s33 offset:188 ; 4-byte Folded Spill
	buffer_store_dword v16, off, s[0:3], s33 offset:192 ; 4-byte Folded Spill
	;; [unrolled: 1-line block ×3, first 2 shown]
	global_load_dwordx4 v[14:17], v[46:47], off offset:1024 glc slc
	s_nop 0
	global_load_dwordx4 v[18:21], v[46:47], off offset:2048 glc slc
	global_load_dwordx4 v[22:25], v[46:47], off offset:3072 glc slc
	global_load_dwordx4 v[26:29], v[10:11], off glc slc
	global_load_dwordx4 v[30:33], v[10:11], off offset:1024 glc slc
	global_load_dwordx4 v[2:5], v[10:11], off offset:2048 glc slc
	v_add_co_u32_e32 v46, vcc, 0x2000, v46
	v_addc_co_u32_e32 v47, vcc, 0, v47, vcc
	s_waitcnt vmcnt(0)
	buffer_store_dword v2, off, s[0:3], s33 offset:200 ; 4-byte Folded Spill
	s_nop 0
	buffer_store_dword v3, off, s[0:3], s33 offset:204 ; 4-byte Folded Spill
	buffer_store_dword v4, off, s[0:3], s33 offset:208 ; 4-byte Folded Spill
	;; [unrolled: 1-line block ×3, first 2 shown]
	global_load_dwordx4 v[2:5], v[10:11], off offset:3072 glc slc
	s_waitcnt vmcnt(0)
	buffer_store_dword v2, off, s[0:3], s33 offset:216 ; 4-byte Folded Spill
	s_nop 0
	buffer_store_dword v3, off, s[0:3], s33 offset:220 ; 4-byte Folded Spill
	buffer_store_dword v4, off, s[0:3], s33 offset:224 ; 4-byte Folded Spill
	;; [unrolled: 1-line block ×3, first 2 shown]
	buffer_load_dword v60, off, s[0:3], s33 offset:152 ; 4-byte Folded Reload
	buffer_load_dword v10, off, s[0:3], s33 offset:568 ; 4-byte Folded Reload
	;; [unrolled: 1-line block ×3, first 2 shown]
	s_branch .LBB12_6223
.LBB12_6228:                            ;   in Loop: Header=BB12_6074 Depth=3
	v_cmp_lt_i32_e64 s[26:27], 0, v42
	s_and_saveexec_b64 s[28:29], s[10:11]
	s_cbranch_execnz .LBB12_6272
	s_branch .LBB12_6157
.LBB12_6229:                            ;   in Loop: Header=BB12_6074 Depth=3
	s_mov_b64 s[28:29], 0
	s_andn2_b64 vcc, exec, s[40:41]
	v_mov_b32_e32 v6, 0
	s_cbranch_vccz .LBB12_6221
.LBB12_6230:                            ;   in Loop: Header=BB12_6074 Depth=3
	buffer_load_dword v0, off, s[0:3], s33 offset:596 ; 4-byte Folded Reload
	buffer_load_dword v7, off, s[0:3], s33 offset:580 ; 4-byte Folded Reload
	s_and_saveexec_b64 s[26:27], s[28:29]
	s_cbranch_execnz .LBB12_6251
	s_branch .LBB12_6271
.LBB12_6231:                            ;   in Loop: Header=BB12_6074 Depth=3
	s_or_b64 exec, exec, s[40:41]
	buffer_load_dword v40, off, s[0:3], s33 offset:340 ; 4-byte Folded Reload
	buffer_load_dword v41, off, s[0:3], s33 offset:300 ; 4-byte Folded Reload
	;; [unrolled: 1-line block ×9, first 2 shown]
	s_and_b64 s[40:41], s[88:89], exec
.LBB12_6232:                            ;   in Loop: Header=BB12_6074 Depth=3
	s_or_b64 exec, exec, s[26:27]
	s_and_saveexec_b64 s[26:27], s[40:41]
	s_cbranch_execz .LBB12_6234
; %bb.6233:                             ;   in Loop: Header=BB12_6074 Depth=3
	buffer_load_dword v4, off, s[0:3], s33 offset:184 ; 4-byte Folded Reload
	buffer_load_dword v5, off, s[0:3], s33 offset:188 ; 4-byte Folded Reload
	buffer_load_dword v6, off, s[0:3], s33 offset:192 ; 4-byte Folded Reload
	buffer_load_dword v7, off, s[0:3], s33 offset:196 ; 4-byte Folded Reload
	s_waitcnt vmcnt(0)
	global_store_dwordx4 v[0:1], v[4:7], off glc slc
	global_store_dwordx4 v[0:1], v[14:17], off offset:1024 glc slc
	global_store_dwordx4 v[0:1], v[18:21], off offset:2048 glc slc
	;; [unrolled: 1-line block ×3, first 2 shown]
	v_add_co_u32_e32 v0, vcc, 0x1000, v0
	v_addc_co_u32_e32 v1, vcc, 0, v1, vcc
	global_store_dwordx4 v[0:1], v[26:29], off glc slc
	global_store_dwordx4 v[0:1], v[30:33], off offset:1024 glc slc
	buffer_load_dword v4, off, s[0:3], s33 offset:200 ; 4-byte Folded Reload
	buffer_load_dword v5, off, s[0:3], s33 offset:204 ; 4-byte Folded Reload
	;; [unrolled: 1-line block ×4, first 2 shown]
	s_waitcnt vmcnt(0)
	global_store_dwordx4 v[0:1], v[4:7], off offset:2048 glc slc
	buffer_load_dword v4, off, s[0:3], s33 offset:216 ; 4-byte Folded Reload
	s_nop 0
	buffer_load_dword v5, off, s[0:3], s33 offset:220 ; 4-byte Folded Reload
	buffer_load_dword v6, off, s[0:3], s33 offset:224 ; 4-byte Folded Reload
	;; [unrolled: 1-line block ×3, first 2 shown]
	s_waitcnt vmcnt(0)
	global_store_dwordx4 v[0:1], v[4:7], off offset:3072 glc slc
.LBB12_6234:                            ;   in Loop: Header=BB12_6074 Depth=3
	s_or_b64 exec, exec, s[26:27]
	s_waitcnt vmcnt(0)
	v_lshlrev_b32_e32 v12, 13, v3
	v_cmp_ne_u32_e32 vcc, v61, v12
                                        ; implicit-def: $vgpr6
                                        ; implicit-def: $vgpr0
                                        ; implicit-def: $vgpr7
	s_and_saveexec_b64 s[40:41], vcc
	s_cbranch_execz .LBB12_6250
; %bb.6235:                             ;   in Loop: Header=BB12_6074 Depth=3
	buffer_load_dword v2, off, s[0:3], s33 offset:580 ; 4-byte Folded Reload
	v_lshlrev_b32_e32 v1, 6, v10
	v_sub_u32_e32 v0, v61, v12
	s_mov_b64 s[90:91], 0
	s_waitcnt vmcnt(0)
	v_sub_u32_e32 v1, v2, v1
	v_ashrrev_i32_e32 v2, 31, v1
	v_lshrrev_b32_e32 v2, 26, v2
	v_add_u32_e32 v2, v1, v2
	v_ashrrev_i32_e32 v3, 6, v2
	v_and_b32_e32 v2, 0xffffffc0, v2
	v_sub_u32_e32 v13, v1, v2
	v_lshlrev_b32_e32 v1, 4, v13
	v_lshl_add_u32 v1, v3, 10, v1
	v_add_u32_e32 v4, v1, v12
	v_sub_u32_e32 v17, v0, v1
	v_ashrrev_i32_e32 v1, 31, v0
	v_lshrrev_b32_e32 v1, 22, v1
	v_add_u32_e32 v1, v0, v1
	v_and_b32_e32 v14, 0xfffffc00, v1
	v_sub_u32_e32 v16, v0, v14
	v_ashrrev_i32_e32 v2, 10, v1
	v_cmp_lt_i32_e64 s[26:27], 15, v16
	v_addc_co_u32_e64 v0, vcc, 0, v2, s[26:27]
	v_sub_u32_e32 v15, v0, v3
	buffer_load_dword v0, off, s[0:3], s33 offset:284 ; 4-byte Folded Reload
	buffer_load_dword v1, off, s[0:3], s33 offset:288 ; 4-byte Folded Reload
	v_ashrrev_i32_e32 v5, 31, v4
                                        ; implicit-def: $vgpr2_vgpr3
	s_waitcnt vmcnt(0)
	v_add_co_u32_e32 v0, vcc, v4, v0
	v_addc_co_u32_e32 v1, vcc, v5, v1, vcc
	v_cmp_lt_i32_e32 vcc, 15, v17
	s_and_saveexec_b64 s[88:89], vcc
	s_cbranch_execz .LBB12_6245
; %bb.6236:                             ;   in Loop: Header=BB12_6074 Depth=3
	buffer_load_dword v2, off, s[0:3], s33 offset:240 ; 4-byte Folded Reload
	buffer_load_dword v3, off, s[0:3], s33 offset:244 ; 4-byte Folded Reload
	s_mov_b64 s[94:95], 0
                                        ; implicit-def: $sgpr92_sgpr93
	s_waitcnt vmcnt(0)
	v_add_co_u32_e32 v10, vcc, v4, v2
	v_addc_co_u32_e32 v11, vcc, v5, v3, vcc
                                        ; implicit-def: $vgpr2_vgpr3
	s_branch .LBB12_6238
.LBB12_6237:                            ;   in Loop: Header=BB12_6238 Depth=4
	s_or_b64 exec, exec, s[30:31]
	v_cmp_gt_i32_e32 vcc, 16, v17
	s_or_b64 s[90:91], vcc, s[90:91]
	s_andn2_b64 s[92:93], s[92:93], exec
	s_and_b64 vcc, s[94:95], exec
	s_or_b64 s[92:93], s[92:93], vcc
	s_andn2_b64 exec, exec, s[90:91]
	s_cbranch_execz .LBB12_6244
.LBB12_6238:                            ;   Parent Loop BB12_47 Depth=1
                                        ;     Parent Loop BB12_6071 Depth=2
                                        ;       Parent Loop BB12_6074 Depth=3
                                        ; =>      This Inner Loop Header: Depth=4
	global_load_dwordx4 v[6:9], v[10:11], off glc slc
	s_and_saveexec_b64 s[30:31], s[94:95]
	s_cbranch_execz .LBB12_6240
; %bb.6239:                             ;   in Loop: Header=BB12_6238 Depth=4
	buffer_load_dword v18, off, s[0:3], s33 offset:420 ; 4-byte Folded Reload
	buffer_load_dword v19, off, s[0:3], s33 offset:424 ; 4-byte Folded Reload
	s_waitcnt vmcnt(0)
	v_add_co_u32_e32 v18, vcc, v0, v18
	v_addc_co_u32_e32 v19, vcc, v1, v19, vcc
	global_store_dwordx4 v[0:1], v[2:5], off glc slc
	v_mov_b32_e32 v0, v18
	v_mov_b32_e32 v1, v19
.LBB12_6240:                            ;   in Loop: Header=BB12_6238 Depth=4
	s_or_b64 exec, exec, s[30:31]
	buffer_load_dword v18, off, s[0:3], s33 offset:420 ; 4-byte Folded Reload
	s_waitcnt vmcnt(0)
	v_add_co_u32_e32 v10, vcc, v10, v18
	buffer_load_dword v18, off, s[0:3], s33 offset:424 ; 4-byte Folded Reload
	s_waitcnt vmcnt(0)
	v_addc_co_u32_e32 v11, vcc, v11, v18, vcc
	buffer_load_dword v18, off, s[0:3], s33 offset:384 ; 4-byte Folded Reload
	s_waitcnt vmcnt(0)
	v_sub_u32_e32 v17, v17, v18
	v_cmp_lt_i32_e64 s[94:95], 15, v17
	s_and_saveexec_b64 s[30:31], s[94:95]
	s_cbranch_execz .LBB12_6242
; %bb.6241:                             ;   in Loop: Header=BB12_6238 Depth=4
	global_load_dwordx4 v[2:5], v[10:11], off glc slc
	v_add_co_u32_e32 v10, vcc, 0x400, v10
	v_addc_co_u32_e32 v11, vcc, 0, v11, vcc
.LBB12_6242:                            ;   in Loop: Header=BB12_6238 Depth=4
	s_or_b64 exec, exec, s[30:31]
	buffer_load_dword v18, off, s[0:3], s33 offset:152 ; 4-byte Folded Reload
	s_waitcnt vmcnt(0)
	v_sub_u32_e32 v15, v15, v18
	global_store_dwordx4 v[0:1], v[6:9], off glc slc
	v_add_co_u32_e32 v0, vcc, 0x400, v0
	v_addc_co_u32_e32 v1, vcc, 0, v1, vcc
	s_and_saveexec_b64 s[30:31], s[94:95]
	s_cbranch_execz .LBB12_6237
; %bb.6243:                             ;   in Loop: Header=BB12_6238 Depth=4
	buffer_load_dword v6, off, s[0:3], s33 offset:152 ; 4-byte Folded Reload
	buffer_load_dword v7, off, s[0:3], s33 offset:416 ; 4-byte Folded Reload
	s_waitcnt vmcnt(0)
	v_sub_u32_e32 v15, v15, v6
	buffer_load_dword v6, off, s[0:3], s33 offset:384 ; 4-byte Folded Reload
	s_waitcnt vmcnt(0)
	v_sub_u32_e32 v17, v17, v6
	buffer_load_dword v6, off, s[0:3], s33 offset:412 ; 4-byte Folded Reload
	s_waitcnt vmcnt(0)
	v_add_co_u32_e32 v10, vcc, v10, v6
	v_addc_co_u32_e32 v11, vcc, v11, v7, vcc
	v_add_co_u32_e32 v0, vcc, v0, v6
	v_addc_co_u32_e32 v1, vcc, v1, v7, vcc
	s_branch .LBB12_6237
.LBB12_6244:                            ;   in Loop: Header=BB12_6074 Depth=3
	s_or_b64 exec, exec, s[90:91]
	s_and_b64 s[90:91], s[92:93], exec
.LBB12_6245:                            ;   in Loop: Header=BB12_6074 Depth=3
	s_or_b64 exec, exec, s[88:89]
	s_and_saveexec_b64 s[88:89], s[90:91]
	s_cbranch_execz .LBB12_6247
; %bb.6246:                             ;   in Loop: Header=BB12_6074 Depth=3
	global_store_dwordx4 v[0:1], v[2:5], off glc slc
.LBB12_6247:                            ;   in Loop: Header=BB12_6074 Depth=3
	s_or_b64 exec, exec, s[88:89]
	v_and_b32_e32 v1, 14, v61
	v_cndmask_b32_e64 v61, v16, v1, s[26:27]
	v_cmp_ne_u32_e32 vcc, 0, v61
	s_mov_b64 s[90:91], s[28:29]
                                        ; implicit-def: $vgpr6
                                        ; implicit-def: $vgpr0
                                        ; implicit-def: $vgpr7
	s_and_saveexec_b64 s[88:89], vcc
	s_cbranch_execz .LBB12_6249
; %bb.6248:                             ;   in Loop: Header=BB12_6074 Depth=3
	v_sub_u32_e32 v0, v16, v1
	v_cndmask_b32_e64 v0, 0, v0, s[26:27]
	v_add3_u32 v6, v14, v12, v0
	buffer_load_dword v0, off, s[0:3], s33 offset:152 ; 4-byte Folded Reload
	v_cmp_lt_i32_e32 vcc, 0, v15
	s_or_b64 s[90:91], s[28:29], exec
	s_waitcnt vmcnt(0)
	v_cndmask_b32_e32 v0, 0, v0, vcc
	v_sub_u32_e32 v0, v0, v15
	v_lshl_add_u32 v0, v0, 6, v13
	v_ashrrev_i32_e32 v1, 31, v0
	v_lshrrev_b32_e32 v1, 26, v1
	v_add_u32_e32 v1, v0, v1
	v_and_b32_e32 v1, 0xffffffc0, v1
	v_sub_u32_e32 v7, v0, v1
.LBB12_6249:                            ;   in Loop: Header=BB12_6074 Depth=3
	s_or_b64 exec, exec, s[88:89]
	s_andn2_b64 s[26:27], s[28:29], exec
	s_and_b64 s[28:29], s[90:91], exec
	s_or_b64 s[28:29], s[26:27], s[28:29]
.LBB12_6250:                            ;   in Loop: Header=BB12_6074 Depth=3
	s_or_b64 exec, exec, s[40:41]
	s_and_saveexec_b64 s[26:27], s[28:29]
	s_cbranch_execz .LBB12_6271
.LBB12_6251:                            ;   in Loop: Header=BB12_6074 Depth=3
	s_waitcnt vmcnt(0)
	v_ashrrev_i32_e32 v1, 31, v0
	v_lshrrev_b32_e32 v1, 26, v1
	v_add_u32_e32 v0, v0, v1
	v_ashrrev_i32_e32 v0, 6, v0
	v_lshlrev_b32_e32 v1, 11, v0
	v_lshlrev_b32_e32 v2, 1, v7
	v_add3_u32 v2, v6, v2, v1
	v_ashrrev_i32_e32 v1, 31, v61
	v_lshrrev_b32_e32 v1, 21, v1
	v_add_u32_e32 v1, v61, v1
	v_ashrrev_i32_e32 v8, 11, v1
	v_sub_u32_e32 v4, v8, v0
	buffer_load_dword v0, off, s[0:3], s33 offset:284 ; 4-byte Folded Reload
	buffer_load_dword v1, off, s[0:3], s33 offset:288 ; 4-byte Folded Reload
	v_ashrrev_i32_e32 v3, 31, v2
	s_mov_b64 s[40:41], 0
                                        ; implicit-def: $vgpr9
                                        ; implicit-def: $vgpr10
                                        ; implicit-def: $vgpr11
                                        ; implicit-def: $vgpr12
                                        ; implicit-def: $vgpr13
                                        ; implicit-def: $vgpr14
                                        ; implicit-def: $vgpr15
                                        ; implicit-def: $vgpr16
                                        ; implicit-def: $vgpr17
                                        ; implicit-def: $vgpr18
                                        ; implicit-def: $vgpr19
                                        ; implicit-def: $vgpr20
                                        ; implicit-def: $vgpr21
                                        ; implicit-def: $vgpr22
                                        ; implicit-def: $vgpr23
                                        ; implicit-def: $vgpr24
	s_waitcnt vmcnt(0)
	v_add_co_u32_e32 v0, vcc, v0, v2
	v_addc_co_u32_e32 v1, vcc, v1, v3, vcc
	v_cmp_lt_i32_e32 vcc, 0, v4
	s_and_saveexec_b64 s[28:29], vcc
	s_cbranch_execz .LBB12_6259
; %bb.6252:                             ;   in Loop: Header=BB12_6074 Depth=3
	buffer_load_dword v9, off, s[0:3], s33 offset:240 ; 4-byte Folded Reload
	buffer_load_dword v10, off, s[0:3], s33 offset:244 ; 4-byte Folded Reload
	s_mov_b64 s[90:91], 0
                                        ; implicit-def: $sgpr88_sgpr89
                                        ; implicit-def: $vgpr11
                                        ; implicit-def: $vgpr12
                                        ; implicit-def: $vgpr13
                                        ; implicit-def: $vgpr14
                                        ; implicit-def: $vgpr15
                                        ; implicit-def: $vgpr16
                                        ; implicit-def: $vgpr17
                                        ; implicit-def: $vgpr18
                                        ; implicit-def: $vgpr19
                                        ; implicit-def: $vgpr20
                                        ; implicit-def: $vgpr21
                                        ; implicit-def: $vgpr22
                                        ; implicit-def: $vgpr23
                                        ; implicit-def: $vgpr24
	s_waitcnt vmcnt(0)
	v_add_co_u32_e32 v2, vcc, v2, v9
	v_addc_co_u32_e32 v3, vcc, v3, v10, vcc
                                        ; implicit-def: $vgpr9
                                        ; implicit-def: $vgpr10
	s_branch .LBB12_6254
.LBB12_6253:                            ;   in Loop: Header=BB12_6254 Depth=4
	s_or_b64 exec, exec, s[92:93]
	s_waitcnt lgkmcnt(0)
	flat_store_short v[0:1], v25 glc slc
	flat_store_short v[0:1], v26 offset:128 glc slc
	flat_store_short v[0:1], v27 offset:256 glc slc
	;; [unrolled: 1-line block ×15, first 2 shown]
	s_waitcnt vmcnt(0)
	v_add_co_u32_e32 v0, vcc, v0, v4
	v_addc_co_u32_e32 v1, vcc, v1, v5, vcc
	v_add_co_u32_e32 v0, vcc, s64, v0
	v_addc_co_u32_e32 v1, vcc, 0, v1, vcc
	;; [unrolled: 2-line block ×3, first 2 shown]
	v_sub_u32_e32 v4, v49, v50
	v_cmp_gt_i32_e32 vcc, 1, v4
	s_or_b64 s[40:41], vcc, s[40:41]
	s_andn2_b64 s[88:89], s[88:89], exec
	s_and_b64 s[92:93], s[90:91], exec
	s_or_b64 s[88:89], s[88:89], s[92:93]
	s_andn2_b64 exec, exec, s[40:41]
	s_cbranch_execz .LBB12_6258
.LBB12_6254:                            ;   Parent Loop BB12_47 Depth=1
                                        ;     Parent Loop BB12_6071 Depth=2
                                        ;       Parent Loop BB12_6074 Depth=3
                                        ; =>      This Inner Loop Header: Depth=4
	flat_load_ushort v25, v[2:3] glc slc
	flat_load_ushort v26, v[2:3] offset:128 glc slc
	flat_load_ushort v27, v[2:3] offset:256 glc slc
	;; [unrolled: 1-line block ×15, first 2 shown]
	s_and_saveexec_b64 s[92:93], s[90:91]
	s_cbranch_execz .LBB12_6256
; %bb.6255:                             ;   in Loop: Header=BB12_6254 Depth=4
	flat_store_short v[0:1], v9 glc slc
	flat_store_short v[0:1], v10 offset:128 glc slc
	flat_store_short v[0:1], v11 offset:256 glc slc
	;; [unrolled: 1-line block ×15, first 2 shown]
	buffer_load_dword v5, off, s[0:3], s33 offset:232 ; 4-byte Folded Reload
	s_waitcnt vmcnt(0)
	v_add_co_u32_e32 v0, vcc, v0, v5
	buffer_load_dword v5, off, s[0:3], s33 offset:236 ; 4-byte Folded Reload
	s_waitcnt vmcnt(0)
	v_addc_co_u32_e32 v1, vcc, v1, v5, vcc
.LBB12_6256:                            ;   in Loop: Header=BB12_6254 Depth=4
	s_or_b64 exec, exec, s[92:93]
	buffer_load_dword v5, off, s[0:3], s33 offset:232 ; 4-byte Folded Reload
	v_mov_b32_e32 v50, 0
	s_waitcnt vmcnt(0)
	v_add_co_u32_e32 v2, vcc, v2, v5
	buffer_load_dword v5, off, s[0:3], s33 offset:236 ; 4-byte Folded Reload
	s_waitcnt vmcnt(0)
	v_addc_co_u32_e32 v3, vcc, v3, v5, vcc
	buffer_load_dword v5, off, s[0:3], s33 offset:152 ; 4-byte Folded Reload
	s_waitcnt vmcnt(0)
	v_sub_u32_e32 v49, v4, v5
	v_mov_b32_e32 v4, 0
	v_mov_b32_e32 v5, 0
	v_cmp_lt_i32_e64 s[90:91], 0, v49
	s_and_saveexec_b64 s[92:93], s[90:91]
	s_cbranch_execz .LBB12_6253
; %bb.6257:                             ;   in Loop: Header=BB12_6254 Depth=4
	flat_load_ushort v9, v[2:3] glc slc
	flat_load_ushort v10, v[2:3] offset:128 glc slc
	flat_load_ushort v11, v[2:3] offset:256 glc slc
	;; [unrolled: 1-line block ×15, first 2 shown]
	buffer_load_dword v50, off, s[0:3], s33 offset:152 ; 4-byte Folded Reload
	buffer_load_dword v4, off, s[0:3], s33 offset:272 ; 4-byte Folded Reload
	buffer_load_dword v5, off, s[0:3], s33 offset:276 ; 4-byte Folded Reload
	v_add_co_u32_e32 v2, vcc, 0x800, v2
	v_addc_co_u32_e32 v3, vcc, 0, v3, vcc
	s_branch .LBB12_6253
.LBB12_6258:                            ;   in Loop: Header=BB12_6074 Depth=3
	s_or_b64 exec, exec, s[40:41]
	s_and_b64 s[40:41], s[88:89], exec
.LBB12_6259:                            ;   in Loop: Header=BB12_6074 Depth=3
	s_or_b64 exec, exec, s[28:29]
	s_and_saveexec_b64 s[28:29], s[40:41]
	s_cbranch_execz .LBB12_6261
; %bb.6260:                             ;   in Loop: Header=BB12_6074 Depth=3
	flat_store_short v[0:1], v9 glc slc
	flat_store_short v[0:1], v10 offset:128 glc slc
	flat_store_short v[0:1], v11 offset:256 glc slc
	;; [unrolled: 1-line block ×15, first 2 shown]
.LBB12_6261:                            ;   in Loop: Header=BB12_6074 Depth=3
	s_or_b64 exec, exec, s[28:29]
	v_lshlrev_b32_e32 v0, 11, v8
	v_cmp_ne_u32_e32 vcc, v61, v0
	s_and_b64 exec, exec, vcc
	s_cbranch_execz .LBB12_6271
; %bb.6262:                             ;   in Loop: Header=BB12_6074 Depth=3
	v_lshlrev_b32_e32 v1, 6, v4
	v_sub_u32_e32 v1, v7, v1
	v_ashrrev_i32_e32 v2, 31, v1
	v_lshrrev_b32_e32 v2, 26, v2
	v_add_u32_e32 v2, v1, v2
	v_and_b32_e32 v3, 0x7fffffc0, v2
	v_sub_u32_e32 v1, v1, v3
	v_lshlrev_b32_e32 v2, 1, v2
	v_and_b32_e32 v2, 0xffffff80, v2
	v_lshlrev_b32_e32 v1, 1, v1
	v_add3_u32 v0, v2, v1, v0
	v_sub_u32_e32 v4, v61, v0
	v_cmp_lt_i32_e32 vcc, 1, v4
	s_and_b64 exec, exec, vcc
	s_cbranch_execz .LBB12_6271
; %bb.6263:                             ;   in Loop: Header=BB12_6074 Depth=3
	v_add_u32_e32 v2, v0, v6
	buffer_load_dword v0, off, s[0:3], s33 offset:284 ; 4-byte Folded Reload
	buffer_load_dword v1, off, s[0:3], s33 offset:288 ; 4-byte Folded Reload
	;; [unrolled: 1-line block ×4, first 2 shown]
	v_ashrrev_i32_e32 v3, 31, v2
	s_mov_b64 s[88:89], 0
	s_mov_b64 s[28:29], 0
                                        ; implicit-def: $sgpr40_sgpr41
	s_waitcnt vmcnt(0)
	v_add_co_u32_e32 v0, vcc, v0, v2
	v_addc_co_u32_e32 v1, vcc, v1, v3, vcc
	v_add_co_u32_e32 v2, vcc, v2, v5
	v_addc_co_u32_e32 v3, vcc, v3, v6, vcc
                                        ; implicit-def: $vgpr6
	s_branch .LBB12_6265
.LBB12_6264:                            ;   in Loop: Header=BB12_6265 Depth=4
	s_or_b64 exec, exec, s[90:91]
	s_waitcnt lgkmcnt(0)
	flat_store_short v[0:1], v7 glc slc
	s_waitcnt vmcnt(0)
	v_add_co_u32_e32 v0, vcc, v0, v4
	v_addc_co_u32_e32 v1, vcc, v1, v5, vcc
	v_add_co_u32_e32 v2, vcc, v2, v4
	v_addc_co_u32_e32 v3, vcc, v3, v5, vcc
	;; [unrolled: 2-line block ×3, first 2 shown]
	v_sub_u32_e32 v4, v8, v9
	v_cmp_gt_i32_e32 vcc, 2, v4
	s_or_b64 s[28:29], vcc, s[28:29]
	s_andn2_b64 s[40:41], s[40:41], exec
	s_and_b64 s[90:91], s[88:89], exec
	s_or_b64 s[40:41], s[40:41], s[90:91]
	s_andn2_b64 exec, exec, s[28:29]
	s_cbranch_execz .LBB12_6269
.LBB12_6265:                            ;   Parent Loop BB12_47 Depth=1
                                        ;     Parent Loop BB12_6071 Depth=2
                                        ;       Parent Loop BB12_6074 Depth=3
                                        ; =>      This Inner Loop Header: Depth=4
	flat_load_ushort v7, v[2:3] glc slc
	s_and_saveexec_b64 s[90:91], s[88:89]
	s_cbranch_execz .LBB12_6267
; %bb.6266:                             ;   in Loop: Header=BB12_6265 Depth=4
	buffer_load_dword v5, off, s[0:3], s33 offset:396 ; 4-byte Folded Reload
	s_waitcnt vmcnt(0)
	v_add_co_u32_e32 v8, vcc, v0, v5
	buffer_load_dword v5, off, s[0:3], s33 offset:400 ; 4-byte Folded Reload
	s_waitcnt vmcnt(0)
	v_addc_co_u32_e32 v9, vcc, v1, v5, vcc
	flat_store_short v[0:1], v6 glc slc
	v_mov_b32_e32 v0, v8
	v_mov_b32_e32 v1, v9
.LBB12_6267:                            ;   in Loop: Header=BB12_6265 Depth=4
	s_or_b64 exec, exec, s[90:91]
	buffer_load_dword v5, off, s[0:3], s33 offset:396 ; 4-byte Folded Reload
	v_mov_b32_e32 v9, 0
	s_waitcnt vmcnt(0)
	v_add_co_u32_e32 v2, vcc, v2, v5
	buffer_load_dword v5, off, s[0:3], s33 offset:400 ; 4-byte Folded Reload
	s_waitcnt vmcnt(0)
	v_addc_co_u32_e32 v3, vcc, v3, v5, vcc
	buffer_load_dword v5, off, s[0:3], s33 offset:280 ; 4-byte Folded Reload
	s_waitcnt vmcnt(0)
	v_sub_u32_e32 v8, v4, v5
	v_mov_b32_e32 v4, 0
	v_cmp_lt_i32_e64 s[88:89], 1, v8
	v_mov_b32_e32 v5, 0
	s_and_saveexec_b64 s[90:91], s[88:89]
	s_cbranch_execz .LBB12_6264
; %bb.6268:                             ;   in Loop: Header=BB12_6265 Depth=4
	flat_load_ushort v6, v[2:3] glc slc
	buffer_load_dword v9, off, s[0:3], s33 offset:280 ; 4-byte Folded Reload
	buffer_load_dword v4, off, s[0:3], s33 offset:388 ; 4-byte Folded Reload
	;; [unrolled: 1-line block ×3, first 2 shown]
	v_add_co_u32_e32 v2, vcc, 0x80, v2
	v_addc_co_u32_e32 v3, vcc, 0, v3, vcc
	s_branch .LBB12_6264
.LBB12_6269:                            ;   in Loop: Header=BB12_6074 Depth=3
	s_or_b64 exec, exec, s[28:29]
	s_and_b64 exec, exec, s[40:41]
	s_cbranch_execz .LBB12_6271
; %bb.6270:                             ;   in Loop: Header=BB12_6074 Depth=3
	flat_store_short v[0:1], v6 glc slc
.LBB12_6271:                            ;   in Loop: Header=BB12_6074 Depth=3
	s_or_b64 exec, exec, s[26:27]
	v_cmp_lt_i32_e64 s[26:27], 0, v42
	s_and_saveexec_b64 s[28:29], s[10:11]
	s_cbranch_execz .LBB12_6157
.LBB12_6272:                            ;   in Loop: Header=BB12_6074 Depth=3
	s_and_saveexec_b64 s[40:41], s[56:57]
	s_xor_b64 s[40:41], exec, s[40:41]
	s_cbranch_execz .LBB12_6287
; %bb.6273:                             ;   in Loop: Header=BB12_6074 Depth=3
	s_and_saveexec_b64 s[88:89], s[16:17]
	s_cbranch_execz .LBB12_6286
; %bb.6274:                             ;   in Loop: Header=BB12_6074 Depth=3
	s_mov_b64 s[92:93], exec
	s_waitcnt vmcnt(0)
	v_mbcnt_lo_u32_b32 v0, s92, 0
	v_mbcnt_hi_u32_b32 v0, s93, v0
	v_cmp_eq_u32_e32 vcc, 0, v0
	s_waitcnt lgkmcnt(0)
	buffer_wbinvl1_vol
	s_and_saveexec_b64 s[90:91], vcc
	s_cbranch_execz .LBB12_6276
; %bb.6275:                             ;   in Loop: Header=BB12_6074 Depth=3
	buffer_load_dword v1, off, s[0:3], s33 offset:128 ; 4-byte Folded Reload
	buffer_load_dword v2, off, s[0:3], s33 offset:132 ; 4-byte Folded Reload
	s_bcnt1_i32_b64 s9, s[92:93]
	v_mov_b32_e32 v0, s9
	s_waitcnt vmcnt(1)
	ds_add_u64 v0, v[0:1]
	s_trap 2
.LBB12_6276:                            ;   in Loop: Header=BB12_6074 Depth=3
	s_or_b64 exec, exec, s[90:91]
	s_trap 2
	ds_read_b64 v[0:1], v0
	s_waitcnt lgkmcnt(0)
	buffer_load_dword v2, off, s[0:3], s33 offset:152 ; 4-byte Folded Reload
	buffer_load_dword v3, off, s[0:3], s33 offset:160 ; 4-byte Folded Reload
	;; [unrolled: 1-line block ×3, first 2 shown]
	s_waitcnt vmcnt(1)
	v_add_co_u32_e32 v3, vcc, v3, v2
	s_waitcnt vmcnt(0)
	v_addc_co_u32_e32 v4, vcc, 0, v4, vcc
	buffer_store_dword v3, off, s[0:3], s33 offset:160 ; 4-byte Folded Spill
	s_nop 0
	buffer_store_dword v4, off, s[0:3], s33 offset:164 ; 4-byte Folded Spill
	v_cmp_lt_u64_e32 vcc, v[0:1], v[3:4]
	s_and_saveexec_b64 s[90:91], vcc
	s_cbranch_execz .LBB12_6285
; %bb.6277:                             ;   in Loop: Header=BB12_6074 Depth=3
	s_mov_b32 s9, 0
	s_mov_b64 s[92:93], 0
                                        ; implicit-def: $sgpr94_sgpr95
                                        ; implicit-def: $sgpr30_sgpr31
	s_branch .LBB12_6279
.LBB12_6278:                            ;   in Loop: Header=BB12_6279 Depth=4
	s_or_b64 exec, exec, s[36:37]
	s_and_b64 vcc, exec, vcc
	s_or_b64 s[92:93], vcc, s[92:93]
	s_andn2_b64 s[94:95], s[94:95], exec
	s_and_b64 vcc, s[30:31], exec
	s_or_b64 s[94:95], s[94:95], vcc
	s_andn2_b64 exec, exec, s[92:93]
	s_cbranch_execz .LBB12_6283
.LBB12_6279:                            ;   Parent Loop BB12_47 Depth=1
                                        ;     Parent Loop BB12_6071 Depth=2
                                        ;       Parent Loop BB12_6074 Depth=3
                                        ; =>      This Inner Loop Header: Depth=4
	s_add_i32 s9, s9, 1
	s_cmpk_lg_i32 s9, 0x2710
	s_cselect_b64 s[34:35], -1, 0
	s_and_b64 vcc, exec, s[34:35]
	s_cbranch_vccz .LBB12_6281
; %bb.6280:                             ;   in Loop: Header=BB12_6279 Depth=4
	s_mov_b64 vcc, -1
	s_or_b64 s[30:31], s[30:31], exec
	s_and_saveexec_b64 s[36:37], s[34:35]
	s_cbranch_execz .LBB12_6278
	s_branch .LBB12_6282
.LBB12_6281:                            ;   in Loop: Header=BB12_6279 Depth=4
	s_trap 2
	ds_read_b64 v[0:1], v0
	s_andn2_b64 s[34:35], s[34:35], exec
	s_mov_b32 s9, 0
	s_waitcnt vmcnt(0) lgkmcnt(0)
	flat_load_dword v0, v[0:1] glc
	s_waitcnt vmcnt(0) lgkmcnt(0)
	buffer_wbinvl1_vol
	v_cmp_eq_u32_e32 vcc, 0, v0
	s_and_b64 vcc, vcc, exec
	s_or_b64 s[34:35], s[34:35], vcc
	s_mov_b64 vcc, -1
	s_or_b64 s[30:31], s[30:31], exec
	s_and_saveexec_b64 s[36:37], s[34:35]
	s_cbranch_execz .LBB12_6278
.LBB12_6282:                            ;   in Loop: Header=BB12_6279 Depth=4
	s_sleep 1
	s_trap 2
	ds_read_b64 v[0:1], v0
	s_waitcnt lgkmcnt(0)
	buffer_load_dword v2, off, s[0:3], s33 offset:160 ; 4-byte Folded Reload
	buffer_load_dword v3, off, s[0:3], s33 offset:164 ; 4-byte Folded Reload
	s_andn2_b64 s[30:31], s[30:31], exec
	s_waitcnt vmcnt(0)
	v_cmp_ge_u64_e32 vcc, v[0:1], v[2:3]
	s_orn2_b64 vcc, vcc, exec
	s_branch .LBB12_6278
.LBB12_6283:                            ;   in Loop: Header=BB12_6074 Depth=3
	s_or_b64 exec, exec, s[92:93]
	s_and_saveexec_b64 s[92:93], s[94:95]
	s_xor_b64 s[92:93], exec, s[92:93]
	s_cbranch_execz .LBB12_6285
; %bb.6284:                             ;   in Loop: Header=BB12_6074 Depth=3
	v_mov_b32_e32 v0, 1
	ds_write_b32 v0, v0
	s_trap 2
.LBB12_6285:                            ;   in Loop: Header=BB12_6074 Depth=3
	s_or_b64 exec, exec, s[90:91]
	;;#ASMSTART
	s_wakeup
	;;#ASMEND
.LBB12_6286:                            ;   in Loop: Header=BB12_6074 Depth=3
	s_or_b64 exec, exec, s[88:89]
.LBB12_6287:                            ;   in Loop: Header=BB12_6074 Depth=3
	s_andn2_saveexec_b64 s[40:41], s[40:41]
	s_cbranch_execz .LBB12_6289
; %bb.6288:                             ;   in Loop: Header=BB12_6074 Depth=3
	s_waitcnt vmcnt(0) lgkmcnt(0)
	buffer_wbinvl1_vol
	s_barrier
.LBB12_6289:                            ;   in Loop: Header=BB12_6074 Depth=3
	s_or_b64 exec, exec, s[40:41]
	s_or_b64 exec, exec, s[28:29]
                                        ; implicit-def: $vgpr0
	s_and_saveexec_b64 s[28:29], s[24:25]
	s_xor_b64 s[28:29], exec, s[28:29]
	s_cbranch_execnz .LBB12_6158
.LBB12_6290:                            ;   in Loop: Header=BB12_6074 Depth=3
	s_andn2_saveexec_b64 s[26:27], s[28:29]
	s_cbranch_execz .LBB12_6309
.LBB12_6291:                            ;   in Loop: Header=BB12_6074 Depth=3
	s_and_saveexec_b64 s[28:29], s[56:57]
	s_xor_b64 s[28:29], exec, s[28:29]
	s_cbranch_execz .LBB12_6306
; %bb.6292:                             ;   in Loop: Header=BB12_6074 Depth=3
	s_and_saveexec_b64 s[40:41], s[16:17]
	s_cbranch_execz .LBB12_6305
; %bb.6293:                             ;   in Loop: Header=BB12_6074 Depth=3
	s_mov_b64 s[90:91], exec
	s_waitcnt vmcnt(0)
	v_mbcnt_lo_u32_b32 v0, s90, 0
	v_mbcnt_hi_u32_b32 v0, s91, v0
	v_cmp_eq_u32_e32 vcc, 0, v0
	;;#ASMSTART
	s_waitcnt lgkmcnt(0) vmcnt(0)
	;;#ASMEND
	s_and_saveexec_b64 s[88:89], vcc
	s_cbranch_execz .LBB12_6295
; %bb.6294:                             ;   in Loop: Header=BB12_6074 Depth=3
	buffer_load_dword v1, off, s[0:3], s33 offset:128 ; 4-byte Folded Reload
	buffer_load_dword v2, off, s[0:3], s33 offset:132 ; 4-byte Folded Reload
	s_bcnt1_i32_b64 s9, s[90:91]
	v_mov_b32_e32 v0, s9
	s_waitcnt vmcnt(0) lgkmcnt(0)
	ds_add_u64 v0, v[0:1]
	s_trap 2
.LBB12_6295:                            ;   in Loop: Header=BB12_6074 Depth=3
	s_or_b64 exec, exec, s[88:89]
	s_trap 2
	ds_read_b64 v[0:1], v0
	s_waitcnt lgkmcnt(0)
	buffer_load_dword v2, off, s[0:3], s33 offset:152 ; 4-byte Folded Reload
	buffer_load_dword v3, off, s[0:3], s33 offset:160 ; 4-byte Folded Reload
	buffer_load_dword v4, off, s[0:3], s33 offset:164 ; 4-byte Folded Reload
	s_waitcnt vmcnt(1)
	v_add_co_u32_e32 v3, vcc, v3, v2
	s_waitcnt vmcnt(0)
	v_addc_co_u32_e32 v4, vcc, 0, v4, vcc
	buffer_store_dword v3, off, s[0:3], s33 offset:160 ; 4-byte Folded Spill
	s_nop 0
	buffer_store_dword v4, off, s[0:3], s33 offset:164 ; 4-byte Folded Spill
	v_cmp_lt_u64_e32 vcc, v[0:1], v[3:4]
	s_and_saveexec_b64 s[88:89], vcc
	s_cbranch_execz .LBB12_6304
; %bb.6296:                             ;   in Loop: Header=BB12_6074 Depth=3
	s_mov_b32 s9, 0
	s_mov_b64 s[90:91], 0
                                        ; implicit-def: $sgpr92_sgpr93
                                        ; implicit-def: $sgpr94_sgpr95
	s_branch .LBB12_6298
.LBB12_6297:                            ;   in Loop: Header=BB12_6298 Depth=4
	s_or_b64 exec, exec, s[34:35]
	s_and_b64 vcc, exec, vcc
	s_or_b64 s[90:91], vcc, s[90:91]
	s_andn2_b64 s[92:93], s[92:93], exec
	s_and_b64 vcc, s[94:95], exec
	s_or_b64 s[92:93], s[92:93], vcc
	s_andn2_b64 exec, exec, s[90:91]
	s_cbranch_execz .LBB12_6302
.LBB12_6298:                            ;   Parent Loop BB12_47 Depth=1
                                        ;     Parent Loop BB12_6071 Depth=2
                                        ;       Parent Loop BB12_6074 Depth=3
                                        ; =>      This Inner Loop Header: Depth=4
	s_add_i32 s9, s9, 1
	s_cmpk_lg_i32 s9, 0x2710
	s_cselect_b64 s[30:31], -1, 0
	s_and_b64 vcc, exec, s[30:31]
	s_cbranch_vccz .LBB12_6300
; %bb.6299:                             ;   in Loop: Header=BB12_6298 Depth=4
	s_mov_b64 vcc, -1
	s_or_b64 s[94:95], s[94:95], exec
	s_and_saveexec_b64 s[34:35], s[30:31]
	s_cbranch_execz .LBB12_6297
	s_branch .LBB12_6301
.LBB12_6300:                            ;   in Loop: Header=BB12_6298 Depth=4
	s_trap 2
	ds_read_b64 v[0:1], v0
	s_andn2_b64 s[30:31], s[30:31], exec
	s_mov_b32 s9, 0
	s_waitcnt vmcnt(0) lgkmcnt(0)
	flat_load_dword v0, v[0:1] glc
	s_waitcnt vmcnt(0) lgkmcnt(0)
	buffer_wbinvl1_vol
	v_cmp_eq_u32_e32 vcc, 0, v0
	s_and_b64 vcc, vcc, exec
	s_or_b64 s[30:31], s[30:31], vcc
	s_mov_b64 vcc, -1
	s_or_b64 s[94:95], s[94:95], exec
	s_and_saveexec_b64 s[34:35], s[30:31]
	s_cbranch_execz .LBB12_6297
.LBB12_6301:                            ;   in Loop: Header=BB12_6298 Depth=4
	s_sleep 1
	s_trap 2
	ds_read_b64 v[0:1], v0
	s_waitcnt lgkmcnt(0)
	buffer_load_dword v2, off, s[0:3], s33 offset:160 ; 4-byte Folded Reload
	buffer_load_dword v3, off, s[0:3], s33 offset:164 ; 4-byte Folded Reload
	s_andn2_b64 s[94:95], s[94:95], exec
	s_waitcnt vmcnt(0)
	v_cmp_ge_u64_e32 vcc, v[0:1], v[2:3]
	s_orn2_b64 vcc, vcc, exec
	s_branch .LBB12_6297
.LBB12_6302:                            ;   in Loop: Header=BB12_6074 Depth=3
	s_or_b64 exec, exec, s[90:91]
	s_and_saveexec_b64 s[90:91], s[92:93]
	s_xor_b64 s[90:91], exec, s[90:91]
	s_cbranch_execz .LBB12_6304
; %bb.6303:                             ;   in Loop: Header=BB12_6074 Depth=3
	v_mov_b32_e32 v0, 1
	ds_write_b32 v0, v0
	s_trap 2
.LBB12_6304:                            ;   in Loop: Header=BB12_6074 Depth=3
	s_or_b64 exec, exec, s[88:89]
	;;#ASMSTART
	s_wakeup
	;;#ASMEND
.LBB12_6305:                            ;   in Loop: Header=BB12_6074 Depth=3
	s_or_b64 exec, exec, s[40:41]
.LBB12_6306:                            ;   in Loop: Header=BB12_6074 Depth=3
	s_andn2_saveexec_b64 s[28:29], s[28:29]
	s_cbranch_execz .LBB12_6308
; %bb.6307:                             ;   in Loop: Header=BB12_6074 Depth=3
	;;#ASMSTART
	s_waitcnt lgkmcnt(0) vmcnt(0)
	;;#ASMEND
	s_waitcnt vmcnt(0) lgkmcnt(0)
	s_barrier
.LBB12_6308:                            ;   in Loop: Header=BB12_6074 Depth=3
	s_or_b64 exec, exec, s[28:29]
	buffer_load_dword v0, off, s[0:3], s33 offset:156 ; 4-byte Folded Reload
	s_waitcnt vmcnt(0)
	v_and_b32_e32 v0, 16, v0
.LBB12_6309:                            ;   in Loop: Header=BB12_6074 Depth=3
	s_or_b64 exec, exec, s[26:27]
	s_waitcnt vmcnt(0)
	v_cmp_ne_u32_e32 vcc, 0, v0
	s_xor_b64 s[26:27], s[12:13], -1
	s_and_b64 s[28:29], vcc, s[26:27]
	s_and_saveexec_b64 s[26:27], s[28:29]
	s_cbranch_execz .LBB12_6311
; %bb.6310:                             ;   in Loop: Header=BB12_6074 Depth=3
	buffer_load_dword v0, off, s[0:3], s33 offset:548 ; 4-byte Folded Reload
	buffer_load_dword v1, off, s[0:3], s33 offset:552 ; 4-byte Folded Reload
	v_mov_b32_e32 v2, 1
	s_waitcnt vmcnt(0)
	flat_store_dword v[0:1], v2
.LBB12_6311:                            ;   in Loop: Header=BB12_6074 Depth=3
	s_or_b64 exec, exec, s[26:27]
	buffer_load_dword v0, off, s[0:3], s33 offset:156 ; 4-byte Folded Reload
	s_waitcnt vmcnt(0)
	v_and_b32_e32 v0, 48, v0
	v_cmp_ne_u32_e32 vcc, 0, v0
	s_and_saveexec_b64 s[26:27], vcc
	s_cbranch_execz .LBB12_6073
; %bb.6312:                             ;   in Loop: Header=BB12_6074 Depth=3
	buffer_load_dword v2, off, s[0:3], s33 offset:256 ; 4-byte Folded Reload
	buffer_load_dword v3, off, s[0:3], s33 offset:260 ; 4-byte Folded Reload
	;; [unrolled: 1-line block ×4, first 2 shown]
	s_waitcnt vmcnt(0)
	v_add_co_u32_e32 v2, vcc, 2, v2
	v_addc_co_u32_e32 v3, vcc, 0, v3, vcc
	buffer_store_dword v2, off, s[0:3], s33 offset:256 ; 4-byte Folded Spill
	s_nop 0
	buffer_store_dword v3, off, s[0:3], s33 offset:260 ; 4-byte Folded Spill
	flat_store_dwordx2 v[0:1], v[2:3]
	s_branch .LBB12_6073
.LBB12_6313:                            ;   in Loop: Header=BB12_6071 Depth=2
	s_or_b64 exec, exec, s[42:43]
	v_cmp_gt_i32_e32 vcc, 2, v2
	s_and_saveexec_b64 s[28:29], vcc
	s_cbranch_execz .LBB12_6389
.LBB12_6314:                            ;   in Loop: Header=BB12_6071 Depth=2
	v_cmp_eq_u32_e64 s[42:43], 0, v2
	s_mov_b64 s[40:41], 0
	s_branch .LBB12_6316
.LBB12_6315:                            ;   in Loop: Header=BB12_6316 Depth=3
	s_or_b64 exec, exec, s[26:27]
	v_add_u32_e32 v43, v41, v43
	s_mov_b64 s[42:43], 0
	s_andn2_b64 exec, exec, s[40:41]
	s_cbranch_execz .LBB12_6390
.LBB12_6316:                            ;   Parent Loop BB12_47 Depth=1
                                        ;     Parent Loop BB12_6071 Depth=2
                                        ; =>    This Loop Header: Depth=3
                                        ;         Child Loop BB12_6322 Depth 4
                                        ;         Child Loop BB12_6350 Depth 4
                                        ;         Child Loop BB12_6373 Depth 4
	v_sub_u32_e32 v0, v40, v43
	v_min_i32_e32 v41, v41, v0
	buffer_load_dword v0, off, s[0:3], s33 offset:156 ; 4-byte Folded Reload
	s_waitcnt vmcnt(0)
	v_and_b32_e32 v0, 12, v0
	v_cmp_ne_u32_e32 vcc, 0, v0
	s_and_saveexec_b64 s[76:77], vcc
	s_cbranch_execz .LBB12_6342
; %bb.6317:                             ;   in Loop: Header=BB12_6316 Depth=3
	buffer_load_dword v0, off, s[0:3], s33 offset:156 ; 4-byte Folded Reload
	s_waitcnt vmcnt(0)
	v_and_b32_e32 v8, 8, v0
	buffer_load_dword v0, off, s[0:3], s33 offset:136 ; 4-byte Folded Reload
	buffer_load_dword v1, off, s[0:3], s33 offset:140 ; 4-byte Folded Reload
	s_waitcnt vmcnt(0)
	v_add_co_u32_e32 v2, vcc, v0, v8
	v_addc_co_u32_e32 v3, vcc, 0, v1, vcc
	buffer_load_dword v0, off, s[0:3], s33 offset:256 ; 4-byte Folded Reload
	buffer_load_dword v1, off, s[0:3], s33 offset:260 ; 4-byte Folded Reload
	s_waitcnt vmcnt(0)
	v_add_co_u32_e32 v0, vcc, 2, v0
	v_addc_co_u32_e32 v1, vcc, 0, v1, vcc
	v_cmp_lt_u64_e32 vcc, v[2:3], v[0:1]
	s_and_saveexec_b64 s[78:79], vcc
	s_cbranch_execz .LBB12_6329
; %bb.6318:                             ;   in Loop: Header=BB12_6316 Depth=3
	buffer_load_dword v2, off, s[0:3], s33 offset:156 ; 4-byte Folded Reload
	s_mov_b32 s9, 0
	s_mov_b64 s[88:89], 0
                                        ; implicit-def: $sgpr90_sgpr91
                                        ; implicit-def: $sgpr92_sgpr93
                                        ; implicit-def: $sgpr94_sgpr95
	s_waitcnt vmcnt(0)
	v_and_b32_e32 v2, 64, v2
	v_cmp_eq_u32_e32 vcc, 0, v2
	s_branch .LBB12_6322
.LBB12_6319:                            ;   in Loop: Header=BB12_6322 Depth=4
	buffer_load_dword v3, off, s[0:3], s33 offset:136 ; 4-byte Folded Reload
	buffer_load_dword v4, off, s[0:3], s33 offset:140 ; 4-byte Folded Reload
	s_or_b64 s[36:37], s[36:37], exec
	s_waitcnt vmcnt(1)
	v_add_co_u32_e64 v3, s[26:27], v3, v8
	s_waitcnt vmcnt(0)
	v_addc_co_u32_e64 v4, s[26:27], 0, v4, s[26:27]
	v_cmp_ge_u64_e64 s[26:27], v[3:4], v[0:1]
	s_orn2_b64 s[34:35], s[26:27], exec
.LBB12_6320:                            ;   in Loop: Header=BB12_6322 Depth=4
	s_or_b64 exec, exec, s[48:49]
	s_andn2_b64 s[26:27], s[94:95], exec
	s_and_b64 s[94:95], s[36:37], exec
	s_or_b64 s[94:95], s[26:27], s[94:95]
	s_andn2_b64 s[26:27], s[92:93], exec
	s_and_b64 s[92:93], s[34:35], exec
	s_or_b64 s[92:93], s[26:27], s[92:93]
.LBB12_6321:                            ;   in Loop: Header=BB12_6322 Depth=4
	s_or_b64 exec, exec, s[30:31]
	s_and_b64 s[26:27], exec, s[92:93]
	s_or_b64 s[88:89], s[26:27], s[88:89]
	s_andn2_b64 s[26:27], s[90:91], exec
	s_and_b64 s[90:91], s[94:95], exec
	s_or_b64 s[90:91], s[26:27], s[90:91]
	s_andn2_b64 exec, exec, s[88:89]
	s_cbranch_execz .LBB12_6326
.LBB12_6322:                            ;   Parent Loop BB12_47 Depth=1
                                        ;     Parent Loop BB12_6071 Depth=2
                                        ;       Parent Loop BB12_6316 Depth=3
                                        ; =>      This Inner Loop Header: Depth=4
	s_sleep 1
	buffer_load_dword v2, off, s[0:3], s33 offset:144 ; 4-byte Folded Reload
	buffer_load_dword v3, off, s[0:3], s33 offset:148 ; 4-byte Folded Reload
	s_or_b64 s[94:95], s[94:95], exec
	s_or_b64 s[92:93], s[92:93], exec
	s_waitcnt vmcnt(0)
	flat_load_dwordx2 v[2:3], v[2:3] glc
	s_waitcnt vmcnt(0) lgkmcnt(0)
	buffer_store_dword v2, off, s[0:3], s33 offset:136 ; 4-byte Folded Spill
	s_nop 0
	buffer_store_dword v3, off, s[0:3], s33 offset:140 ; 4-byte Folded Spill
                                        ; implicit-def: $vgpr2
	s_and_saveexec_b64 s[30:31], vcc
	s_cbranch_execz .LBB12_6321
; %bb.6323:                             ;   in Loop: Header=BB12_6322 Depth=4
	s_cmpk_lt_i32 s9, 0x270f
	s_cselect_b64 s[38:39], -1, 0
	s_cmpk_gt_i32 s9, 0x270e
	s_mov_b64 s[34:35], -1
	s_cbranch_scc0 .LBB12_6325
; %bb.6324:                             ;   in Loop: Header=BB12_6322 Depth=4
	s_trap 2
	ds_read_b64 v[2:3], v0
	s_andn2_b64 s[38:39], s[38:39], exec
	s_mov_b32 s9, 0
	s_mov_b64 s[36:37], 0
	s_waitcnt vmcnt(0) lgkmcnt(0)
	flat_load_dword v2, v[2:3] glc
	s_waitcnt vmcnt(0) lgkmcnt(0)
	buffer_wbinvl1_vol
	v_cmp_eq_u32_e64 s[26:27], 0, v2
	s_and_b64 s[26:27], s[26:27], exec
	s_or_b64 s[38:39], s[38:39], s[26:27]
	s_and_saveexec_b64 s[48:49], s[38:39]
	s_cbranch_execz .LBB12_6320
	s_branch .LBB12_6319
.LBB12_6325:                            ;   in Loop: Header=BB12_6322 Depth=4
	s_add_i32 s9, s9, 1
	s_mov_b64 s[36:37], -1
                                        ; implicit-def: $vgpr2
	s_and_saveexec_b64 s[48:49], s[38:39]
	s_cbranch_execz .LBB12_6320
	s_branch .LBB12_6319
.LBB12_6326:                            ;   in Loop: Header=BB12_6316 Depth=3
	s_or_b64 exec, exec, s[88:89]
	s_xor_b64 s[26:27], s[90:91], -1
	s_and_saveexec_b64 s[88:89], s[26:27]
	s_xor_b64 s[26:27], exec, s[88:89]
	s_cbranch_execz .LBB12_6328
; %bb.6327:                             ;   in Loop: Header=BB12_6316 Depth=3
	ds_write_b32 v0, v2
	s_trap 2
	buffer_load_dword v2, off, s[0:3], s33 offset:156 ; 4-byte Folded Reload
	s_waitcnt vmcnt(0)
	v_or_b32_e32 v2, 64, v2
	buffer_store_dword v2, off, s[0:3], s33 offset:156 ; 4-byte Folded Spill
.LBB12_6328:                            ;   in Loop: Header=BB12_6316 Depth=3
	s_or_b64 exec, exec, s[26:27]
.LBB12_6329:                            ;   in Loop: Header=BB12_6316 Depth=3
	s_or_b64 exec, exec, s[78:79]
	;;#ASMSTART
	s_wakeup
	;;#ASMEND
	buffer_load_dword v2, off, s[0:3], s33 offset:156 ; 4-byte Folded Reload
	s_waitcnt vmcnt(0)
	v_and_b32_e32 v2, 0x108, v2
	v_cmp_ne_u32_e32 vcc, s44, v2
                                        ; implicit-def: $vgpr2_vgpr3
	s_and_saveexec_b64 s[26:27], vcc
	s_xor_b64 s[26:27], exec, s[26:27]
	s_cbranch_execz .LBB12_6331
; %bb.6330:                             ;   in Loop: Header=BB12_6316 Depth=3
	buffer_load_dword v2, off, s[0:3], s33 offset:256 ; 4-byte Folded Reload
	buffer_load_dword v3, off, s[0:3], s33 offset:260 ; 4-byte Folded Reload
	;; [unrolled: 1-line block ×4, first 2 shown]
                                        ; implicit-def: $vgpr4_vgpr5
                                        ; kill: killed $vgpr4_vgpr5
	s_waitcnt vmcnt(0)
	v_and_b32_e32 v2, 7, v2
.LBB12_6331:                            ;   in Loop: Header=BB12_6316 Depth=3
	s_andn2_saveexec_b64 s[26:27], s[26:27]
	s_cbranch_execz .LBB12_6333
; %bb.6332:                             ;   in Loop: Header=BB12_6316 Depth=3
	buffer_load_dword v2, off, s[0:3], s33 offset:256 ; 4-byte Folded Reload
	buffer_load_dword v3, off, s[0:3], s33 offset:260 ; 4-byte Folded Reload
	buffer_load_dword v3, off, s[0:3], s33 offset:532 ; 4-byte Folded Reload
	buffer_load_dword v4, off, s[0:3], s33 offset:536 ; 4-byte Folded Reload
	buffer_load_dword v5, off, s[0:3], s33 offset:540 ; 4-byte Folded Reload
	buffer_load_dword v6, off, s[0:3], s33 offset:544 ; 4-byte Folded Reload
	buffer_load_dword v9, off, s[0:3], s33 offset:128 ; 4-byte Folded Reload
	buffer_load_dword v10, off, s[0:3], s33 offset:132 ; 4-byte Folded Reload
	v_ashrrev_i32_e32 v42, 31, v41
	s_waitcnt vmcnt(0)
	v_lshlrev_b64 v[6:7], 1, v[41:42]
	v_and_b32_e32 v2, 7, v2
	v_mad_u64_u32 v[4:5], s[78:79], v2, 24, v[3:4]
	v_mov_b32_e32 v3, v9
	flat_store_dwordx2 v[4:5], v[6:7] offset:8
.LBB12_6333:                            ;   in Loop: Header=BB12_6316 Depth=3
	s_or_b64 exec, exec, s[26:27]
	buffer_load_dword v4, off, s[0:3], s33 offset:156 ; 4-byte Folded Reload
	s_mov_b64 s[26:27], -1
	s_waitcnt vmcnt(0)
	v_and_b32_e32 v4, 0x100, v4
	v_cmp_ne_u32_e32 vcc, 0, v4
                                        ; implicit-def: $vgpr4_vgpr5
	s_and_saveexec_b64 s[78:79], vcc
	s_cbranch_execz .LBB12_6337
; %bb.6334:                             ;   in Loop: Header=BB12_6316 Depth=3
	buffer_load_dword v4, off, s[0:3], s33 offset:532 ; 4-byte Folded Reload
	buffer_load_dword v5, off, s[0:3], s33 offset:536 ; 4-byte Folded Reload
	;; [unrolled: 1-line block ×4, first 2 shown]
	s_waitcnt vmcnt(0)
	v_mad_u64_u32 v[6:7], s[26:27], v2, 24, v[4:5]
	v_mov_b32_e32 v4, v7
	v_mad_u64_u32 v[4:5], s[26:27], v3, 24, v[4:5]
	v_mov_b32_e32 v7, v4
	flat_load_dword v4, v[6:7]
	s_waitcnt vmcnt(0) lgkmcnt(0)
	v_cmp_ne_u32_e32 vcc, 1, v4
	v_cmp_eq_u32_e64 s[26:27], 1, v4
                                        ; implicit-def: $vgpr4_vgpr5
	s_and_saveexec_b64 s[88:89], s[26:27]
	s_cbranch_execz .LBB12_6336
; %bb.6335:                             ;   in Loop: Header=BB12_6316 Depth=3
	flat_load_dword v4, v[6:7] offset:4 glc
	s_waitcnt vmcnt(0) lgkmcnt(0)
	v_ashrrev_i32_e32 v5, 31, v4
	v_lshrrev_b64 v[4:5], 1, v[4:5]
.LBB12_6336:                            ;   in Loop: Header=BB12_6316 Depth=3
	s_or_b64 exec, exec, s[88:89]
	s_orn2_b64 s[26:27], vcc, exec
.LBB12_6337:                            ;   in Loop: Header=BB12_6316 Depth=3
	s_or_b64 exec, exec, s[78:79]
	s_and_saveexec_b64 s[78:79], s[26:27]
	s_cbranch_execz .LBB12_6339
; %bb.6338:                             ;   in Loop: Header=BB12_6316 Depth=3
	buffer_load_dword v4, off, s[0:3], s33 offset:564 ; 4-byte Folded Reload
	buffer_load_dword v5, off, s[0:3], s33 offset:576 ; 4-byte Folded Reload
	s_waitcnt vmcnt(0)
	v_mul_lo_u32 v3, v3, v4
	v_mul_lo_u32 v6, v2, v5
	v_mad_u64_u32 v[4:5], s[26:27], v2, v4, 0
	v_add3_u32 v5, v5, v6, v3
.LBB12_6339:                            ;   in Loop: Header=BB12_6316 Depth=3
	s_or_b64 exec, exec, s[78:79]
	v_cmp_eq_u32_e32 vcc, 0, v8
	v_mov_b32_e32 v2, 0xd0
	v_mov_b32_e32 v3, 0x88
	v_cndmask_b32_e32 v6, v2, v3, vcc
	v_lshlrev_b64 v[2:3], 1, v[4:5]
	buffer_load_dword v4, off, s[0:3], s33 offset:524 ; 4-byte Folded Reload
	buffer_load_dword v5, off, s[0:3], s33 offset:528 ; 4-byte Folded Reload
	s_waitcnt vmcnt(0)
	v_add_co_u32_e32 v2, vcc, v4, v2
	v_addc_co_u32_e32 v3, vcc, v5, v3, vcc
	v_add_u32_e32 v4, v0, v6
	ds_write_b64 v4, v[2:3] offset:584
	buffer_load_dword v2, off, s[0:3], s33 offset:156 ; 4-byte Folded Reload
	s_waitcnt vmcnt(0)
	v_and_b32_e32 v2, 0x2000, v2
	v_cmp_ne_u32_e32 vcc, 0, v2
	s_and_saveexec_b64 s[26:27], vcc
	s_cbranch_execz .LBB12_6341
; %bb.6340:                             ;   in Loop: Header=BB12_6316 Depth=3
	ds_read_b64 v[2:3], v0 offset:872
	s_waitcnt lgkmcnt(0)
	v_add_co_u32_e32 v2, vcc, 1, v2
	v_addc_co_u32_e32 v3, vcc, 0, v3, vcc
	ds_write_b64 v0, v[2:3] offset:872
.LBB12_6341:                            ;   in Loop: Header=BB12_6316 Depth=3
	s_or_b64 exec, exec, s[26:27]
	buffer_store_dword v0, off, s[0:3], s33 offset:256 ; 4-byte Folded Spill
	s_nop 0
	buffer_store_dword v1, off, s[0:3], s33 offset:260 ; 4-byte Folded Spill
.LBB12_6342:                            ;   in Loop: Header=BB12_6316 Depth=3
	s_or_b64 exec, exec, s[76:77]
	s_xor_b64 s[26:27], s[42:43], -1
	s_and_b64 s[26:27], exec, s[26:27]
	s_or_b64 s[40:41], s[26:27], s[40:41]
	s_and_saveexec_b64 s[26:27], s[10:11]
	s_cbranch_execz .LBB12_6361
; %bb.6343:                             ;   in Loop: Header=BB12_6316 Depth=3
	s_and_saveexec_b64 s[42:43], s[56:57]
	s_xor_b64 s[42:43], exec, s[42:43]
	s_cbranch_execz .LBB12_6358
; %bb.6344:                             ;   in Loop: Header=BB12_6316 Depth=3
	s_and_saveexec_b64 s[76:77], s[16:17]
	s_cbranch_execz .LBB12_6357
; %bb.6345:                             ;   in Loop: Header=BB12_6316 Depth=3
	s_mov_b64 s[88:89], exec
	v_mbcnt_lo_u32_b32 v0, s88, 0
	v_mbcnt_hi_u32_b32 v0, s89, v0
	v_cmp_eq_u32_e32 vcc, 0, v0
	s_waitcnt vmcnt(0) lgkmcnt(0)
	buffer_wbinvl1_vol
	s_and_saveexec_b64 s[78:79], vcc
	s_cbranch_execz .LBB12_6347
; %bb.6346:                             ;   in Loop: Header=BB12_6316 Depth=3
	buffer_load_dword v1, off, s[0:3], s33 offset:128 ; 4-byte Folded Reload
	buffer_load_dword v2, off, s[0:3], s33 offset:132 ; 4-byte Folded Reload
	s_bcnt1_i32_b64 s9, s[88:89]
	v_mov_b32_e32 v0, s9
	s_waitcnt vmcnt(1)
	ds_add_u64 v0, v[0:1]
	s_trap 2
.LBB12_6347:                            ;   in Loop: Header=BB12_6316 Depth=3
	s_or_b64 exec, exec, s[78:79]
	s_trap 2
	ds_read_b64 v[0:1], v0
	s_waitcnt lgkmcnt(0)
	buffer_load_dword v2, off, s[0:3], s33 offset:152 ; 4-byte Folded Reload
	buffer_load_dword v3, off, s[0:3], s33 offset:160 ; 4-byte Folded Reload
	;; [unrolled: 1-line block ×3, first 2 shown]
	s_waitcnt vmcnt(1)
	v_add_co_u32_e32 v3, vcc, v3, v2
	s_waitcnt vmcnt(0)
	v_addc_co_u32_e32 v4, vcc, 0, v4, vcc
	buffer_store_dword v3, off, s[0:3], s33 offset:160 ; 4-byte Folded Spill
	s_nop 0
	buffer_store_dword v4, off, s[0:3], s33 offset:164 ; 4-byte Folded Spill
	v_cmp_lt_u64_e32 vcc, v[0:1], v[3:4]
	s_and_saveexec_b64 s[78:79], vcc
	s_cbranch_execz .LBB12_6356
; %bb.6348:                             ;   in Loop: Header=BB12_6316 Depth=3
	s_mov_b32 s9, 0
	s_mov_b64 s[88:89], 0
                                        ; implicit-def: $sgpr90_sgpr91
                                        ; implicit-def: $sgpr92_sgpr93
	s_branch .LBB12_6350
.LBB12_6349:                            ;   in Loop: Header=BB12_6350 Depth=4
	s_or_b64 exec, exec, s[30:31]
	s_and_b64 s[94:95], exec, vcc
	s_or_b64 s[88:89], s[94:95], s[88:89]
	s_andn2_b64 s[90:91], s[90:91], exec
	s_and_b64 s[94:95], s[92:93], exec
	s_or_b64 s[90:91], s[90:91], s[94:95]
	s_andn2_b64 exec, exec, s[88:89]
	s_cbranch_execz .LBB12_6354
.LBB12_6350:                            ;   Parent Loop BB12_47 Depth=1
                                        ;     Parent Loop BB12_6071 Depth=2
                                        ;       Parent Loop BB12_6316 Depth=3
                                        ; =>      This Inner Loop Header: Depth=4
	s_add_i32 s9, s9, 1
	s_cmpk_lg_i32 s9, 0x2710
	s_cselect_b64 s[94:95], -1, 0
	s_and_b64 vcc, exec, s[94:95]
	s_cbranch_vccz .LBB12_6352
; %bb.6351:                             ;   in Loop: Header=BB12_6350 Depth=4
	s_mov_b64 vcc, -1
	s_or_b64 s[92:93], s[92:93], exec
	s_and_saveexec_b64 s[30:31], s[94:95]
	s_cbranch_execz .LBB12_6349
	s_branch .LBB12_6353
.LBB12_6352:                            ;   in Loop: Header=BB12_6350 Depth=4
	s_trap 2
	ds_read_b64 v[0:1], v0
	s_andn2_b64 s[94:95], s[94:95], exec
	s_mov_b32 s9, 0
	s_waitcnt vmcnt(0) lgkmcnt(0)
	flat_load_dword v0, v[0:1] glc
	s_waitcnt vmcnt(0) lgkmcnt(0)
	buffer_wbinvl1_vol
	v_cmp_eq_u32_e32 vcc, 0, v0
	s_and_b64 vcc, vcc, exec
	s_or_b64 s[94:95], s[94:95], vcc
	s_mov_b64 vcc, -1
	s_or_b64 s[92:93], s[92:93], exec
	s_and_saveexec_b64 s[30:31], s[94:95]
	s_cbranch_execz .LBB12_6349
.LBB12_6353:                            ;   in Loop: Header=BB12_6350 Depth=4
	s_sleep 1
	s_trap 2
	ds_read_b64 v[0:1], v0
	s_waitcnt lgkmcnt(0)
	buffer_load_dword v2, off, s[0:3], s33 offset:160 ; 4-byte Folded Reload
	buffer_load_dword v3, off, s[0:3], s33 offset:164 ; 4-byte Folded Reload
	s_andn2_b64 s[92:93], s[92:93], exec
	s_waitcnt vmcnt(0)
	v_cmp_ge_u64_e32 vcc, v[0:1], v[2:3]
	s_orn2_b64 vcc, vcc, exec
	s_branch .LBB12_6349
.LBB12_6354:                            ;   in Loop: Header=BB12_6316 Depth=3
	s_or_b64 exec, exec, s[88:89]
	s_and_saveexec_b64 s[88:89], s[90:91]
	s_xor_b64 s[88:89], exec, s[88:89]
	s_cbranch_execz .LBB12_6356
; %bb.6355:                             ;   in Loop: Header=BB12_6316 Depth=3
	v_mov_b32_e32 v0, 1
	ds_write_b32 v0, v0
	s_trap 2
.LBB12_6356:                            ;   in Loop: Header=BB12_6316 Depth=3
	s_or_b64 exec, exec, s[78:79]
	;;#ASMSTART
	s_wakeup
	;;#ASMEND
.LBB12_6357:                            ;   in Loop: Header=BB12_6316 Depth=3
	s_or_b64 exec, exec, s[76:77]
.LBB12_6358:                            ;   in Loop: Header=BB12_6316 Depth=3
	s_andn2_saveexec_b64 s[42:43], s[42:43]
	s_cbranch_execz .LBB12_6360
; %bb.6359:                             ;   in Loop: Header=BB12_6316 Depth=3
	s_waitcnt vmcnt(0) lgkmcnt(0)
	buffer_wbinvl1_vol
	s_barrier
.LBB12_6360:                            ;   in Loop: Header=BB12_6316 Depth=3
	s_or_b64 exec, exec, s[42:43]
.LBB12_6361:                            ;   in Loop: Header=BB12_6316 Depth=3
	s_or_b64 exec, exec, s[26:27]
                                        ; implicit-def: $vgpr0
	s_and_saveexec_b64 s[26:27], s[24:25]
	s_xor_b64 s[26:27], exec, s[26:27]
	s_cbranch_execz .LBB12_6365
; %bb.6362:                             ;   in Loop: Header=BB12_6316 Depth=3
	s_trap 2
	buffer_load_dword v1, off, s[0:3], s33 offset:156 ; 4-byte Folded Reload
	ds_read_b32 v0, v0
	v_cmp_lt_i32_e32 vcc, 0, v41
	s_waitcnt lgkmcnt(0)
	v_readfirstlane_b32 s9, v0
	s_cmp_eq_u32 s9, 0
	s_cselect_b64 s[42:43], -1, 0
	s_and_b64 s[42:43], vcc, s[42:43]
	s_waitcnt vmcnt(0)
	v_and_b32_e32 v0, 16, v1
	v_and_b32_e32 v1, 16, v1
	v_cmp_ne_u32_e32 vcc, 0, v1
	s_and_b64 s[76:77], vcc, s[42:43]
	s_and_saveexec_b64 s[42:43], s[76:77]
	s_cbranch_execz .LBB12_6364
; %bb.6363:                             ;   in Loop: Header=BB12_6316 Depth=3
	v_mov_b32_e32 v0, 1
	buffer_wbinvl1_vol
.LBB12_6364:                            ;   in Loop: Header=BB12_6316 Depth=3
	s_or_b64 exec, exec, s[42:43]
	s_andn2_saveexec_b64 s[26:27], s[26:27]
	s_cbranch_execz .LBB12_6384
	s_branch .LBB12_6366
.LBB12_6365:                            ;   in Loop: Header=BB12_6316 Depth=3
	s_andn2_saveexec_b64 s[26:27], s[26:27]
	s_cbranch_execz .LBB12_6384
.LBB12_6366:                            ;   in Loop: Header=BB12_6316 Depth=3
	s_and_saveexec_b64 s[42:43], s[56:57]
	s_xor_b64 s[42:43], exec, s[42:43]
	s_cbranch_execz .LBB12_6381
; %bb.6367:                             ;   in Loop: Header=BB12_6316 Depth=3
	s_and_saveexec_b64 s[76:77], s[16:17]
	s_cbranch_execz .LBB12_6380
; %bb.6368:                             ;   in Loop: Header=BB12_6316 Depth=3
	s_mov_b64 s[88:89], exec
	v_mbcnt_lo_u32_b32 v0, s88, 0
	v_mbcnt_hi_u32_b32 v0, s89, v0
	v_cmp_eq_u32_e32 vcc, 0, v0
	;;#ASMSTART
	s_waitcnt lgkmcnt(0) vmcnt(0)
	;;#ASMEND
	s_and_saveexec_b64 s[78:79], vcc
	s_cbranch_execz .LBB12_6370
; %bb.6369:                             ;   in Loop: Header=BB12_6316 Depth=3
	buffer_load_dword v1, off, s[0:3], s33 offset:128 ; 4-byte Folded Reload
	buffer_load_dword v2, off, s[0:3], s33 offset:132 ; 4-byte Folded Reload
	s_bcnt1_i32_b64 s9, s[88:89]
	v_mov_b32_e32 v0, s9
	s_waitcnt vmcnt(0) lgkmcnt(0)
	ds_add_u64 v0, v[0:1]
	s_trap 2
.LBB12_6370:                            ;   in Loop: Header=BB12_6316 Depth=3
	s_or_b64 exec, exec, s[78:79]
	s_trap 2
	ds_read_b64 v[0:1], v0
	s_waitcnt lgkmcnt(0)
	buffer_load_dword v2, off, s[0:3], s33 offset:152 ; 4-byte Folded Reload
	buffer_load_dword v3, off, s[0:3], s33 offset:160 ; 4-byte Folded Reload
	;; [unrolled: 1-line block ×3, first 2 shown]
	s_waitcnt vmcnt(1)
	v_add_co_u32_e32 v3, vcc, v3, v2
	s_waitcnt vmcnt(0)
	v_addc_co_u32_e32 v4, vcc, 0, v4, vcc
	buffer_store_dword v3, off, s[0:3], s33 offset:160 ; 4-byte Folded Spill
	s_nop 0
	buffer_store_dword v4, off, s[0:3], s33 offset:164 ; 4-byte Folded Spill
	v_cmp_lt_u64_e32 vcc, v[0:1], v[3:4]
	s_and_saveexec_b64 s[78:79], vcc
	s_cbranch_execz .LBB12_6379
; %bb.6371:                             ;   in Loop: Header=BB12_6316 Depth=3
	s_mov_b32 s9, 0
	s_mov_b64 s[88:89], 0
                                        ; implicit-def: $sgpr90_sgpr91
                                        ; implicit-def: $sgpr92_sgpr93
	s_branch .LBB12_6373
.LBB12_6372:                            ;   in Loop: Header=BB12_6373 Depth=4
	s_or_b64 exec, exec, s[30:31]
	s_and_b64 s[94:95], exec, vcc
	s_or_b64 s[88:89], s[94:95], s[88:89]
	s_andn2_b64 s[90:91], s[90:91], exec
	s_and_b64 s[94:95], s[92:93], exec
	s_or_b64 s[90:91], s[90:91], s[94:95]
	s_andn2_b64 exec, exec, s[88:89]
	s_cbranch_execz .LBB12_6377
.LBB12_6373:                            ;   Parent Loop BB12_47 Depth=1
                                        ;     Parent Loop BB12_6071 Depth=2
                                        ;       Parent Loop BB12_6316 Depth=3
                                        ; =>      This Inner Loop Header: Depth=4
	s_add_i32 s9, s9, 1
	s_cmpk_lg_i32 s9, 0x2710
	s_cselect_b64 s[94:95], -1, 0
	s_and_b64 vcc, exec, s[94:95]
	s_cbranch_vccz .LBB12_6375
; %bb.6374:                             ;   in Loop: Header=BB12_6373 Depth=4
	s_mov_b64 vcc, -1
	s_or_b64 s[92:93], s[92:93], exec
	s_and_saveexec_b64 s[30:31], s[94:95]
	s_cbranch_execz .LBB12_6372
	s_branch .LBB12_6376
.LBB12_6375:                            ;   in Loop: Header=BB12_6373 Depth=4
	s_trap 2
	ds_read_b64 v[0:1], v0
	s_andn2_b64 s[94:95], s[94:95], exec
	s_mov_b32 s9, 0
	s_waitcnt vmcnt(0) lgkmcnt(0)
	flat_load_dword v0, v[0:1] glc
	s_waitcnt vmcnt(0) lgkmcnt(0)
	buffer_wbinvl1_vol
	v_cmp_eq_u32_e32 vcc, 0, v0
	s_and_b64 vcc, vcc, exec
	s_or_b64 s[94:95], s[94:95], vcc
	s_mov_b64 vcc, -1
	s_or_b64 s[92:93], s[92:93], exec
	s_and_saveexec_b64 s[30:31], s[94:95]
	s_cbranch_execz .LBB12_6372
.LBB12_6376:                            ;   in Loop: Header=BB12_6373 Depth=4
	s_sleep 1
	s_trap 2
	ds_read_b64 v[0:1], v0
	s_waitcnt lgkmcnt(0)
	buffer_load_dword v2, off, s[0:3], s33 offset:160 ; 4-byte Folded Reload
	buffer_load_dword v3, off, s[0:3], s33 offset:164 ; 4-byte Folded Reload
	s_andn2_b64 s[92:93], s[92:93], exec
	s_waitcnt vmcnt(0)
	v_cmp_ge_u64_e32 vcc, v[0:1], v[2:3]
	s_orn2_b64 vcc, vcc, exec
	s_branch .LBB12_6372
.LBB12_6377:                            ;   in Loop: Header=BB12_6316 Depth=3
	s_or_b64 exec, exec, s[88:89]
	s_and_saveexec_b64 s[88:89], s[90:91]
	s_xor_b64 s[88:89], exec, s[88:89]
	s_cbranch_execz .LBB12_6379
; %bb.6378:                             ;   in Loop: Header=BB12_6316 Depth=3
	v_mov_b32_e32 v0, 1
	ds_write_b32 v0, v0
	s_trap 2
.LBB12_6379:                            ;   in Loop: Header=BB12_6316 Depth=3
	s_or_b64 exec, exec, s[78:79]
	;;#ASMSTART
	s_wakeup
	;;#ASMEND
.LBB12_6380:                            ;   in Loop: Header=BB12_6316 Depth=3
	s_or_b64 exec, exec, s[76:77]
.LBB12_6381:                            ;   in Loop: Header=BB12_6316 Depth=3
	s_andn2_saveexec_b64 s[42:43], s[42:43]
	s_cbranch_execz .LBB12_6383
; %bb.6382:                             ;   in Loop: Header=BB12_6316 Depth=3
	;;#ASMSTART
	s_waitcnt lgkmcnt(0) vmcnt(0)
	;;#ASMEND
	s_waitcnt vmcnt(0) lgkmcnt(0)
	s_barrier
.LBB12_6383:                            ;   in Loop: Header=BB12_6316 Depth=3
	s_or_b64 exec, exec, s[42:43]
	buffer_load_dword v0, off, s[0:3], s33 offset:156 ; 4-byte Folded Reload
	s_waitcnt vmcnt(0)
	v_and_b32_e32 v0, 16, v0
.LBB12_6384:                            ;   in Loop: Header=BB12_6316 Depth=3
	s_or_b64 exec, exec, s[26:27]
	v_cmp_ne_u32_e32 vcc, 0, v0
	s_xor_b64 s[26:27], s[12:13], -1
	s_and_b64 s[42:43], vcc, s[26:27]
	s_and_saveexec_b64 s[26:27], s[42:43]
	s_cbranch_execz .LBB12_6386
; %bb.6385:                             ;   in Loop: Header=BB12_6316 Depth=3
	buffer_load_dword v0, off, s[0:3], s33 offset:548 ; 4-byte Folded Reload
	buffer_load_dword v1, off, s[0:3], s33 offset:552 ; 4-byte Folded Reload
	v_mov_b32_e32 v2, 1
	s_waitcnt vmcnt(0)
	flat_store_dword v[0:1], v2
.LBB12_6386:                            ;   in Loop: Header=BB12_6316 Depth=3
	s_or_b64 exec, exec, s[26:27]
	buffer_load_dword v0, off, s[0:3], s33 offset:156 ; 4-byte Folded Reload
	s_waitcnt vmcnt(0)
	v_and_b32_e32 v0, 48, v0
	v_cmp_ne_u32_e32 vcc, 0, v0
	s_and_saveexec_b64 s[26:27], vcc
	s_cbranch_execz .LBB12_6315
; %bb.6387:                             ;   in Loop: Header=BB12_6316 Depth=3
	buffer_load_dword v2, off, s[0:3], s33 offset:256 ; 4-byte Folded Reload
	buffer_load_dword v3, off, s[0:3], s33 offset:260 ; 4-byte Folded Reload
	buffer_load_dword v0, off, s[0:3], s33 offset:144 ; 4-byte Folded Reload
	buffer_load_dword v1, off, s[0:3], s33 offset:148 ; 4-byte Folded Reload
	s_waitcnt vmcnt(0)
	v_add_co_u32_e32 v2, vcc, 2, v2
	v_addc_co_u32_e32 v3, vcc, 0, v3, vcc
	buffer_store_dword v2, off, s[0:3], s33 offset:256 ; 4-byte Folded Spill
	s_nop 0
	buffer_store_dword v3, off, s[0:3], s33 offset:260 ; 4-byte Folded Spill
	flat_store_dwordx2 v[0:1], v[2:3]
	s_branch .LBB12_6315
.LBB12_6388:                            ;   in Loop: Header=BB12_6071 Depth=2
	s_or_b64 exec, exec, s[76:77]
	s_or_b64 exec, exec, s[42:43]
	v_cmp_gt_i32_e32 vcc, 2, v2
	s_and_saveexec_b64 s[28:29], vcc
	s_cbranch_execnz .LBB12_6314
.LBB12_6389:                            ;   in Loop: Header=BB12_6071 Depth=2
	s_or_b64 exec, exec, s[28:29]
	s_add_i32 s9, s45, 1
	s_cmp_eq_u32 s45, s96
	s_cbranch_scc0 .LBB12_6391
	s_branch .LBB12_6392
.LBB12_6390:                            ;   in Loop: Header=BB12_6071 Depth=2
	s_or_b64 exec, exec, s[40:41]
	s_or_b64 exec, exec, s[28:29]
	s_add_i32 s9, s45, 1
	s_cmp_eq_u32 s45, s96
	s_cbranch_scc1 .LBB12_6392
.LBB12_6391:                            ;   in Loop: Header=BB12_6071 Depth=2
	s_mov_b32 s45, s9
	s_branch .LBB12_6071
.LBB12_6392:                            ;   in Loop: Header=BB12_47 Depth=1
	buffer_load_dword v4, off, s[0:3], s33 offset:680 ; 4-byte Folded Reload
	buffer_load_dword v5, off, s[0:3], s33 offset:684 ; 4-byte Folded Reload
	v_mov_b32_e32 v53, 0
	s_waitcnt vmcnt(0)
	v_mul_lo_u32 v3, v4, s87
	v_mul_lo_u32 v2, v5, s86
	v_mad_u64_u32 v[0:1], s[26:27], v4, s86, 0
	v_add3_u32 v1, v1, v3, v2
	buffer_load_dword v2, off, s[0:3], s33 offset:672 ; 4-byte Folded Reload
	buffer_load_dword v3, off, s[0:3], s33 offset:676 ; 4-byte Folded Reload
	s_waitcnt vmcnt(0)
	v_sub_co_u32_e32 v2, vcc, v2, v0
	v_subb_co_u32_e32 v3, vcc, v3, v1, vcc
	v_cmp_lt_i64_e32 vcc, v[4:5], v[2:3]
	v_cndmask_b32_e32 v3, v2, v4, vcc
	v_max_i32_e32 v52, 0, v3
	v_add_u32_e32 v4, 31, v52
	v_lshrrev_b32_e32 v4, 1, v4
	v_and_b32_e32 v4, 0x3ffffff0, v4
	v_cmp_lt_i32_e32 vcc, 0, v3
	v_mov_b32_e32 v2, 0
	v_max_i32_e32 v61, s70, v4
	s_and_b64 s[26:27], s[72:73], vcc
	s_and_saveexec_b64 s[28:29], s[26:27]
	s_cbranch_execz .LBB12_6561
; %bb.6393:                             ;   in Loop: Header=BB12_47 Depth=1
	buffer_load_dword v2, off, s[0:3], s33 offset:584 ; 4-byte Folded Reload
	buffer_load_dword v3, off, s[0:3], s33 offset:588 ; 4-byte Folded Reload
	s_mov_b32 s45, 1
	s_mov_b64 s[42:43], -1
	v_mov_b32_e32 v53, 0
	s_mov_b64 s[40:41], 0
	s_waitcnt vmcnt(0)
	v_add_co_u32_e32 v0, vcc, v0, v2
	v_addc_co_u32_e32 v1, vcc, v1, v3, vcc
	v_lshlrev_b64 v[40:41], 1, v[0:1]
	buffer_store_dword v52, off, s[0:3], s33 offset:324 ; 4-byte Folded Spill
	buffer_store_dword v40, off, s[0:3], s33 offset:332 ; 4-byte Folded Spill
	s_nop 0
	buffer_store_dword v41, off, s[0:3], s33 offset:336 ; 4-byte Folded Spill
	s_branch .LBB12_6395
.LBB12_6394:                            ;   in Loop: Header=BB12_6395 Depth=2
	s_or_b64 exec, exec, s[26:27]
	v_add_u32_e32 v53, v61, v53
	v_cmp_ge_i32_e32 vcc, v53, v52
	s_xor_b64 s[26:27], s[42:43], -1
	s_or_b64 s[26:27], s[26:27], vcc
	s_and_b64 s[26:27], exec, s[26:27]
	s_or_b64 s[40:41], s[26:27], s[40:41]
	s_mov_b64 s[42:43], 0
	v_mov_b32_e32 v2, s45
	s_mov_b32 s45, 2
	s_andn2_b64 exec, exec, s[40:41]
	s_cbranch_execz .LBB12_6560
.LBB12_6395:                            ;   Parent Loop BB12_47 Depth=1
                                        ; =>  This Loop Header: Depth=2
                                        ;       Child Loop BB12_6403 Depth 3
                                        ;       Child Loop BB12_6427 Depth 3
	;; [unrolled: 1-line block ×9, first 2 shown]
	s_and_saveexec_b64 s[26:27], s[4:5]
	s_cbranch_execz .LBB12_6397
; %bb.6396:                             ;   in Loop: Header=BB12_6395 Depth=2
	s_trap 2
	ds_read_b128 v[0:3], v0
	v_ashrrev_i32_e32 v54, 31, v53
	s_waitcnt lgkmcnt(0)
	v_add_co_u32_e32 v4, vcc, v0, v40
	v_addc_co_u32_e32 v5, vcc, v1, v41, vcc
	v_lshlrev_b64 v[0:1], 1, v[53:54]
	v_add_co_u32_e32 v4, vcc, v4, v0
	v_addc_co_u32_e32 v5, vcc, v5, v1, vcc
	ds_write_b64 v0, v[4:5]
	v_add_co_u32_e32 v4, vcc, v2, v40
	v_addc_co_u32_e32 v5, vcc, v3, v41, vcc
	v_add_co_u32_e32 v0, vcc, v4, v0
	v_addc_co_u32_e32 v1, vcc, v5, v1, vcc
	v_cmp_ne_u64_e32 vcc, 0, v[2:3]
	v_cndmask_b32_e32 v1, 0, v1, vcc
	v_cndmask_b32_e32 v0, 0, v0, vcc
	ds_write_b64 v0, v[0:1]
.LBB12_6397:                            ;   in Loop: Header=BB12_6395 Depth=2
	s_or_b64 exec, exec, s[26:27]
	buffer_load_dword v0, off, s[0:3], s33 offset:156 ; 4-byte Folded Reload
	s_waitcnt vmcnt(0)
	v_and_b32_e32 v0, 4, v0
	v_cmp_ne_u32_e32 vcc, 0, v0
	s_and_saveexec_b64 s[76:77], vcc
	s_cbranch_execz .LBB12_6419
; %bb.6398:                             ;   in Loop: Header=BB12_6395 Depth=2
	buffer_load_dword v1, off, s[0:3], s33 offset:256 ; 4-byte Folded Reload
	buffer_load_dword v2, off, s[0:3], s33 offset:260 ; 4-byte Folded Reload
	;; [unrolled: 1-line block ×4, first 2 shown]
	s_waitcnt vmcnt(0)
	v_add_co_u32_e32 v1, vcc, 2, v1
	v_addc_co_u32_e32 v2, vcc, 0, v2, vcc
	v_cmp_lt_u64_e32 vcc, v[3:4], v[1:2]
	s_and_saveexec_b64 s[78:79], vcc
	s_cbranch_execz .LBB12_6410
; %bb.6399:                             ;   in Loop: Header=BB12_6395 Depth=2
	buffer_load_dword v0, off, s[0:3], s33 offset:156 ; 4-byte Folded Reload
	s_mov_b32 s9, 0
	s_mov_b64 s[88:89], 0
                                        ; implicit-def: $sgpr90_sgpr91
                                        ; implicit-def: $sgpr92_sgpr93
                                        ; implicit-def: $sgpr94_sgpr95
	s_waitcnt vmcnt(0)
	v_and_b32_e32 v0, 64, v0
	v_cmp_eq_u32_e32 vcc, 0, v0
	s_branch .LBB12_6403
.LBB12_6400:                            ;   in Loop: Header=BB12_6403 Depth=3
	buffer_load_dword v3, off, s[0:3], s33 offset:136 ; 4-byte Folded Reload
	buffer_load_dword v4, off, s[0:3], s33 offset:140 ; 4-byte Folded Reload
	s_or_b64 s[36:37], s[36:37], exec
	s_waitcnt vmcnt(0)
	v_cmp_ge_u64_e64 s[26:27], v[3:4], v[1:2]
	s_orn2_b64 s[34:35], s[26:27], exec
.LBB12_6401:                            ;   in Loop: Header=BB12_6403 Depth=3
	s_or_b64 exec, exec, s[48:49]
	s_andn2_b64 s[26:27], s[94:95], exec
	s_and_b64 s[94:95], s[36:37], exec
	s_or_b64 s[94:95], s[26:27], s[94:95]
	s_andn2_b64 s[26:27], s[92:93], exec
	s_and_b64 s[92:93], s[34:35], exec
	s_or_b64 s[92:93], s[26:27], s[92:93]
.LBB12_6402:                            ;   in Loop: Header=BB12_6403 Depth=3
	s_or_b64 exec, exec, s[30:31]
	s_and_b64 s[26:27], exec, s[92:93]
	s_or_b64 s[88:89], s[26:27], s[88:89]
	s_andn2_b64 s[26:27], s[90:91], exec
	s_and_b64 s[90:91], s[94:95], exec
	s_or_b64 s[90:91], s[26:27], s[90:91]
	s_andn2_b64 exec, exec, s[88:89]
	s_cbranch_execz .LBB12_6407
.LBB12_6403:                            ;   Parent Loop BB12_47 Depth=1
                                        ;     Parent Loop BB12_6395 Depth=2
                                        ; =>    This Inner Loop Header: Depth=3
	s_sleep 1
	buffer_load_dword v3, off, s[0:3], s33 offset:144 ; 4-byte Folded Reload
	buffer_load_dword v4, off, s[0:3], s33 offset:148 ; 4-byte Folded Reload
	s_or_b64 s[94:95], s[94:95], exec
	s_or_b64 s[92:93], s[92:93], exec
                                        ; implicit-def: $vgpr0
	s_waitcnt vmcnt(0)
	flat_load_dwordx2 v[3:4], v[3:4] glc
	s_waitcnt vmcnt(0) lgkmcnt(0)
	buffer_store_dword v3, off, s[0:3], s33 offset:136 ; 4-byte Folded Spill
	s_nop 0
	buffer_store_dword v4, off, s[0:3], s33 offset:140 ; 4-byte Folded Spill
	s_and_saveexec_b64 s[30:31], vcc
	s_cbranch_execz .LBB12_6402
; %bb.6404:                             ;   in Loop: Header=BB12_6403 Depth=3
	s_cmpk_lt_i32 s9, 0x270f
	s_cselect_b64 s[38:39], -1, 0
	s_cmpk_gt_i32 s9, 0x270e
	s_mov_b64 s[34:35], -1
	s_cbranch_scc0 .LBB12_6406
; %bb.6405:                             ;   in Loop: Header=BB12_6403 Depth=3
	s_trap 2
	ds_read_b64 v[3:4], v0
	s_andn2_b64 s[38:39], s[38:39], exec
	s_mov_b32 s9, 0
	s_mov_b64 s[36:37], 0
	s_waitcnt vmcnt(0) lgkmcnt(0)
	flat_load_dword v0, v[3:4] glc
	s_waitcnt vmcnt(0) lgkmcnt(0)
	buffer_wbinvl1_vol
	v_cmp_eq_u32_e64 s[26:27], 0, v0
	s_and_b64 s[26:27], s[26:27], exec
	s_or_b64 s[38:39], s[38:39], s[26:27]
	s_and_saveexec_b64 s[48:49], s[38:39]
	s_cbranch_execz .LBB12_6401
	s_branch .LBB12_6400
.LBB12_6406:                            ;   in Loop: Header=BB12_6403 Depth=3
	s_add_i32 s9, s9, 1
	s_mov_b64 s[36:37], -1
                                        ; implicit-def: $vgpr0
	s_and_saveexec_b64 s[48:49], s[38:39]
	s_cbranch_execz .LBB12_6401
	s_branch .LBB12_6400
.LBB12_6407:                            ;   in Loop: Header=BB12_6395 Depth=2
	s_or_b64 exec, exec, s[88:89]
	s_xor_b64 s[26:27], s[90:91], -1
	s_and_saveexec_b64 s[88:89], s[26:27]
	s_xor_b64 s[26:27], exec, s[88:89]
	s_cbranch_execz .LBB12_6409
; %bb.6408:                             ;   in Loop: Header=BB12_6395 Depth=2
	ds_write_b32 v0, v0
	s_trap 2
	buffer_load_dword v0, off, s[0:3], s33 offset:156 ; 4-byte Folded Reload
	s_waitcnt vmcnt(0)
	v_or_b32_e32 v0, 64, v0
	buffer_store_dword v0, off, s[0:3], s33 offset:156 ; 4-byte Folded Spill
.LBB12_6409:                            ;   in Loop: Header=BB12_6395 Depth=2
	s_or_b64 exec, exec, s[26:27]
.LBB12_6410:                            ;   in Loop: Header=BB12_6395 Depth=2
	s_or_b64 exec, exec, s[78:79]
	;;#ASMSTART
	s_wakeup
	;;#ASMEND
	buffer_load_dword v0, off, s[0:3], s33 offset:156 ; 4-byte Folded Reload
	buffer_load_dword v3, off, s[0:3], s33 offset:256 ; 4-byte Folded Reload
	;; [unrolled: 1-line block ×3, first 2 shown]
	s_mov_b64 s[26:27], -1
	s_waitcnt vmcnt(0)
	v_and_b32_e32 v0, 0x100, v0
	v_cmp_ne_u32_e32 vcc, 0, v0
	v_and_b32_e32 v0, 7, v3
                                        ; implicit-def: $vgpr3_vgpr4
	s_and_saveexec_b64 s[78:79], vcc
	s_cbranch_execz .LBB12_6414
; %bb.6411:                             ;   in Loop: Header=BB12_6395 Depth=2
	buffer_load_dword v3, off, s[0:3], s33 offset:532 ; 4-byte Folded Reload
	buffer_load_dword v4, off, s[0:3], s33 offset:536 ; 4-byte Folded Reload
	;; [unrolled: 1-line block ×4, first 2 shown]
	s_waitcnt vmcnt(0)
	v_mad_u64_u32 v[5:6], s[26:27], v0, 24, v[3:4]
	flat_load_dword v3, v[5:6]
	s_waitcnt vmcnt(0) lgkmcnt(0)
	v_cmp_ne_u32_e32 vcc, 1, v3
	v_cmp_eq_u32_e64 s[26:27], 1, v3
                                        ; implicit-def: $vgpr3_vgpr4
	s_and_saveexec_b64 s[88:89], s[26:27]
	s_cbranch_execz .LBB12_6413
; %bb.6412:                             ;   in Loop: Header=BB12_6395 Depth=2
	flat_load_dword v3, v[5:6] offset:4 glc
	s_waitcnt vmcnt(0) lgkmcnt(0)
	v_ashrrev_i32_e32 v4, 31, v3
	v_lshrrev_b64 v[3:4], 1, v[3:4]
.LBB12_6413:                            ;   in Loop: Header=BB12_6395 Depth=2
	s_or_b64 exec, exec, s[88:89]
	s_orn2_b64 s[26:27], vcc, exec
.LBB12_6414:                            ;   in Loop: Header=BB12_6395 Depth=2
	s_or_b64 exec, exec, s[78:79]
	s_and_saveexec_b64 s[78:79], s[26:27]
	s_cbranch_execz .LBB12_6416
; %bb.6415:                             ;   in Loop: Header=BB12_6395 Depth=2
	buffer_load_dword v3, off, s[0:3], s33 offset:564 ; 4-byte Folded Reload
	s_waitcnt vmcnt(0)
	v_mad_i64_i32 v[3:4], s[26:27], v0, v3, 0
.LBB12_6416:                            ;   in Loop: Header=BB12_6395 Depth=2
	s_or_b64 exec, exec, s[78:79]
	buffer_load_dword v5, off, s[0:3], s33 offset:524 ; 4-byte Folded Reload
	buffer_load_dword v6, off, s[0:3], s33 offset:528 ; 4-byte Folded Reload
	v_lshlrev_b64 v[3:4], 1, v[3:4]
	s_waitcnt vmcnt(0)
	v_add_co_u32_e32 v3, vcc, v5, v3
	v_addc_co_u32_e32 v4, vcc, v6, v4, vcc
	ds_write_b64 v0, v[3:4] offset:720
	buffer_load_dword v0, off, s[0:3], s33 offset:156 ; 4-byte Folded Reload
	s_waitcnt vmcnt(0)
	v_and_b32_e32 v0, 0x2000, v0
	v_cmp_ne_u32_e32 vcc, 0, v0
	s_and_saveexec_b64 s[26:27], vcc
	s_cbranch_execz .LBB12_6418
; %bb.6417:                             ;   in Loop: Header=BB12_6395 Depth=2
	ds_read_b64 v[3:4], v0 offset:872
	s_waitcnt lgkmcnt(0)
	v_add_co_u32_e32 v3, vcc, 1, v3
	v_addc_co_u32_e32 v4, vcc, 0, v4, vcc
	ds_write_b64 v0, v[3:4] offset:872
.LBB12_6418:                            ;   in Loop: Header=BB12_6395 Depth=2
	s_or_b64 exec, exec, s[26:27]
	buffer_store_dword v1, off, s[0:3], s33 offset:256 ; 4-byte Folded Spill
	s_nop 0
	buffer_store_dword v2, off, s[0:3], s33 offset:260 ; 4-byte Folded Spill
.LBB12_6419:                            ;   in Loop: Header=BB12_6395 Depth=2
	s_or_b64 exec, exec, s[76:77]
	s_and_saveexec_b64 s[26:27], s[10:11]
	s_cbranch_execz .LBB12_6438
; %bb.6420:                             ;   in Loop: Header=BB12_6395 Depth=2
	s_and_saveexec_b64 s[76:77], s[56:57]
	s_xor_b64 s[76:77], exec, s[76:77]
	s_cbranch_execz .LBB12_6435
; %bb.6421:                             ;   in Loop: Header=BB12_6395 Depth=2
	s_and_saveexec_b64 s[78:79], s[16:17]
	s_cbranch_execz .LBB12_6434
; %bb.6422:                             ;   in Loop: Header=BB12_6395 Depth=2
	s_mov_b64 s[90:91], exec
	v_mbcnt_lo_u32_b32 v0, s90, 0
	v_mbcnt_hi_u32_b32 v0, s91, v0
	v_cmp_eq_u32_e32 vcc, 0, v0
	s_waitcnt vmcnt(0) lgkmcnt(0)
	buffer_wbinvl1_vol
	s_and_saveexec_b64 s[88:89], vcc
	s_cbranch_execz .LBB12_6424
; %bb.6423:                             ;   in Loop: Header=BB12_6395 Depth=2
	buffer_load_dword v1, off, s[0:3], s33 offset:128 ; 4-byte Folded Reload
	buffer_load_dword v2, off, s[0:3], s33 offset:132 ; 4-byte Folded Reload
	s_bcnt1_i32_b64 s9, s[90:91]
	v_mov_b32_e32 v0, s9
	s_waitcnt vmcnt(1)
	ds_add_u64 v0, v[0:1]
	s_trap 2
.LBB12_6424:                            ;   in Loop: Header=BB12_6395 Depth=2
	s_or_b64 exec, exec, s[88:89]
	s_trap 2
	ds_read_b64 v[0:1], v0
	s_waitcnt lgkmcnt(0)
	buffer_load_dword v2, off, s[0:3], s33 offset:152 ; 4-byte Folded Reload
	buffer_load_dword v3, off, s[0:3], s33 offset:160 ; 4-byte Folded Reload
	;; [unrolled: 1-line block ×3, first 2 shown]
	s_waitcnt vmcnt(1)
	v_add_co_u32_e32 v3, vcc, v3, v2
	s_waitcnt vmcnt(0)
	v_addc_co_u32_e32 v4, vcc, 0, v4, vcc
	buffer_store_dword v3, off, s[0:3], s33 offset:160 ; 4-byte Folded Spill
	s_nop 0
	buffer_store_dword v4, off, s[0:3], s33 offset:164 ; 4-byte Folded Spill
	v_cmp_lt_u64_e32 vcc, v[0:1], v[3:4]
	s_and_saveexec_b64 s[88:89], vcc
	s_cbranch_execz .LBB12_6433
; %bb.6425:                             ;   in Loop: Header=BB12_6395 Depth=2
	s_mov_b32 s9, 0
	s_mov_b64 s[90:91], 0
                                        ; implicit-def: $sgpr92_sgpr93
                                        ; implicit-def: $sgpr94_sgpr95
	s_branch .LBB12_6427
.LBB12_6426:                            ;   in Loop: Header=BB12_6427 Depth=3
	s_or_b64 exec, exec, s[34:35]
	s_and_b64 vcc, exec, vcc
	s_or_b64 s[90:91], vcc, s[90:91]
	s_andn2_b64 s[92:93], s[92:93], exec
	s_and_b64 vcc, s[94:95], exec
	s_or_b64 s[92:93], s[92:93], vcc
	s_andn2_b64 exec, exec, s[90:91]
	s_cbranch_execz .LBB12_6431
.LBB12_6427:                            ;   Parent Loop BB12_47 Depth=1
                                        ;     Parent Loop BB12_6395 Depth=2
                                        ; =>    This Inner Loop Header: Depth=3
	s_add_i32 s9, s9, 1
	s_cmpk_lg_i32 s9, 0x2710
	s_cselect_b64 s[30:31], -1, 0
	s_and_b64 vcc, exec, s[30:31]
	s_cbranch_vccz .LBB12_6429
; %bb.6428:                             ;   in Loop: Header=BB12_6427 Depth=3
	s_mov_b64 vcc, -1
	s_or_b64 s[94:95], s[94:95], exec
	s_and_saveexec_b64 s[34:35], s[30:31]
	s_cbranch_execz .LBB12_6426
	s_branch .LBB12_6430
.LBB12_6429:                            ;   in Loop: Header=BB12_6427 Depth=3
	s_trap 2
	ds_read_b64 v[0:1], v0
	s_andn2_b64 s[30:31], s[30:31], exec
	s_mov_b32 s9, 0
	s_waitcnt vmcnt(0) lgkmcnt(0)
	flat_load_dword v0, v[0:1] glc
	s_waitcnt vmcnt(0) lgkmcnt(0)
	buffer_wbinvl1_vol
	v_cmp_eq_u32_e32 vcc, 0, v0
	s_and_b64 vcc, vcc, exec
	s_or_b64 s[30:31], s[30:31], vcc
	s_mov_b64 vcc, -1
	s_or_b64 s[94:95], s[94:95], exec
	s_and_saveexec_b64 s[34:35], s[30:31]
	s_cbranch_execz .LBB12_6426
.LBB12_6430:                            ;   in Loop: Header=BB12_6427 Depth=3
	s_sleep 1
	s_trap 2
	ds_read_b64 v[0:1], v0
	s_waitcnt lgkmcnt(0)
	buffer_load_dword v2, off, s[0:3], s33 offset:160 ; 4-byte Folded Reload
	buffer_load_dword v3, off, s[0:3], s33 offset:164 ; 4-byte Folded Reload
	s_andn2_b64 s[94:95], s[94:95], exec
	s_waitcnt vmcnt(0)
	v_cmp_ge_u64_e32 vcc, v[0:1], v[2:3]
	s_orn2_b64 vcc, vcc, exec
	s_branch .LBB12_6426
.LBB12_6431:                            ;   in Loop: Header=BB12_6395 Depth=2
	s_or_b64 exec, exec, s[90:91]
	s_and_saveexec_b64 s[90:91], s[92:93]
	s_xor_b64 s[90:91], exec, s[90:91]
	s_cbranch_execz .LBB12_6433
; %bb.6432:                             ;   in Loop: Header=BB12_6395 Depth=2
	v_mov_b32_e32 v0, 1
	ds_write_b32 v0, v0
	s_trap 2
.LBB12_6433:                            ;   in Loop: Header=BB12_6395 Depth=2
	s_or_b64 exec, exec, s[88:89]
	;;#ASMSTART
	s_wakeup
	;;#ASMEND
.LBB12_6434:                            ;   in Loop: Header=BB12_6395 Depth=2
	s_or_b64 exec, exec, s[78:79]
.LBB12_6435:                            ;   in Loop: Header=BB12_6395 Depth=2
	s_andn2_saveexec_b64 s[76:77], s[76:77]
	s_cbranch_execz .LBB12_6437
; %bb.6436:                             ;   in Loop: Header=BB12_6395 Depth=2
	s_waitcnt vmcnt(0) lgkmcnt(0)
	buffer_wbinvl1_vol
	s_barrier
.LBB12_6437:                            ;   in Loop: Header=BB12_6395 Depth=2
	s_or_b64 exec, exec, s[76:77]
.LBB12_6438:                            ;   in Loop: Header=BB12_6395 Depth=2
	s_or_b64 exec, exec, s[26:27]
	s_trap 2
	buffer_load_dword v1, off, s[0:3], s33 offset:156 ; 4-byte Folded Reload
	ds_read_b32 v0, v0
	s_xor_b64 s[26:27], s[6:7], -1
	s_waitcnt vmcnt(0)
	v_and_b32_e32 v1, 0x4000, v1
	v_cmp_ne_u32_e32 vcc, 0, v1
	s_and_b64 s[76:77], s[26:27], vcc
	s_and_saveexec_b64 s[26:27], s[76:77]
	s_cbranch_execz .LBB12_6457
; %bb.6439:                             ;   in Loop: Header=BB12_6395 Depth=2
	s_and_saveexec_b64 s[76:77], s[56:57]
	s_xor_b64 s[76:77], exec, s[76:77]
	s_cbranch_execz .LBB12_6454
; %bb.6440:                             ;   in Loop: Header=BB12_6395 Depth=2
	s_and_saveexec_b64 s[78:79], s[16:17]
	s_cbranch_execz .LBB12_6453
; %bb.6441:                             ;   in Loop: Header=BB12_6395 Depth=2
	s_mov_b64 s[90:91], exec
	v_mbcnt_lo_u32_b32 v1, s90, 0
	v_mbcnt_hi_u32_b32 v1, s91, v1
	v_cmp_eq_u32_e32 vcc, 0, v1
	s_waitcnt lgkmcnt(0)
	buffer_wbinvl1_vol
	s_and_saveexec_b64 s[88:89], vcc
	s_cbranch_execz .LBB12_6443
; %bb.6442:                             ;   in Loop: Header=BB12_6395 Depth=2
	buffer_load_dword v2, off, s[0:3], s33 offset:128 ; 4-byte Folded Reload
	buffer_load_dword v3, off, s[0:3], s33 offset:132 ; 4-byte Folded Reload
	s_bcnt1_i32_b64 s9, s[90:91]
	v_mov_b32_e32 v1, s9
	s_waitcnt vmcnt(1)
	ds_add_u64 v0, v[1:2]
	s_trap 2
.LBB12_6443:                            ;   in Loop: Header=BB12_6395 Depth=2
	s_or_b64 exec, exec, s[88:89]
	s_trap 2
	ds_read_b64 v[1:2], v0
	s_waitcnt lgkmcnt(0)
	buffer_load_dword v3, off, s[0:3], s33 offset:152 ; 4-byte Folded Reload
	buffer_load_dword v4, off, s[0:3], s33 offset:160 ; 4-byte Folded Reload
	;; [unrolled: 1-line block ×3, first 2 shown]
	s_waitcnt vmcnt(1)
	v_add_co_u32_e32 v4, vcc, v4, v3
	s_waitcnt vmcnt(0)
	v_addc_co_u32_e32 v5, vcc, 0, v5, vcc
	buffer_store_dword v4, off, s[0:3], s33 offset:160 ; 4-byte Folded Spill
	s_nop 0
	buffer_store_dword v5, off, s[0:3], s33 offset:164 ; 4-byte Folded Spill
	v_cmp_lt_u64_e32 vcc, v[1:2], v[4:5]
	s_and_saveexec_b64 s[88:89], vcc
	s_cbranch_execz .LBB12_6452
; %bb.6444:                             ;   in Loop: Header=BB12_6395 Depth=2
	s_mov_b32 s9, 0
	s_mov_b64 s[90:91], 0
                                        ; implicit-def: $sgpr92_sgpr93
                                        ; implicit-def: $sgpr94_sgpr95
	s_branch .LBB12_6446
.LBB12_6445:                            ;   in Loop: Header=BB12_6446 Depth=3
	s_or_b64 exec, exec, s[34:35]
	s_and_b64 vcc, exec, vcc
	s_or_b64 s[90:91], vcc, s[90:91]
	s_andn2_b64 s[92:93], s[92:93], exec
	s_and_b64 vcc, s[94:95], exec
	s_or_b64 s[92:93], s[92:93], vcc
	s_andn2_b64 exec, exec, s[90:91]
	s_cbranch_execz .LBB12_6450
.LBB12_6446:                            ;   Parent Loop BB12_47 Depth=1
                                        ;     Parent Loop BB12_6395 Depth=2
                                        ; =>    This Inner Loop Header: Depth=3
	s_add_i32 s9, s9, 1
	s_cmpk_lg_i32 s9, 0x2710
	s_cselect_b64 s[30:31], -1, 0
	s_and_b64 vcc, exec, s[30:31]
	s_cbranch_vccz .LBB12_6448
; %bb.6447:                             ;   in Loop: Header=BB12_6446 Depth=3
	s_mov_b64 vcc, -1
	s_or_b64 s[94:95], s[94:95], exec
	s_and_saveexec_b64 s[34:35], s[30:31]
	s_cbranch_execz .LBB12_6445
	s_branch .LBB12_6449
.LBB12_6448:                            ;   in Loop: Header=BB12_6446 Depth=3
	s_trap 2
	ds_read_b64 v[1:2], v0
	s_andn2_b64 s[30:31], s[30:31], exec
	s_mov_b32 s9, 0
	s_waitcnt vmcnt(0) lgkmcnt(0)
	flat_load_dword v1, v[1:2] glc
	s_waitcnt vmcnt(0) lgkmcnt(0)
	buffer_wbinvl1_vol
	v_cmp_eq_u32_e32 vcc, 0, v1
	s_and_b64 vcc, vcc, exec
	s_or_b64 s[30:31], s[30:31], vcc
	s_mov_b64 vcc, -1
	s_or_b64 s[94:95], s[94:95], exec
	s_and_saveexec_b64 s[34:35], s[30:31]
	s_cbranch_execz .LBB12_6445
.LBB12_6449:                            ;   in Loop: Header=BB12_6446 Depth=3
	s_sleep 1
	s_trap 2
	ds_read_b64 v[1:2], v0
	s_waitcnt lgkmcnt(0)
	buffer_load_dword v3, off, s[0:3], s33 offset:160 ; 4-byte Folded Reload
	buffer_load_dword v4, off, s[0:3], s33 offset:164 ; 4-byte Folded Reload
	s_andn2_b64 s[94:95], s[94:95], exec
	s_waitcnt vmcnt(0)
	v_cmp_ge_u64_e32 vcc, v[1:2], v[3:4]
	s_orn2_b64 vcc, vcc, exec
	s_branch .LBB12_6445
.LBB12_6450:                            ;   in Loop: Header=BB12_6395 Depth=2
	s_or_b64 exec, exec, s[90:91]
	s_and_saveexec_b64 s[90:91], s[92:93]
	s_xor_b64 s[90:91], exec, s[90:91]
	s_cbranch_execz .LBB12_6452
; %bb.6451:                             ;   in Loop: Header=BB12_6395 Depth=2
	v_mov_b32_e32 v1, 1
	ds_write_b32 v0, v1
	s_trap 2
.LBB12_6452:                            ;   in Loop: Header=BB12_6395 Depth=2
	s_or_b64 exec, exec, s[88:89]
	;;#ASMSTART
	s_wakeup
	;;#ASMEND
.LBB12_6453:                            ;   in Loop: Header=BB12_6395 Depth=2
	s_or_b64 exec, exec, s[78:79]
.LBB12_6454:                            ;   in Loop: Header=BB12_6395 Depth=2
	s_andn2_saveexec_b64 s[76:77], s[76:77]
	s_cbranch_execz .LBB12_6456
; %bb.6455:                             ;   in Loop: Header=BB12_6395 Depth=2
	s_waitcnt vmcnt(0) lgkmcnt(0)
	buffer_wbinvl1_vol
	s_barrier
.LBB12_6456:                            ;   in Loop: Header=BB12_6395 Depth=2
	s_or_b64 exec, exec, s[76:77]
.LBB12_6457:                            ;   in Loop: Header=BB12_6395 Depth=2
	s_or_b64 exec, exec, s[26:27]
	s_trap 2
	s_waitcnt lgkmcnt(0)
	ds_read_b64 v[42:43], v0
	v_sub_u32_e32 v1, v52, v53
	v_min_i32_e32 v61, v61, v1
	s_waitcnt lgkmcnt(0)
	v_cmp_eq_u64_e32 vcc, 0, v[42:43]
	s_cbranch_vccnz .LBB12_6465
; %bb.6458:                             ;   in Loop: Header=BB12_6395 Depth=2
	s_trap 2
	ds_read_b64 v[44:45], v0
	s_waitcnt lgkmcnt(0)
	v_cmp_eq_u64_e32 vcc, 0, v[44:45]
	s_cbranch_vccnz .LBB12_6465
; %bb.6459:                             ;   in Loop: Header=BB12_6395 Depth=2
	s_mov_b64 s[76:77], -1
	s_and_saveexec_b64 s[26:27], s[20:21]
	s_cbranch_execz .LBB12_6461
; %bb.6460:                             ;   in Loop: Header=BB12_6395 Depth=2
	ds_read_b32 v1, v0 offset:720
	s_waitcnt lgkmcnt(0)
	v_and_b32_e32 v1, 15, v1
	v_cmp_eq_u32_e32 vcc, 0, v1
	s_orn2_b64 s[76:77], vcc, exec
.LBB12_6461:                            ;   in Loop: Header=BB12_6395 Depth=2
	s_or_b64 exec, exec, s[26:27]
	s_and_saveexec_b64 s[26:27], s[18:19]
	s_cbranch_execz .LBB12_6463
; %bb.6462:                             ;   in Loop: Header=BB12_6395 Depth=2
	ds_read_b32 v1, v0 offset:784
	s_waitcnt lgkmcnt(0)
	v_and_b32_e32 v1, 15, v1
	v_cmp_eq_u32_e32 vcc, 0, v1
	s_and_b64 s[78:79], s[76:77], vcc
	s_andn2_b64 s[76:77], s[76:77], exec
	s_and_b64 s[78:79], s[78:79], exec
	s_or_b64 s[76:77], s[76:77], s[78:79]
.LBB12_6463:                            ;   in Loop: Header=BB12_6395 Depth=2
	s_or_b64 exec, exec, s[26:27]
	s_xor_b64 s[76:77], s[76:77], -1
	v_cmp_eq_u32_e64 s[26:27], 0, v0
	v_cndmask_b32_e64 v0, 0, 1, s[76:77]
	s_mov_b64 s[78:79], -1
	v_cmp_ne_u32_e32 vcc, 0, v0
	s_cbranch_vccz .LBB12_6470
; %bb.6464:                             ;   in Loop: Header=BB12_6395 Depth=2
	s_mov_b64 s[78:79], 0
	s_mov_b64 s[76:77], -1
	s_branch .LBB12_6471
.LBB12_6465:                            ;   in Loop: Header=BB12_6395 Depth=2
	s_mov_b64 s[26:27], 0
	s_and_saveexec_b64 s[76:77], s[10:11]
	s_cbranch_execnz .LBB12_6521
.LBB12_6466:                            ;   in Loop: Header=BB12_6395 Depth=2
	s_or_b64 exec, exec, s[76:77]
	s_and_saveexec_b64 s[76:77], s[24:25]
	s_xor_b64 s[76:77], exec, s[76:77]
	s_cbranch_execz .LBB12_6539
.LBB12_6467:                            ;   in Loop: Header=BB12_6395 Depth=2
	buffer_load_dword v0, off, s[0:3], s33 offset:156 ; 4-byte Folded Reload
	s_waitcnt vmcnt(0)
	v_and_b32_e32 v0, 16, v0
	v_cmp_ne_u32_e32 vcc, 0, v0
	s_and_b64 s[78:79], vcc, s[26:27]
	s_and_saveexec_b64 s[26:27], s[78:79]
	s_cbranch_execz .LBB12_6469
; %bb.6468:                             ;   in Loop: Header=BB12_6395 Depth=2
	s_waitcnt lgkmcnt(0)
	buffer_wbinvl1_vol
.LBB12_6469:                            ;   in Loop: Header=BB12_6395 Depth=2
	s_or_b64 exec, exec, s[26:27]
	s_andn2_saveexec_b64 s[26:27], s[76:77]
	s_cbranch_execz .LBB12_6558
	s_branch .LBB12_6540
.LBB12_6470:                            ;   in Loop: Header=BB12_6395 Depth=2
	s_mov_b64 s[76:77], 0
.LBB12_6471:                            ;   in Loop: Header=BB12_6395 Depth=2
	v_cndmask_b32_e64 v54, 0, v61, s[26:27]
	v_lshlrev_b32_e32 v13, 1, v54
	s_andn2_b64 vcc, exec, s[78:79]
	v_mov_b32_e32 v0, 0
	s_cbranch_vccnz .LBB12_6479
; %bb.6472:                             ;   in Loop: Header=BB12_6395 Depth=2
	v_ashrrev_i32_e32 v0, 31, v13
	v_lshrrev_b32_e32 v0, 19, v0
	buffer_store_dword v42, off, s[0:3], s33 offset:240 ; 4-byte Folded Spill
	s_nop 0
	buffer_store_dword v43, off, s[0:3], s33 offset:244 ; 4-byte Folded Spill
	buffer_store_dword v54, off, s[0:3], s33 offset:300 ; 4-byte Folded Spill
	;; [unrolled: 1-line block ×3, first 2 shown]
	s_nop 0
	buffer_store_dword v54, off, s[0:3], s33 offset:288 ; 4-byte Folded Spill
	v_add_u32_e32 v0, v13, v0
	v_ashrrev_i32_e32 v2, 13, v0
	buffer_load_dword v0, off, s[0:3], s33 offset:600 ; 4-byte Folded Reload
	v_mov_b32_e32 v33, v13
	s_mov_b64 s[78:79], 0
	s_waitcnt vmcnt(0)
	v_sub_u32_e32 v10, v2, v0
	buffer_load_dword v0, off, s[0:3], s33 offset:668 ; 4-byte Folded Reload
	s_waitcnt vmcnt(0)
	v_add_co_u32_e32 v46, vcc, v44, v0
	buffer_store_dword v44, off, s[0:3], s33 offset:316 ; 4-byte Folded Spill
	s_nop 0
	buffer_store_dword v45, off, s[0:3], s33 offset:320 ; 4-byte Folded Spill
                                        ; implicit-def: $vgpr0_vgpr1
	buffer_store_dword v0, off, s[0:3], s33 offset:184 ; 4-byte Folded Spill
	s_nop 0
	buffer_store_dword v1, off, s[0:3], s33 offset:188 ; 4-byte Folded Spill
	buffer_store_dword v2, off, s[0:3], s33 offset:192 ; 4-byte Folded Spill
	;; [unrolled: 1-line block ×3, first 2 shown]
                                        ; implicit-def: $vgpr13_vgpr14
                                        ; implicit-def: $vgpr0_vgpr1
	buffer_store_dword v0, off, s[0:3], s33 offset:200 ; 4-byte Folded Spill
	s_nop 0
	buffer_store_dword v1, off, s[0:3], s33 offset:204 ; 4-byte Folded Spill
	buffer_store_dword v2, off, s[0:3], s33 offset:208 ; 4-byte Folded Spill
	buffer_store_dword v3, off, s[0:3], s33 offset:212 ; 4-byte Folded Spill
                                        ; implicit-def: $vgpr17_vgpr18
                                        ; implicit-def: $vgpr21_vgpr22
                                        ; implicit-def: $vgpr25_vgpr26
                                        ; implicit-def: $vgpr29_vgpr30
                                        ; implicit-def: $vgpr0_vgpr1
	buffer_store_dword v0, off, s[0:3], s33 offset:216 ; 4-byte Folded Spill
	s_nop 0
	buffer_store_dword v1, off, s[0:3], s33 offset:220 ; 4-byte Folded Spill
	buffer_store_dword v2, off, s[0:3], s33 offset:224 ; 4-byte Folded Spill
	;; [unrolled: 1-line block ×3, first 2 shown]
	v_addc_co_u32_e32 v47, vcc, 0, v45, vcc
	v_cmp_lt_i32_e32 vcc, 0, v10
	s_and_saveexec_b64 s[26:27], vcc
	s_cbranch_execz .LBB12_6481
; %bb.6473:                             ;   in Loop: Header=BB12_6395 Depth=2
	buffer_store_dword v2, off, s[0:3], s33 offset:340 ; 4-byte Folded Spill
	buffer_load_dword v0, off, s[0:3], s33 offset:668 ; 4-byte Folded Reload
	s_nop 0
	buffer_load_dword v1, off, s[0:3], s33 offset:240 ; 4-byte Folded Reload
	buffer_load_dword v2, off, s[0:3], s33 offset:244 ; 4-byte Folded Reload
	s_mov_b64 s[90:91], 0
                                        ; implicit-def: $sgpr88_sgpr89
	s_waitcnt vmcnt(1)
	v_add_co_u32_e32 v0, vcc, v1, v0
	s_waitcnt vmcnt(0)
	v_addc_co_u32_e32 v1, vcc, 0, v2, vcc
                                        ; implicit-def: $vgpr2_vgpr3
	buffer_store_dword v2, off, s[0:3], s33 offset:184 ; 4-byte Folded Spill
	s_nop 0
	buffer_store_dword v3, off, s[0:3], s33 offset:188 ; 4-byte Folded Spill
	buffer_store_dword v4, off, s[0:3], s33 offset:192 ; 4-byte Folded Spill
	;; [unrolled: 1-line block ×3, first 2 shown]
                                        ; implicit-def: $vgpr13_vgpr14
                                        ; implicit-def: $vgpr2_vgpr3
	buffer_store_dword v2, off, s[0:3], s33 offset:200 ; 4-byte Folded Spill
	s_nop 0
	buffer_store_dword v3, off, s[0:3], s33 offset:204 ; 4-byte Folded Spill
	buffer_store_dword v4, off, s[0:3], s33 offset:208 ; 4-byte Folded Spill
	buffer_store_dword v5, off, s[0:3], s33 offset:212 ; 4-byte Folded Spill
                                        ; implicit-def: $vgpr17_vgpr18
                                        ; implicit-def: $vgpr21_vgpr22
                                        ; implicit-def: $vgpr25_vgpr26
                                        ; implicit-def: $vgpr29_vgpr30
                                        ; implicit-def: $vgpr2_vgpr3
	buffer_store_dword v2, off, s[0:3], s33 offset:216 ; 4-byte Folded Spill
	s_nop 0
	buffer_store_dword v3, off, s[0:3], s33 offset:220 ; 4-byte Folded Spill
	buffer_store_dword v4, off, s[0:3], s33 offset:224 ; 4-byte Folded Spill
	;; [unrolled: 1-line block ×3, first 2 shown]
	s_branch .LBB12_6475
.LBB12_6474:                            ;   in Loop: Header=BB12_6475 Depth=3
	s_or_b64 exec, exec, s[92:93]
	global_store_dwordx4 v[46:47], v[34:37], off glc slc
	global_store_dwordx4 v[46:47], v[48:51], off offset:1024 glc slc
	global_store_dwordx4 v[46:47], v[52:55], off offset:2048 glc slc
	global_store_dwordx4 v[46:47], v[38:41], off offset:3072 glc slc
	v_add_co_u32_e32 v34, vcc, s81, v46
	v_addc_co_u32_e32 v35, vcc, 0, v47, vcc
	global_store_dwordx4 v[34:35], v[42:45], off glc slc
	global_store_dwordx4 v[34:35], v[56:59], off offset:1024 glc slc
	buffer_load_dword v2, off, s[0:3], s33 offset:168 ; 4-byte Folded Reload
	buffer_load_dword v3, off, s[0:3], s33 offset:172 ; 4-byte Folded Reload
	;; [unrolled: 1-line block ×4, first 2 shown]
	s_waitcnt vmcnt(0)
	global_store_dwordx4 v[34:35], v[2:5], off offset:2048 glc slc
	global_store_dwordx4 v[34:35], v[6:9], off offset:3072 glc slc
	v_add_co_u32_e32 v2, vcc, v46, v10
	v_addc_co_u32_e32 v3, vcc, v47, v11, vcc
	v_add_co_u32_e32 v46, vcc, s54, v2
	v_addc_co_u32_e32 v47, vcc, 0, v3, vcc
	;; [unrolled: 2-line block ×3, first 2 shown]
	v_sub_u32_e32 v10, v12, v60
	v_cmp_gt_i32_e32 vcc, 1, v10
	s_or_b64 s[78:79], vcc, s[78:79]
	s_andn2_b64 s[88:89], s[88:89], exec
	s_and_b64 s[92:93], s[90:91], exec
	s_or_b64 s[88:89], s[88:89], s[92:93]
	s_andn2_b64 exec, exec, s[78:79]
	s_cbranch_execz .LBB12_6480
.LBB12_6475:                            ;   Parent Loop BB12_47 Depth=1
                                        ;     Parent Loop BB12_6395 Depth=2
                                        ; =>    This Inner Loop Header: Depth=3
	v_add_co_u32_e32 v6, vcc, 0x1000, v0
	v_addc_co_u32_e32 v7, vcc, 0, v1, vcc
	global_load_dwordx4 v[34:37], v[0:1], off glc slc
	global_load_dwordx4 v[48:51], v[0:1], off offset:1024 glc slc
	global_load_dwordx4 v[52:55], v[0:1], off offset:2048 glc slc
	;; [unrolled: 1-line block ×3, first 2 shown]
	global_load_dwordx4 v[42:45], v[6:7], off glc slc
	global_load_dwordx4 v[56:59], v[6:7], off offset:1024 glc slc
	global_load_dwordx4 v[2:5], v[6:7], off offset:2048 glc slc
	s_waitcnt vmcnt(0)
	buffer_store_dword v2, off, s[0:3], s33 offset:168 ; 4-byte Folded Spill
	s_nop 0
	buffer_store_dword v3, off, s[0:3], s33 offset:172 ; 4-byte Folded Spill
	buffer_store_dword v4, off, s[0:3], s33 offset:176 ; 4-byte Folded Spill
	;; [unrolled: 1-line block ×3, first 2 shown]
	global_load_dwordx4 v[6:9], v[6:7], off offset:3072 glc slc
	s_and_saveexec_b64 s[92:93], s[90:91]
	s_cbranch_execz .LBB12_6477
; %bb.6476:                             ;   in Loop: Header=BB12_6475 Depth=3
	v_mov_b32_e32 v2, v29
	v_mov_b32_e32 v3, v30
	;; [unrolled: 1-line block ×20, first 2 shown]
	buffer_load_dword v11, off, s[0:3], s33 offset:184 ; 4-byte Folded Reload
	buffer_load_dword v12, off, s[0:3], s33 offset:188 ; 4-byte Folded Reload
	buffer_load_dword v13, off, s[0:3], s33 offset:192 ; 4-byte Folded Reload
	buffer_load_dword v14, off, s[0:3], s33 offset:196 ; 4-byte Folded Reload
	s_waitcnt vmcnt(0)
	global_store_dwordx4 v[46:47], v[11:14], off glc slc
	s_nop 0
	v_mov_b32_e32 v13, v15
	v_mov_b32_e32 v14, v16
	;; [unrolled: 1-line block ×4, first 2 shown]
	global_store_dwordx4 v[46:47], v[13:16], off offset:1024 glc slc
	buffer_load_dword v17, off, s[0:3], s33 offset:200 ; 4-byte Folded Reload
	buffer_load_dword v18, off, s[0:3], s33 offset:204 ; 4-byte Folded Reload
	;; [unrolled: 1-line block ×4, first 2 shown]
	v_add_co_u32_e32 v11, vcc, 0x1000, v46
	v_addc_co_u32_e32 v12, vcc, 0, v47, vcc
	s_waitcnt vmcnt(0)
	global_store_dwordx4 v[46:47], v[17:20], off offset:2048 glc slc
	s_nop 0
	v_mov_b32_e32 v17, v21
	v_mov_b32_e32 v18, v22
	;; [unrolled: 1-line block ×13, first 2 shown]
	global_store_dwordx4 v[46:47], v[17:20], off offset:3072 glc slc
	global_store_dwordx4 v[11:12], v[21:24], off glc slc
	global_store_dwordx4 v[11:12], v[25:28], off offset:1024 glc slc
	global_store_dwordx4 v[11:12], v[2:5], off offset:2048 glc slc
	v_mov_b32_e32 v31, v4
	v_mov_b32_e32 v30, v3
	;; [unrolled: 1-line block ×3, first 2 shown]
	buffer_load_dword v2, off, s[0:3], s33 offset:216 ; 4-byte Folded Reload
	buffer_load_dword v3, off, s[0:3], s33 offset:220 ; 4-byte Folded Reload
	buffer_load_dword v4, off, s[0:3], s33 offset:224 ; 4-byte Folded Reload
	buffer_load_dword v5, off, s[0:3], s33 offset:228 ; 4-byte Folded Reload
	s_waitcnt vmcnt(0)
	global_store_dwordx4 v[11:12], v[2:5], off offset:3072 glc slc
	buffer_load_dword v11, off, s[0:3], s33 offset:428 ; 4-byte Folded Reload
	s_waitcnt vmcnt(0)
	v_add_co_u32_e32 v46, vcc, v46, v11
	buffer_load_dword v11, off, s[0:3], s33 offset:432 ; 4-byte Folded Reload
	s_waitcnt vmcnt(0)
	v_addc_co_u32_e32 v47, vcc, v47, v11, vcc
.LBB12_6477:                            ;   in Loop: Header=BB12_6475 Depth=3
	s_or_b64 exec, exec, s[92:93]
	buffer_load_dword v11, off, s[0:3], s33 offset:428 ; 4-byte Folded Reload
	v_mov_b32_e32 v60, 0
	s_waitcnt vmcnt(0)
	v_add_co_u32_e32 v0, vcc, v0, v11
	buffer_load_dword v11, off, s[0:3], s33 offset:432 ; 4-byte Folded Reload
	s_waitcnt vmcnt(0)
	v_addc_co_u32_e32 v1, vcc, v1, v11, vcc
	buffer_load_dword v11, off, s[0:3], s33 offset:152 ; 4-byte Folded Reload
	s_waitcnt vmcnt(0)
	v_sub_u32_e32 v12, v10, v11
	v_mov_b32_e32 v10, 0
	v_mov_b32_e32 v11, 0
	v_cmp_lt_i32_e64 s[90:91], 0, v12
	s_and_saveexec_b64 s[92:93], s[90:91]
	s_cbranch_execz .LBB12_6474
; %bb.6478:                             ;   in Loop: Header=BB12_6475 Depth=3
	global_load_dwordx4 v[13:16], v[0:1], off glc slc
	v_add_co_u32_e32 v10, vcc, s81, v0
	v_addc_co_u32_e32 v11, vcc, 0, v1, vcc
	s_waitcnt vmcnt(0)
	buffer_store_dword v13, off, s[0:3], s33 offset:184 ; 4-byte Folded Spill
	s_nop 0
	buffer_store_dword v14, off, s[0:3], s33 offset:188 ; 4-byte Folded Spill
	buffer_store_dword v15, off, s[0:3], s33 offset:192 ; 4-byte Folded Spill
	;; [unrolled: 1-line block ×3, first 2 shown]
	global_load_dwordx4 v[13:16], v[0:1], off offset:1024 glc slc
	s_nop 0
	global_load_dwordx4 v[17:20], v[0:1], off offset:2048 glc slc
	s_waitcnt vmcnt(0)
	buffer_store_dword v17, off, s[0:3], s33 offset:200 ; 4-byte Folded Spill
	s_nop 0
	buffer_store_dword v18, off, s[0:3], s33 offset:204 ; 4-byte Folded Spill
	buffer_store_dword v19, off, s[0:3], s33 offset:208 ; 4-byte Folded Spill
	;; [unrolled: 1-line block ×3, first 2 shown]
	global_load_dwordx4 v[17:20], v[0:1], off offset:3072 glc slc
	s_nop 0
	global_load_dwordx4 v[21:24], v[10:11], off glc slc
	global_load_dwordx4 v[25:28], v[10:11], off offset:1024 glc slc
	global_load_dwordx4 v[29:32], v[10:11], off offset:2048 glc slc
	;; [unrolled: 1-line block ×3, first 2 shown]
	v_add_co_u32_e32 v0, vcc, 0x2000, v0
	v_addc_co_u32_e32 v1, vcc, 0, v1, vcc
	s_waitcnt vmcnt(0)
	buffer_store_dword v2, off, s[0:3], s33 offset:216 ; 4-byte Folded Spill
	s_nop 0
	buffer_store_dword v3, off, s[0:3], s33 offset:220 ; 4-byte Folded Spill
	buffer_store_dword v4, off, s[0:3], s33 offset:224 ; 4-byte Folded Spill
	buffer_store_dword v5, off, s[0:3], s33 offset:228 ; 4-byte Folded Spill
	buffer_load_dword v60, off, s[0:3], s33 offset:152 ; 4-byte Folded Reload
	buffer_load_dword v10, off, s[0:3], s33 offset:568 ; 4-byte Folded Reload
	;; [unrolled: 1-line block ×3, first 2 shown]
	s_branch .LBB12_6474
.LBB12_6479:                            ;   in Loop: Header=BB12_6395 Depth=2
	buffer_load_dword v1, off, s[0:3], s33 offset:596 ; 4-byte Folded Reload
	buffer_load_dword v7, off, s[0:3], s33 offset:580 ; 4-byte Folded Reload
	s_and_saveexec_b64 s[26:27], s[76:77]
	s_cbranch_execnz .LBB12_6500
	s_branch .LBB12_6520
.LBB12_6480:                            ;   in Loop: Header=BB12_6395 Depth=2
	s_or_b64 exec, exec, s[78:79]
	buffer_load_dword v2, off, s[0:3], s33 offset:340 ; 4-byte Folded Reload
	s_and_b64 s[78:79], s[88:89], exec
.LBB12_6481:                            ;   in Loop: Header=BB12_6395 Depth=2
	s_or_b64 exec, exec, s[26:27]
	s_and_saveexec_b64 s[26:27], s[78:79]
	s_cbranch_execz .LBB12_6483
; %bb.6482:                             ;   in Loop: Header=BB12_6395 Depth=2
	buffer_load_dword v3, off, s[0:3], s33 offset:184 ; 4-byte Folded Reload
	buffer_load_dword v4, off, s[0:3], s33 offset:188 ; 4-byte Folded Reload
	;; [unrolled: 1-line block ×4, first 2 shown]
	v_add_co_u32_e32 v0, vcc, 0x1000, v46
	v_addc_co_u32_e32 v1, vcc, 0, v47, vcc
	s_waitcnt vmcnt(0)
	global_store_dwordx4 v[46:47], v[3:6], off glc slc
	global_store_dwordx4 v[46:47], v[13:16], off offset:1024 glc slc
	buffer_load_dword v3, off, s[0:3], s33 offset:200 ; 4-byte Folded Reload
	s_nop 0
	buffer_load_dword v4, off, s[0:3], s33 offset:204 ; 4-byte Folded Reload
	buffer_load_dword v5, off, s[0:3], s33 offset:208 ; 4-byte Folded Reload
	;; [unrolled: 1-line block ×3, first 2 shown]
	s_waitcnt vmcnt(0)
	global_store_dwordx4 v[46:47], v[3:6], off offset:2048 glc slc
	global_store_dwordx4 v[46:47], v[17:20], off offset:3072 glc slc
	global_store_dwordx4 v[0:1], v[21:24], off glc slc
	global_store_dwordx4 v[0:1], v[25:28], off offset:1024 glc slc
	global_store_dwordx4 v[0:1], v[29:32], off offset:2048 glc slc
	buffer_load_dword v3, off, s[0:3], s33 offset:216 ; 4-byte Folded Reload
	buffer_load_dword v4, off, s[0:3], s33 offset:220 ; 4-byte Folded Reload
	;; [unrolled: 1-line block ×4, first 2 shown]
	s_waitcnt vmcnt(0)
	global_store_dwordx4 v[0:1], v[3:6], off offset:3072 glc slc
.LBB12_6483:                            ;   in Loop: Header=BB12_6395 Depth=2
	s_or_b64 exec, exec, s[26:27]
	s_waitcnt vmcnt(0)
	v_lshlrev_b32_e32 v14, 13, v2
	v_mov_b32_e32 v13, v33
	v_cmp_ne_u32_e32 vcc, v13, v14
                                        ; implicit-def: $vgpr0
                                        ; implicit-def: $vgpr1
                                        ; implicit-def: $vgpr7
	s_mov_b64 s[78:79], exec
	buffer_load_dword v52, off, s[0:3], s33 offset:324 ; 4-byte Folded Reload
	buffer_load_dword v53, off, s[0:3], s33 offset:284 ; 4-byte Folded Reload
	;; [unrolled: 1-line block ×10, first 2 shown]
	s_and_b64 s[26:27], s[78:79], vcc
	s_mov_b64 exec, s[26:27]
	s_cbranch_execz .LBB12_6499
; %bb.6484:                             ;   in Loop: Header=BB12_6395 Depth=2
	buffer_load_dword v2, off, s[0:3], s33 offset:580 ; 4-byte Folded Reload
	v_lshlrev_b32_e32 v0, 6, v10
	v_sub_u32_e32 v1, v13, v14
	s_mov_b64 s[90:91], 0
	s_waitcnt vmcnt(0)
	v_sub_u32_e32 v0, v2, v0
	v_ashrrev_i32_e32 v2, 31, v0
	v_lshrrev_b32_e32 v2, 26, v2
	v_add_u32_e32 v2, v0, v2
	v_ashrrev_i32_e32 v3, 6, v2
	v_and_b32_e32 v2, 0xffffffc0, v2
	v_sub_u32_e32 v15, v0, v2
	v_lshlrev_b32_e32 v0, 4, v15
	v_lshl_add_u32 v2, v3, 10, v0
	v_add_u32_e32 v0, v2, v14
	v_sub_u32_e32 v19, v1, v2
	v_ashrrev_i32_e32 v2, 31, v1
	v_lshrrev_b32_e32 v2, 22, v2
	v_add_u32_e32 v2, v1, v2
	v_and_b32_e32 v16, 0xfffffc00, v2
	v_sub_u32_e32 v18, v1, v16
	v_ashrrev_i32_e32 v4, 10, v2
	v_cmp_lt_i32_e64 s[26:27], 15, v18
	v_addc_co_u32_e64 v1, vcc, 0, v4, s[26:27]
	v_sub_u32_e32 v17, v1, v3
	v_ashrrev_i32_e32 v1, 31, v0
	v_add_co_u32_e32 v10, vcc, v0, v44
	v_addc_co_u32_e32 v11, vcc, v1, v45, vcc
	v_cmp_lt_i32_e32 vcc, 15, v19
                                        ; implicit-def: $vgpr2_vgpr3
	s_and_saveexec_b64 s[88:89], vcc
	s_cbranch_execz .LBB12_6494
; %bb.6485:                             ;   in Loop: Header=BB12_6395 Depth=2
	v_add_co_u32_e32 v0, vcc, v0, v42
	v_addc_co_u32_e32 v1, vcc, v1, v43, vcc
	s_mov_b64 s[94:95], 0
                                        ; implicit-def: $sgpr92_sgpr93
                                        ; implicit-def: $vgpr2_vgpr3
	s_branch .LBB12_6487
.LBB12_6486:                            ;   in Loop: Header=BB12_6487 Depth=3
	s_or_b64 exec, exec, s[30:31]
	v_cmp_gt_i32_e32 vcc, 16, v19
	s_or_b64 s[90:91], vcc, s[90:91]
	s_andn2_b64 s[92:93], s[92:93], exec
	s_and_b64 vcc, s[94:95], exec
	s_or_b64 s[92:93], s[92:93], vcc
	s_andn2_b64 exec, exec, s[90:91]
	s_cbranch_execz .LBB12_6493
.LBB12_6487:                            ;   Parent Loop BB12_47 Depth=1
                                        ;     Parent Loop BB12_6395 Depth=2
                                        ; =>    This Inner Loop Header: Depth=3
	global_load_dwordx4 v[6:9], v[0:1], off glc slc
	s_and_saveexec_b64 s[30:31], s[94:95]
	s_cbranch_execz .LBB12_6489
; %bb.6488:                             ;   in Loop: Header=BB12_6487 Depth=3
	buffer_load_dword v12, off, s[0:3], s33 offset:420 ; 4-byte Folded Reload
	s_waitcnt vmcnt(0)
	v_add_co_u32_e32 v20, vcc, v10, v12
	buffer_load_dword v12, off, s[0:3], s33 offset:424 ; 4-byte Folded Reload
	s_waitcnt vmcnt(0)
	v_addc_co_u32_e32 v21, vcc, v11, v12, vcc
	global_store_dwordx4 v[10:11], v[2:5], off glc slc
	v_mov_b32_e32 v10, v20
	v_mov_b32_e32 v11, v21
.LBB12_6489:                            ;   in Loop: Header=BB12_6487 Depth=3
	s_or_b64 exec, exec, s[30:31]
	buffer_load_dword v12, off, s[0:3], s33 offset:420 ; 4-byte Folded Reload
	s_waitcnt vmcnt(0)
	v_add_co_u32_e32 v0, vcc, v0, v12
	buffer_load_dword v12, off, s[0:3], s33 offset:424 ; 4-byte Folded Reload
	s_waitcnt vmcnt(0)
	v_addc_co_u32_e32 v1, vcc, v1, v12, vcc
	buffer_load_dword v12, off, s[0:3], s33 offset:384 ; 4-byte Folded Reload
	s_waitcnt vmcnt(0)
	v_sub_u32_e32 v19, v19, v12
	v_cmp_lt_i32_e64 s[94:95], 15, v19
	s_and_saveexec_b64 s[30:31], s[94:95]
	s_cbranch_execz .LBB12_6491
; %bb.6490:                             ;   in Loop: Header=BB12_6487 Depth=3
	global_load_dwordx4 v[2:5], v[0:1], off glc slc
	v_add_co_u32_e32 v0, vcc, 0x400, v0
	v_addc_co_u32_e32 v1, vcc, 0, v1, vcc
.LBB12_6491:                            ;   in Loop: Header=BB12_6487 Depth=3
	s_or_b64 exec, exec, s[30:31]
	buffer_load_dword v12, off, s[0:3], s33 offset:152 ; 4-byte Folded Reload
	s_waitcnt vmcnt(0)
	v_sub_u32_e32 v17, v17, v12
	global_store_dwordx4 v[10:11], v[6:9], off glc slc
	v_add_co_u32_e32 v10, vcc, 0x400, v10
	v_addc_co_u32_e32 v11, vcc, 0, v11, vcc
	s_and_saveexec_b64 s[30:31], s[94:95]
	s_cbranch_execz .LBB12_6486
; %bb.6492:                             ;   in Loop: Header=BB12_6487 Depth=3
	buffer_load_dword v6, off, s[0:3], s33 offset:152 ; 4-byte Folded Reload
	buffer_load_dword v7, off, s[0:3], s33 offset:416 ; 4-byte Folded Reload
	s_waitcnt vmcnt(1)
	v_sub_u32_e32 v17, v17, v6
	buffer_load_dword v6, off, s[0:3], s33 offset:384 ; 4-byte Folded Reload
	s_waitcnt vmcnt(0)
	v_sub_u32_e32 v19, v19, v6
	buffer_load_dword v6, off, s[0:3], s33 offset:412 ; 4-byte Folded Reload
	s_waitcnt vmcnt(0)
	v_add_co_u32_e32 v0, vcc, v0, v6
	v_addc_co_u32_e32 v1, vcc, v1, v7, vcc
	v_add_co_u32_e32 v10, vcc, v10, v6
	v_addc_co_u32_e32 v11, vcc, v11, v7, vcc
	s_branch .LBB12_6486
.LBB12_6493:                            ;   in Loop: Header=BB12_6395 Depth=2
	s_or_b64 exec, exec, s[90:91]
	s_and_b64 s[90:91], s[92:93], exec
.LBB12_6494:                            ;   in Loop: Header=BB12_6395 Depth=2
	s_or_b64 exec, exec, s[88:89]
	s_and_saveexec_b64 s[88:89], s[90:91]
	s_cbranch_execz .LBB12_6496
; %bb.6495:                             ;   in Loop: Header=BB12_6395 Depth=2
	global_store_dwordx4 v[10:11], v[2:5], off glc slc
.LBB12_6496:                            ;   in Loop: Header=BB12_6395 Depth=2
	s_or_b64 exec, exec, s[88:89]
	v_and_b32_e32 v2, 14, v13
	v_cndmask_b32_e64 v13, v18, v2, s[26:27]
	v_cmp_ne_u32_e32 vcc, 0, v13
	s_mov_b64 s[90:91], s[76:77]
                                        ; implicit-def: $vgpr0
                                        ; implicit-def: $vgpr1
                                        ; implicit-def: $vgpr7
	s_and_saveexec_b64 s[88:89], vcc
	s_cbranch_execz .LBB12_6498
; %bb.6497:                             ;   in Loop: Header=BB12_6395 Depth=2
	buffer_load_dword v1, off, s[0:3], s33 offset:152 ; 4-byte Folded Reload
	v_cmp_lt_i32_e32 vcc, 0, v17
	v_sub_u32_e32 v0, v18, v2
	v_cndmask_b32_e64 v0, 0, v0, s[26:27]
	v_add3_u32 v0, v16, v14, v0
	s_or_b64 s[90:91], s[76:77], exec
	s_waitcnt vmcnt(0)
	v_cndmask_b32_e32 v1, 0, v1, vcc
	v_sub_u32_e32 v1, v1, v17
	v_lshl_add_u32 v1, v1, 6, v15
	v_ashrrev_i32_e32 v2, 31, v1
	v_lshrrev_b32_e32 v2, 26, v2
	v_add_u32_e32 v2, v1, v2
	v_and_b32_e32 v2, 0xffffffc0, v2
	v_sub_u32_e32 v7, v1, v2
.LBB12_6498:                            ;   in Loop: Header=BB12_6395 Depth=2
	s_or_b64 exec, exec, s[88:89]
	s_andn2_b64 s[26:27], s[76:77], exec
	s_and_b64 s[76:77], s[90:91], exec
	s_or_b64 s[76:77], s[26:27], s[76:77]
.LBB12_6499:                            ;   in Loop: Header=BB12_6395 Depth=2
	s_or_b64 exec, exec, s[78:79]
	s_and_saveexec_b64 s[26:27], s[76:77]
	s_cbranch_execz .LBB12_6520
.LBB12_6500:                            ;   in Loop: Header=BB12_6395 Depth=2
	s_waitcnt vmcnt(1)
	v_ashrrev_i32_e32 v2, 31, v1
	v_lshrrev_b32_e32 v2, 26, v2
	v_add_u32_e32 v1, v1, v2
	v_ashrrev_i32_e32 v1, 6, v1
	v_lshlrev_b32_e32 v2, 11, v1
	s_waitcnt vmcnt(0)
	v_lshlrev_b32_e32 v3, 1, v7
	v_add3_u32 v3, v0, v3, v2
	v_ashrrev_i32_e32 v2, 31, v13
	v_lshrrev_b32_e32 v2, 21, v2
	v_add_u32_e32 v2, v13, v2
	v_ashrrev_i32_e32 v8, 11, v2
	v_sub_u32_e32 v5, v8, v1
	v_ashrrev_i32_e32 v4, 31, v3
	v_add_co_u32_e32 v1, vcc, v44, v3
	v_addc_co_u32_e32 v2, vcc, v45, v4, vcc
	v_cmp_lt_i32_e32 vcc, 0, v5
	s_mov_b64 s[78:79], 0
                                        ; implicit-def: $vgpr9
                                        ; implicit-def: $vgpr10
                                        ; implicit-def: $vgpr11
                                        ; implicit-def: $vgpr14
                                        ; implicit-def: $vgpr15
                                        ; implicit-def: $vgpr16
                                        ; implicit-def: $vgpr17
                                        ; implicit-def: $vgpr18
                                        ; implicit-def: $vgpr19
                                        ; implicit-def: $vgpr20
                                        ; implicit-def: $vgpr21
                                        ; implicit-def: $vgpr22
                                        ; implicit-def: $vgpr23
                                        ; implicit-def: $vgpr24
                                        ; implicit-def: $vgpr25
                                        ; implicit-def: $vgpr26
	s_and_saveexec_b64 s[76:77], vcc
	s_cbranch_execz .LBB12_6508
; %bb.6501:                             ;   in Loop: Header=BB12_6395 Depth=2
	v_add_co_u32_e32 v3, vcc, v3, v42
	v_addc_co_u32_e32 v4, vcc, v4, v43, vcc
	s_mov_b64 s[90:91], 0
                                        ; implicit-def: $sgpr88_sgpr89
                                        ; implicit-def: $vgpr9
                                        ; implicit-def: $vgpr10
                                        ; implicit-def: $vgpr11
                                        ; implicit-def: $vgpr14
                                        ; implicit-def: $vgpr15
                                        ; implicit-def: $vgpr16
                                        ; implicit-def: $vgpr17
                                        ; implicit-def: $vgpr18
                                        ; implicit-def: $vgpr19
                                        ; implicit-def: $vgpr20
                                        ; implicit-def: $vgpr21
                                        ; implicit-def: $vgpr22
                                        ; implicit-def: $vgpr23
                                        ; implicit-def: $vgpr24
                                        ; implicit-def: $vgpr25
                                        ; implicit-def: $vgpr26
	s_branch .LBB12_6503
.LBB12_6502:                            ;   in Loop: Header=BB12_6503 Depth=3
	s_or_b64 exec, exec, s[92:93]
	s_waitcnt lgkmcnt(0)
	flat_store_short v[1:2], v12 glc slc
	flat_store_short v[1:2], v27 offset:128 glc slc
	flat_store_short v[1:2], v28 offset:256 glc slc
	;; [unrolled: 1-line block ×15, first 2 shown]
	s_waitcnt vmcnt(0)
	v_add_co_u32_e32 v1, vcc, v1, v5
	v_addc_co_u32_e32 v2, vcc, v2, v6, vcc
	v_add_co_u32_e32 v1, vcc, s64, v1
	v_addc_co_u32_e32 v2, vcc, 0, v2, vcc
	;; [unrolled: 2-line block ×3, first 2 shown]
	v_sub_u32_e32 v5, v50, v51
	v_cmp_gt_i32_e32 vcc, 1, v5
	s_or_b64 s[78:79], vcc, s[78:79]
	s_andn2_b64 s[88:89], s[88:89], exec
	s_and_b64 s[92:93], s[90:91], exec
	s_or_b64 s[88:89], s[88:89], s[92:93]
	s_andn2_b64 exec, exec, s[78:79]
	s_cbranch_execz .LBB12_6507
.LBB12_6503:                            ;   Parent Loop BB12_47 Depth=1
                                        ;     Parent Loop BB12_6395 Depth=2
                                        ; =>    This Inner Loop Header: Depth=3
	flat_load_ushort v12, v[3:4] glc slc
	flat_load_ushort v27, v[3:4] offset:128 glc slc
	flat_load_ushort v28, v[3:4] offset:256 glc slc
	;; [unrolled: 1-line block ×15, first 2 shown]
	s_and_saveexec_b64 s[92:93], s[90:91]
	s_cbranch_execz .LBB12_6505
; %bb.6504:                             ;   in Loop: Header=BB12_6503 Depth=3
	flat_store_short v[1:2], v9 glc slc
	flat_store_short v[1:2], v10 offset:128 glc slc
	flat_store_short v[1:2], v11 offset:256 glc slc
	;; [unrolled: 1-line block ×15, first 2 shown]
	buffer_load_dword v6, off, s[0:3], s33 offset:232 ; 4-byte Folded Reload
	s_waitcnt vmcnt(0)
	v_add_co_u32_e32 v1, vcc, v1, v6
	buffer_load_dword v6, off, s[0:3], s33 offset:236 ; 4-byte Folded Reload
	s_waitcnt vmcnt(0)
	v_addc_co_u32_e32 v2, vcc, v2, v6, vcc
.LBB12_6505:                            ;   in Loop: Header=BB12_6503 Depth=3
	s_or_b64 exec, exec, s[92:93]
	buffer_load_dword v6, off, s[0:3], s33 offset:232 ; 4-byte Folded Reload
	v_mov_b32_e32 v51, 0
	s_waitcnt vmcnt(0)
	v_add_co_u32_e32 v3, vcc, v3, v6
	buffer_load_dword v6, off, s[0:3], s33 offset:236 ; 4-byte Folded Reload
	s_waitcnt vmcnt(0)
	v_addc_co_u32_e32 v4, vcc, v4, v6, vcc
	buffer_load_dword v6, off, s[0:3], s33 offset:152 ; 4-byte Folded Reload
	s_waitcnt vmcnt(0)
	v_sub_u32_e32 v50, v5, v6
	v_mov_b32_e32 v5, 0
	v_mov_b32_e32 v6, 0
	v_cmp_lt_i32_e64 s[90:91], 0, v50
	s_and_saveexec_b64 s[92:93], s[90:91]
	s_cbranch_execz .LBB12_6502
; %bb.6506:                             ;   in Loop: Header=BB12_6503 Depth=3
	flat_load_ushort v9, v[3:4] glc slc
	flat_load_ushort v10, v[3:4] offset:128 glc slc
	flat_load_ushort v11, v[3:4] offset:256 glc slc
	flat_load_ushort v14, v[3:4] offset:384 glc slc
	flat_load_ushort v15, v[3:4] offset:512 glc slc
	flat_load_ushort v16, v[3:4] offset:640 glc slc
	flat_load_ushort v17, v[3:4] offset:768 glc slc
	flat_load_ushort v18, v[3:4] offset:896 glc slc
	flat_load_ushort v19, v[3:4] offset:1024 glc slc
	flat_load_ushort v20, v[3:4] offset:1152 glc slc
	flat_load_ushort v21, v[3:4] offset:1280 glc slc
	flat_load_ushort v22, v[3:4] offset:1408 glc slc
	flat_load_ushort v23, v[3:4] offset:1536 glc slc
	flat_load_ushort v24, v[3:4] offset:1664 glc slc
	flat_load_ushort v25, v[3:4] offset:1792 glc slc
	flat_load_ushort v26, v[3:4] offset:1920 glc slc
	buffer_load_dword v51, off, s[0:3], s33 offset:152 ; 4-byte Folded Reload
	buffer_load_dword v5, off, s[0:3], s33 offset:272 ; 4-byte Folded Reload
	;; [unrolled: 1-line block ×3, first 2 shown]
	v_add_co_u32_e32 v3, vcc, 0x800, v3
	v_addc_co_u32_e32 v4, vcc, 0, v4, vcc
	s_branch .LBB12_6502
.LBB12_6507:                            ;   in Loop: Header=BB12_6395 Depth=2
	s_or_b64 exec, exec, s[78:79]
	s_and_b64 s[78:79], s[88:89], exec
.LBB12_6508:                            ;   in Loop: Header=BB12_6395 Depth=2
	s_or_b64 exec, exec, s[76:77]
	s_and_saveexec_b64 s[76:77], s[78:79]
	s_cbranch_execz .LBB12_6510
; %bb.6509:                             ;   in Loop: Header=BB12_6395 Depth=2
	flat_store_short v[1:2], v9 glc slc
	flat_store_short v[1:2], v10 offset:128 glc slc
	flat_store_short v[1:2], v11 offset:256 glc slc
	;; [unrolled: 1-line block ×15, first 2 shown]
.LBB12_6510:                            ;   in Loop: Header=BB12_6395 Depth=2
	s_or_b64 exec, exec, s[76:77]
	v_lshlrev_b32_e32 v1, 11, v8
	v_cmp_ne_u32_e32 vcc, v13, v1
	s_and_b64 exec, exec, vcc
	s_cbranch_execz .LBB12_6520
; %bb.6511:                             ;   in Loop: Header=BB12_6395 Depth=2
	v_lshlrev_b32_e32 v2, 6, v5
	v_sub_u32_e32 v2, v7, v2
	v_ashrrev_i32_e32 v3, 31, v2
	v_lshrrev_b32_e32 v3, 26, v3
	v_add_u32_e32 v3, v2, v3
	v_and_b32_e32 v4, 0x7fffffc0, v3
	v_sub_u32_e32 v2, v2, v4
	v_lshlrev_b32_e32 v3, 1, v3
	v_and_b32_e32 v3, 0xffffff80, v3
	v_lshlrev_b32_e32 v2, 1, v2
	v_add3_u32 v1, v3, v2, v1
	v_sub_u32_e32 v4, v13, v1
	v_cmp_lt_i32_e32 vcc, 1, v4
	s_and_b64 exec, exec, vcc
	s_cbranch_execz .LBB12_6520
; %bb.6512:                             ;   in Loop: Header=BB12_6395 Depth=2
	v_add_u32_e32 v2, v1, v0
	v_ashrrev_i32_e32 v3, 31, v2
	v_add_co_u32_e32 v0, vcc, v44, v2
	v_addc_co_u32_e32 v1, vcc, v45, v3, vcc
	v_add_co_u32_e32 v2, vcc, v2, v42
	v_addc_co_u32_e32 v3, vcc, v3, v43, vcc
	s_mov_b64 s[88:89], 0
	s_mov_b64 s[76:77], 0
                                        ; implicit-def: $sgpr78_sgpr79
                                        ; implicit-def: $vgpr6
	s_branch .LBB12_6514
.LBB12_6513:                            ;   in Loop: Header=BB12_6514 Depth=3
	s_or_b64 exec, exec, s[90:91]
	s_waitcnt lgkmcnt(0)
	flat_store_short v[0:1], v7 glc slc
	s_waitcnt vmcnt(0)
	v_add_co_u32_e32 v0, vcc, v0, v4
	v_addc_co_u32_e32 v1, vcc, v1, v5, vcc
	v_add_co_u32_e32 v2, vcc, v2, v4
	v_addc_co_u32_e32 v3, vcc, v3, v5, vcc
	;; [unrolled: 2-line block ×3, first 2 shown]
	v_sub_u32_e32 v4, v8, v9
	v_cmp_gt_i32_e32 vcc, 2, v4
	s_or_b64 s[76:77], vcc, s[76:77]
	s_andn2_b64 s[78:79], s[78:79], exec
	s_and_b64 s[90:91], s[88:89], exec
	s_or_b64 s[78:79], s[78:79], s[90:91]
	s_andn2_b64 exec, exec, s[76:77]
	s_cbranch_execz .LBB12_6518
.LBB12_6514:                            ;   Parent Loop BB12_47 Depth=1
                                        ;     Parent Loop BB12_6395 Depth=2
                                        ; =>    This Inner Loop Header: Depth=3
	flat_load_ushort v7, v[2:3] glc slc
	s_and_saveexec_b64 s[90:91], s[88:89]
	s_cbranch_execz .LBB12_6516
; %bb.6515:                             ;   in Loop: Header=BB12_6514 Depth=3
	buffer_load_dword v5, off, s[0:3], s33 offset:396 ; 4-byte Folded Reload
	s_waitcnt vmcnt(0)
	v_add_co_u32_e32 v8, vcc, v0, v5
	buffer_load_dword v5, off, s[0:3], s33 offset:400 ; 4-byte Folded Reload
	s_waitcnt vmcnt(0)
	v_addc_co_u32_e32 v9, vcc, v1, v5, vcc
	flat_store_short v[0:1], v6 glc slc
	v_mov_b32_e32 v0, v8
	v_mov_b32_e32 v1, v9
.LBB12_6516:                            ;   in Loop: Header=BB12_6514 Depth=3
	s_or_b64 exec, exec, s[90:91]
	buffer_load_dword v5, off, s[0:3], s33 offset:396 ; 4-byte Folded Reload
	v_mov_b32_e32 v9, 0
	s_waitcnt vmcnt(0)
	v_add_co_u32_e32 v2, vcc, v2, v5
	buffer_load_dword v5, off, s[0:3], s33 offset:400 ; 4-byte Folded Reload
	s_waitcnt vmcnt(0)
	v_addc_co_u32_e32 v3, vcc, v3, v5, vcc
	buffer_load_dword v5, off, s[0:3], s33 offset:280 ; 4-byte Folded Reload
	s_waitcnt vmcnt(0)
	v_sub_u32_e32 v8, v4, v5
	v_mov_b32_e32 v4, 0
	v_cmp_lt_i32_e64 s[88:89], 1, v8
	v_mov_b32_e32 v5, 0
	s_and_saveexec_b64 s[90:91], s[88:89]
	s_cbranch_execz .LBB12_6513
; %bb.6517:                             ;   in Loop: Header=BB12_6514 Depth=3
	flat_load_ushort v6, v[2:3] glc slc
	buffer_load_dword v9, off, s[0:3], s33 offset:280 ; 4-byte Folded Reload
	buffer_load_dword v4, off, s[0:3], s33 offset:388 ; 4-byte Folded Reload
	;; [unrolled: 1-line block ×3, first 2 shown]
	v_add_co_u32_e32 v2, vcc, 0x80, v2
	v_addc_co_u32_e32 v3, vcc, 0, v3, vcc
	s_branch .LBB12_6513
.LBB12_6518:                            ;   in Loop: Header=BB12_6395 Depth=2
	s_or_b64 exec, exec, s[76:77]
	s_and_b64 exec, exec, s[78:79]
	s_cbranch_execz .LBB12_6520
; %bb.6519:                             ;   in Loop: Header=BB12_6395 Depth=2
	flat_store_short v[0:1], v6 glc slc
.LBB12_6520:                            ;   in Loop: Header=BB12_6395 Depth=2
	s_or_b64 exec, exec, s[26:27]
	s_waitcnt vmcnt(0)
	v_cmp_lt_i32_e64 s[26:27], 0, v54
	s_and_saveexec_b64 s[76:77], s[10:11]
	s_cbranch_execz .LBB12_6466
.LBB12_6521:                            ;   in Loop: Header=BB12_6395 Depth=2
	s_and_saveexec_b64 s[78:79], s[56:57]
	s_xor_b64 s[78:79], exec, s[78:79]
	s_cbranch_execz .LBB12_6536
; %bb.6522:                             ;   in Loop: Header=BB12_6395 Depth=2
	s_and_saveexec_b64 s[88:89], s[16:17]
	s_cbranch_execz .LBB12_6535
; %bb.6523:                             ;   in Loop: Header=BB12_6395 Depth=2
	s_mov_b64 s[92:93], exec
	v_mbcnt_lo_u32_b32 v0, s92, 0
	v_mbcnt_hi_u32_b32 v0, s93, v0
	v_cmp_eq_u32_e32 vcc, 0, v0
	s_waitcnt vmcnt(0) lgkmcnt(0)
	buffer_wbinvl1_vol
	s_and_saveexec_b64 s[90:91], vcc
	s_cbranch_execz .LBB12_6525
; %bb.6524:                             ;   in Loop: Header=BB12_6395 Depth=2
	buffer_load_dword v1, off, s[0:3], s33 offset:128 ; 4-byte Folded Reload
	buffer_load_dword v2, off, s[0:3], s33 offset:132 ; 4-byte Folded Reload
	s_bcnt1_i32_b64 s9, s[92:93]
	v_mov_b32_e32 v0, s9
	s_waitcnt vmcnt(1)
	ds_add_u64 v0, v[0:1]
	s_trap 2
.LBB12_6525:                            ;   in Loop: Header=BB12_6395 Depth=2
	s_or_b64 exec, exec, s[90:91]
	s_trap 2
	ds_read_b64 v[0:1], v0
	s_waitcnt lgkmcnt(0)
	buffer_load_dword v2, off, s[0:3], s33 offset:152 ; 4-byte Folded Reload
	buffer_load_dword v3, off, s[0:3], s33 offset:160 ; 4-byte Folded Reload
	;; [unrolled: 1-line block ×3, first 2 shown]
	s_waitcnt vmcnt(1)
	v_add_co_u32_e32 v3, vcc, v3, v2
	s_waitcnt vmcnt(0)
	v_addc_co_u32_e32 v4, vcc, 0, v4, vcc
	buffer_store_dword v3, off, s[0:3], s33 offset:160 ; 4-byte Folded Spill
	s_nop 0
	buffer_store_dword v4, off, s[0:3], s33 offset:164 ; 4-byte Folded Spill
	v_cmp_lt_u64_e32 vcc, v[0:1], v[3:4]
	s_and_saveexec_b64 s[90:91], vcc
	s_cbranch_execz .LBB12_6534
; %bb.6526:                             ;   in Loop: Header=BB12_6395 Depth=2
	s_mov_b32 s9, 0
	s_mov_b64 s[92:93], 0
                                        ; implicit-def: $sgpr94_sgpr95
                                        ; implicit-def: $sgpr30_sgpr31
	s_branch .LBB12_6528
.LBB12_6527:                            ;   in Loop: Header=BB12_6528 Depth=3
	s_or_b64 exec, exec, s[36:37]
	s_and_b64 vcc, exec, vcc
	s_or_b64 s[92:93], vcc, s[92:93]
	s_andn2_b64 s[94:95], s[94:95], exec
	s_and_b64 vcc, s[30:31], exec
	s_or_b64 s[94:95], s[94:95], vcc
	s_andn2_b64 exec, exec, s[92:93]
	s_cbranch_execz .LBB12_6532
.LBB12_6528:                            ;   Parent Loop BB12_47 Depth=1
                                        ;     Parent Loop BB12_6395 Depth=2
                                        ; =>    This Inner Loop Header: Depth=3
	s_add_i32 s9, s9, 1
	s_cmpk_lg_i32 s9, 0x2710
	s_cselect_b64 s[34:35], -1, 0
	s_and_b64 vcc, exec, s[34:35]
	s_cbranch_vccz .LBB12_6530
; %bb.6529:                             ;   in Loop: Header=BB12_6528 Depth=3
	s_mov_b64 vcc, -1
	s_or_b64 s[30:31], s[30:31], exec
	s_and_saveexec_b64 s[36:37], s[34:35]
	s_cbranch_execz .LBB12_6527
	s_branch .LBB12_6531
.LBB12_6530:                            ;   in Loop: Header=BB12_6528 Depth=3
	s_trap 2
	ds_read_b64 v[0:1], v0
	s_andn2_b64 s[34:35], s[34:35], exec
	s_mov_b32 s9, 0
	s_waitcnt vmcnt(0) lgkmcnt(0)
	flat_load_dword v0, v[0:1] glc
	s_waitcnt vmcnt(0) lgkmcnt(0)
	buffer_wbinvl1_vol
	v_cmp_eq_u32_e32 vcc, 0, v0
	s_and_b64 vcc, vcc, exec
	s_or_b64 s[34:35], s[34:35], vcc
	s_mov_b64 vcc, -1
	s_or_b64 s[30:31], s[30:31], exec
	s_and_saveexec_b64 s[36:37], s[34:35]
	s_cbranch_execz .LBB12_6527
.LBB12_6531:                            ;   in Loop: Header=BB12_6528 Depth=3
	s_sleep 1
	s_trap 2
	ds_read_b64 v[0:1], v0
	s_waitcnt lgkmcnt(0)
	buffer_load_dword v2, off, s[0:3], s33 offset:160 ; 4-byte Folded Reload
	buffer_load_dword v3, off, s[0:3], s33 offset:164 ; 4-byte Folded Reload
	s_andn2_b64 s[30:31], s[30:31], exec
	s_waitcnt vmcnt(0)
	v_cmp_ge_u64_e32 vcc, v[0:1], v[2:3]
	s_orn2_b64 vcc, vcc, exec
	s_branch .LBB12_6527
.LBB12_6532:                            ;   in Loop: Header=BB12_6395 Depth=2
	s_or_b64 exec, exec, s[92:93]
	s_and_saveexec_b64 s[92:93], s[94:95]
	s_xor_b64 s[92:93], exec, s[92:93]
	s_cbranch_execz .LBB12_6534
; %bb.6533:                             ;   in Loop: Header=BB12_6395 Depth=2
	v_mov_b32_e32 v0, 1
	ds_write_b32 v0, v0
	s_trap 2
.LBB12_6534:                            ;   in Loop: Header=BB12_6395 Depth=2
	s_or_b64 exec, exec, s[90:91]
	;;#ASMSTART
	s_wakeup
	;;#ASMEND
.LBB12_6535:                            ;   in Loop: Header=BB12_6395 Depth=2
	s_or_b64 exec, exec, s[88:89]
.LBB12_6536:                            ;   in Loop: Header=BB12_6395 Depth=2
	s_andn2_saveexec_b64 s[78:79], s[78:79]
	s_cbranch_execz .LBB12_6538
; %bb.6537:                             ;   in Loop: Header=BB12_6395 Depth=2
	s_waitcnt vmcnt(0) lgkmcnt(0)
	buffer_wbinvl1_vol
	s_barrier
.LBB12_6538:                            ;   in Loop: Header=BB12_6395 Depth=2
	s_or_b64 exec, exec, s[78:79]
	s_or_b64 exec, exec, s[76:77]
	s_and_saveexec_b64 s[76:77], s[24:25]
	s_xor_b64 s[76:77], exec, s[76:77]
	s_cbranch_execnz .LBB12_6467
.LBB12_6539:                            ;   in Loop: Header=BB12_6395 Depth=2
	s_andn2_saveexec_b64 s[26:27], s[76:77]
	s_cbranch_execz .LBB12_6558
.LBB12_6540:                            ;   in Loop: Header=BB12_6395 Depth=2
	s_and_saveexec_b64 s[76:77], s[56:57]
	s_xor_b64 s[76:77], exec, s[76:77]
	s_cbranch_execz .LBB12_6555
; %bb.6541:                             ;   in Loop: Header=BB12_6395 Depth=2
	s_and_saveexec_b64 s[78:79], s[16:17]
	s_cbranch_execz .LBB12_6554
; %bb.6542:                             ;   in Loop: Header=BB12_6395 Depth=2
	s_mov_b64 s[90:91], exec
	v_mbcnt_lo_u32_b32 v0, s90, 0
	v_mbcnt_hi_u32_b32 v0, s91, v0
	v_cmp_eq_u32_e32 vcc, 0, v0
	;;#ASMSTART
	s_waitcnt lgkmcnt(0) vmcnt(0)
	;;#ASMEND
	s_and_saveexec_b64 s[88:89], vcc
	s_cbranch_execz .LBB12_6544
; %bb.6543:                             ;   in Loop: Header=BB12_6395 Depth=2
	buffer_load_dword v1, off, s[0:3], s33 offset:128 ; 4-byte Folded Reload
	buffer_load_dword v2, off, s[0:3], s33 offset:132 ; 4-byte Folded Reload
	s_bcnt1_i32_b64 s9, s[90:91]
	v_mov_b32_e32 v0, s9
	s_waitcnt vmcnt(0) lgkmcnt(0)
	ds_add_u64 v0, v[0:1]
	s_trap 2
.LBB12_6544:                            ;   in Loop: Header=BB12_6395 Depth=2
	s_or_b64 exec, exec, s[88:89]
	s_trap 2
	ds_read_b64 v[0:1], v0
	s_waitcnt lgkmcnt(0)
	buffer_load_dword v2, off, s[0:3], s33 offset:152 ; 4-byte Folded Reload
	buffer_load_dword v3, off, s[0:3], s33 offset:160 ; 4-byte Folded Reload
	;; [unrolled: 1-line block ×3, first 2 shown]
	s_waitcnt vmcnt(1)
	v_add_co_u32_e32 v3, vcc, v3, v2
	s_waitcnt vmcnt(0)
	v_addc_co_u32_e32 v4, vcc, 0, v4, vcc
	buffer_store_dword v3, off, s[0:3], s33 offset:160 ; 4-byte Folded Spill
	s_nop 0
	buffer_store_dword v4, off, s[0:3], s33 offset:164 ; 4-byte Folded Spill
	v_cmp_lt_u64_e32 vcc, v[0:1], v[3:4]
	s_and_saveexec_b64 s[88:89], vcc
	s_cbranch_execz .LBB12_6553
; %bb.6545:                             ;   in Loop: Header=BB12_6395 Depth=2
	s_mov_b32 s9, 0
	s_mov_b64 s[90:91], 0
                                        ; implicit-def: $sgpr92_sgpr93
                                        ; implicit-def: $sgpr94_sgpr95
	s_branch .LBB12_6547
.LBB12_6546:                            ;   in Loop: Header=BB12_6547 Depth=3
	s_or_b64 exec, exec, s[34:35]
	s_and_b64 vcc, exec, vcc
	s_or_b64 s[90:91], vcc, s[90:91]
	s_andn2_b64 s[92:93], s[92:93], exec
	s_and_b64 vcc, s[94:95], exec
	s_or_b64 s[92:93], s[92:93], vcc
	s_andn2_b64 exec, exec, s[90:91]
	s_cbranch_execz .LBB12_6551
.LBB12_6547:                            ;   Parent Loop BB12_47 Depth=1
                                        ;     Parent Loop BB12_6395 Depth=2
                                        ; =>    This Inner Loop Header: Depth=3
	s_add_i32 s9, s9, 1
	s_cmpk_lg_i32 s9, 0x2710
	s_cselect_b64 s[30:31], -1, 0
	s_and_b64 vcc, exec, s[30:31]
	s_cbranch_vccz .LBB12_6549
; %bb.6548:                             ;   in Loop: Header=BB12_6547 Depth=3
	s_mov_b64 vcc, -1
	s_or_b64 s[94:95], s[94:95], exec
	s_and_saveexec_b64 s[34:35], s[30:31]
	s_cbranch_execz .LBB12_6546
	s_branch .LBB12_6550
.LBB12_6549:                            ;   in Loop: Header=BB12_6547 Depth=3
	s_trap 2
	ds_read_b64 v[0:1], v0
	s_andn2_b64 s[30:31], s[30:31], exec
	s_mov_b32 s9, 0
	s_waitcnt vmcnt(0) lgkmcnt(0)
	flat_load_dword v0, v[0:1] glc
	s_waitcnt vmcnt(0) lgkmcnt(0)
	buffer_wbinvl1_vol
	v_cmp_eq_u32_e32 vcc, 0, v0
	s_and_b64 vcc, vcc, exec
	s_or_b64 s[30:31], s[30:31], vcc
	s_mov_b64 vcc, -1
	s_or_b64 s[94:95], s[94:95], exec
	s_and_saveexec_b64 s[34:35], s[30:31]
	s_cbranch_execz .LBB12_6546
.LBB12_6550:                            ;   in Loop: Header=BB12_6547 Depth=3
	s_sleep 1
	s_trap 2
	ds_read_b64 v[0:1], v0
	s_waitcnt lgkmcnt(0)
	buffer_load_dword v2, off, s[0:3], s33 offset:160 ; 4-byte Folded Reload
	buffer_load_dword v3, off, s[0:3], s33 offset:164 ; 4-byte Folded Reload
	s_andn2_b64 s[94:95], s[94:95], exec
	s_waitcnt vmcnt(0)
	v_cmp_ge_u64_e32 vcc, v[0:1], v[2:3]
	s_orn2_b64 vcc, vcc, exec
	s_branch .LBB12_6546
.LBB12_6551:                            ;   in Loop: Header=BB12_6395 Depth=2
	s_or_b64 exec, exec, s[90:91]
	s_and_saveexec_b64 s[90:91], s[92:93]
	s_xor_b64 s[90:91], exec, s[90:91]
	s_cbranch_execz .LBB12_6553
; %bb.6552:                             ;   in Loop: Header=BB12_6395 Depth=2
	v_mov_b32_e32 v0, 1
	ds_write_b32 v0, v0
	s_trap 2
.LBB12_6553:                            ;   in Loop: Header=BB12_6395 Depth=2
	s_or_b64 exec, exec, s[88:89]
	;;#ASMSTART
	s_wakeup
	;;#ASMEND
.LBB12_6554:                            ;   in Loop: Header=BB12_6395 Depth=2
	s_or_b64 exec, exec, s[78:79]
.LBB12_6555:                            ;   in Loop: Header=BB12_6395 Depth=2
	s_andn2_saveexec_b64 s[76:77], s[76:77]
	s_cbranch_execz .LBB12_6557
; %bb.6556:                             ;   in Loop: Header=BB12_6395 Depth=2
	;;#ASMSTART
	s_waitcnt lgkmcnt(0) vmcnt(0)
	;;#ASMEND
	s_waitcnt vmcnt(0) lgkmcnt(0)
	s_barrier
.LBB12_6557:                            ;   in Loop: Header=BB12_6395 Depth=2
	s_or_b64 exec, exec, s[76:77]
.LBB12_6558:                            ;   in Loop: Header=BB12_6395 Depth=2
	s_or_b64 exec, exec, s[26:27]
	buffer_load_dword v0, off, s[0:3], s33 offset:156 ; 4-byte Folded Reload
	s_waitcnt vmcnt(0)
	v_and_b32_e32 v0, 32, v0
	v_cmp_ne_u32_e32 vcc, 0, v0
	s_and_saveexec_b64 s[26:27], vcc
	s_cbranch_execz .LBB12_6394
; %bb.6559:                             ;   in Loop: Header=BB12_6395 Depth=2
	buffer_load_dword v2, off, s[0:3], s33 offset:256 ; 4-byte Folded Reload
	buffer_load_dword v3, off, s[0:3], s33 offset:260 ; 4-byte Folded Reload
	;; [unrolled: 1-line block ×4, first 2 shown]
	s_waitcnt vmcnt(0)
	v_add_co_u32_e32 v2, vcc, 2, v2
	v_addc_co_u32_e32 v3, vcc, 0, v3, vcc
	buffer_store_dword v2, off, s[0:3], s33 offset:256 ; 4-byte Folded Spill
	s_nop 0
	buffer_store_dword v3, off, s[0:3], s33 offset:260 ; 4-byte Folded Spill
	flat_store_dwordx2 v[0:1], v[2:3]
	s_branch .LBB12_6394
.LBB12_6560:                            ;   in Loop: Header=BB12_47 Depth=1
	s_or_b64 exec, exec, s[40:41]
.LBB12_6561:                            ;   in Loop: Header=BB12_47 Depth=1
	s_or_b64 exec, exec, s[28:29]
	v_cmp_gt_i32_e32 vcc, 2, v2
	s_and_saveexec_b64 s[28:29], vcc
	s_cbranch_execnz .LBB12_6562
; %bb.6674:                             ;   in Loop: Header=BB12_47 Depth=1
	s_getpc_b64 s[98:99]
.Lpost_getpc3:
	s_add_u32 s98, s98, (.LBB12_46-.Lpost_getpc3)&4294967295
	s_addc_u32 s99, s99, (.LBB12_46-.Lpost_getpc3)>>32
	s_setpc_b64 s[98:99]
.LBB12_6562:                            ;   in Loop: Header=BB12_47 Depth=1
	v_cmp_eq_u32_e64 s[42:43], 0, v2
	s_mov_b64 s[40:41], 0
	s_branch .LBB12_6564
.LBB12_6563:                            ;   in Loop: Header=BB12_6564 Depth=2
	s_or_b64 exec, exec, s[26:27]
	v_add_u32_e32 v53, v61, v53
	s_mov_b64 s[42:43], 0
	s_andn2_b64 exec, exec, s[40:41]
	s_cbranch_execnz .LBB12_6564
; %bb.6676:                             ;   in Loop: Header=BB12_47 Depth=1
	s_getpc_b64 s[98:99]
.Lpost_getpc4:
	s_add_u32 s98, s98, (.LBB12_45-.Lpost_getpc4)&4294967295
	s_addc_u32 s99, s99, (.LBB12_45-.Lpost_getpc4)>>32
	s_setpc_b64 s[98:99]
.LBB12_6564:                            ;   Parent Loop BB12_47 Depth=1
                                        ; =>  This Loop Header: Depth=2
                                        ;       Child Loop BB12_6570 Depth 3
                                        ;       Child Loop BB12_6594 Depth 3
	;; [unrolled: 1-line block ×3, first 2 shown]
	buffer_load_dword v0, off, s[0:3], s33 offset:156 ; 4-byte Folded Reload
	s_waitcnt vmcnt(0)
	v_and_b32_e32 v0, 4, v0
	v_cmp_ne_u32_e32 vcc, 0, v0
	s_and_saveexec_b64 s[76:77], vcc
	s_cbranch_execz .LBB12_6586
; %bb.6565:                             ;   in Loop: Header=BB12_6564 Depth=2
	buffer_load_dword v1, off, s[0:3], s33 offset:256 ; 4-byte Folded Reload
	buffer_load_dword v2, off, s[0:3], s33 offset:260 ; 4-byte Folded Reload
	;; [unrolled: 1-line block ×4, first 2 shown]
	s_waitcnt vmcnt(0)
	v_add_co_u32_e32 v1, vcc, 2, v1
	v_addc_co_u32_e32 v2, vcc, 0, v2, vcc
	v_cmp_lt_u64_e32 vcc, v[3:4], v[1:2]
	s_and_saveexec_b64 s[78:79], vcc
	s_cbranch_execz .LBB12_6577
; %bb.6566:                             ;   in Loop: Header=BB12_6564 Depth=2
	buffer_load_dword v0, off, s[0:3], s33 offset:156 ; 4-byte Folded Reload
	s_mov_b32 s9, 0
	s_mov_b64 s[88:89], 0
                                        ; implicit-def: $sgpr90_sgpr91
                                        ; implicit-def: $sgpr92_sgpr93
                                        ; implicit-def: $sgpr94_sgpr95
	s_waitcnt vmcnt(0)
	v_and_b32_e32 v0, 64, v0
	v_cmp_eq_u32_e32 vcc, 0, v0
	s_branch .LBB12_6570
.LBB12_6567:                            ;   in Loop: Header=BB12_6570 Depth=3
	buffer_load_dword v3, off, s[0:3], s33 offset:136 ; 4-byte Folded Reload
	buffer_load_dword v4, off, s[0:3], s33 offset:140 ; 4-byte Folded Reload
	s_or_b64 s[36:37], s[36:37], exec
	s_waitcnt vmcnt(0)
	v_cmp_ge_u64_e64 s[26:27], v[3:4], v[1:2]
	s_orn2_b64 s[34:35], s[26:27], exec
.LBB12_6568:                            ;   in Loop: Header=BB12_6570 Depth=3
	s_or_b64 exec, exec, s[48:49]
	s_andn2_b64 s[26:27], s[94:95], exec
	s_and_b64 s[94:95], s[36:37], exec
	s_or_b64 s[94:95], s[26:27], s[94:95]
	s_andn2_b64 s[26:27], s[92:93], exec
	s_and_b64 s[92:93], s[34:35], exec
	s_or_b64 s[92:93], s[26:27], s[92:93]
.LBB12_6569:                            ;   in Loop: Header=BB12_6570 Depth=3
	s_or_b64 exec, exec, s[30:31]
	s_and_b64 s[26:27], exec, s[92:93]
	s_or_b64 s[88:89], s[26:27], s[88:89]
	s_andn2_b64 s[26:27], s[90:91], exec
	s_and_b64 s[90:91], s[94:95], exec
	s_or_b64 s[90:91], s[26:27], s[90:91]
	s_andn2_b64 exec, exec, s[88:89]
	s_cbranch_execz .LBB12_6574
.LBB12_6570:                            ;   Parent Loop BB12_47 Depth=1
                                        ;     Parent Loop BB12_6564 Depth=2
                                        ; =>    This Inner Loop Header: Depth=3
	s_sleep 1
	buffer_load_dword v3, off, s[0:3], s33 offset:144 ; 4-byte Folded Reload
	buffer_load_dword v4, off, s[0:3], s33 offset:148 ; 4-byte Folded Reload
	s_or_b64 s[94:95], s[94:95], exec
	s_or_b64 s[92:93], s[92:93], exec
                                        ; implicit-def: $vgpr0
	s_waitcnt vmcnt(0)
	flat_load_dwordx2 v[3:4], v[3:4] glc
	s_waitcnt vmcnt(0) lgkmcnt(0)
	buffer_store_dword v3, off, s[0:3], s33 offset:136 ; 4-byte Folded Spill
	s_nop 0
	buffer_store_dword v4, off, s[0:3], s33 offset:140 ; 4-byte Folded Spill
	s_and_saveexec_b64 s[30:31], vcc
	s_cbranch_execz .LBB12_6569
; %bb.6571:                             ;   in Loop: Header=BB12_6570 Depth=3
	s_cmpk_lt_i32 s9, 0x270f
	s_cselect_b64 s[38:39], -1, 0
	s_cmpk_gt_i32 s9, 0x270e
	s_mov_b64 s[34:35], -1
	s_cbranch_scc0 .LBB12_6573
; %bb.6572:                             ;   in Loop: Header=BB12_6570 Depth=3
	s_trap 2
	ds_read_b64 v[3:4], v0
	s_andn2_b64 s[38:39], s[38:39], exec
	s_mov_b32 s9, 0
	s_mov_b64 s[36:37], 0
	s_waitcnt vmcnt(0) lgkmcnt(0)
	flat_load_dword v0, v[3:4] glc
	s_waitcnt vmcnt(0) lgkmcnt(0)
	buffer_wbinvl1_vol
	v_cmp_eq_u32_e64 s[26:27], 0, v0
	s_and_b64 s[26:27], s[26:27], exec
	s_or_b64 s[38:39], s[38:39], s[26:27]
	s_and_saveexec_b64 s[48:49], s[38:39]
	s_cbranch_execz .LBB12_6568
	s_branch .LBB12_6567
.LBB12_6573:                            ;   in Loop: Header=BB12_6570 Depth=3
	s_add_i32 s9, s9, 1
	s_mov_b64 s[36:37], -1
                                        ; implicit-def: $vgpr0
	s_and_saveexec_b64 s[48:49], s[38:39]
	s_cbranch_execz .LBB12_6568
	s_branch .LBB12_6567
.LBB12_6574:                            ;   in Loop: Header=BB12_6564 Depth=2
	s_or_b64 exec, exec, s[88:89]
	s_xor_b64 s[26:27], s[90:91], -1
	s_and_saveexec_b64 s[88:89], s[26:27]
	s_xor_b64 s[26:27], exec, s[88:89]
	s_cbranch_execz .LBB12_6576
; %bb.6575:                             ;   in Loop: Header=BB12_6564 Depth=2
	ds_write_b32 v0, v0
	s_trap 2
	buffer_load_dword v0, off, s[0:3], s33 offset:156 ; 4-byte Folded Reload
	s_waitcnt vmcnt(0)
	v_or_b32_e32 v0, 64, v0
	buffer_store_dword v0, off, s[0:3], s33 offset:156 ; 4-byte Folded Spill
.LBB12_6576:                            ;   in Loop: Header=BB12_6564 Depth=2
	s_or_b64 exec, exec, s[26:27]
.LBB12_6577:                            ;   in Loop: Header=BB12_6564 Depth=2
	s_or_b64 exec, exec, s[78:79]
	;;#ASMSTART
	s_wakeup
	;;#ASMEND
	buffer_load_dword v0, off, s[0:3], s33 offset:156 ; 4-byte Folded Reload
	buffer_load_dword v3, off, s[0:3], s33 offset:256 ; 4-byte Folded Reload
	;; [unrolled: 1-line block ×3, first 2 shown]
	s_mov_b64 s[26:27], -1
	s_waitcnt vmcnt(0)
	v_and_b32_e32 v0, 0x100, v0
	v_cmp_ne_u32_e32 vcc, 0, v0
	v_and_b32_e32 v0, 7, v3
                                        ; implicit-def: $vgpr3_vgpr4
	s_and_saveexec_b64 s[78:79], vcc
	s_cbranch_execz .LBB12_6581
; %bb.6578:                             ;   in Loop: Header=BB12_6564 Depth=2
	buffer_load_dword v3, off, s[0:3], s33 offset:532 ; 4-byte Folded Reload
	buffer_load_dword v4, off, s[0:3], s33 offset:536 ; 4-byte Folded Reload
	;; [unrolled: 1-line block ×4, first 2 shown]
	s_waitcnt vmcnt(0)
	v_mad_u64_u32 v[5:6], s[26:27], v0, 24, v[3:4]
	flat_load_dword v3, v[5:6]
	s_waitcnt vmcnt(0) lgkmcnt(0)
	v_cmp_ne_u32_e32 vcc, 1, v3
	v_cmp_eq_u32_e64 s[26:27], 1, v3
                                        ; implicit-def: $vgpr3_vgpr4
	s_and_saveexec_b64 s[88:89], s[26:27]
	s_cbranch_execz .LBB12_6580
; %bb.6579:                             ;   in Loop: Header=BB12_6564 Depth=2
	flat_load_dword v3, v[5:6] offset:4 glc
	s_waitcnt vmcnt(0) lgkmcnt(0)
	v_ashrrev_i32_e32 v4, 31, v3
	v_lshrrev_b64 v[3:4], 1, v[3:4]
.LBB12_6580:                            ;   in Loop: Header=BB12_6564 Depth=2
	s_or_b64 exec, exec, s[88:89]
	s_orn2_b64 s[26:27], vcc, exec
.LBB12_6581:                            ;   in Loop: Header=BB12_6564 Depth=2
	s_or_b64 exec, exec, s[78:79]
	s_and_saveexec_b64 s[78:79], s[26:27]
	s_cbranch_execz .LBB12_6583
; %bb.6582:                             ;   in Loop: Header=BB12_6564 Depth=2
	buffer_load_dword v3, off, s[0:3], s33 offset:564 ; 4-byte Folded Reload
	s_waitcnt vmcnt(0)
	v_mad_i64_i32 v[3:4], s[26:27], v0, v3, 0
.LBB12_6583:                            ;   in Loop: Header=BB12_6564 Depth=2
	s_or_b64 exec, exec, s[78:79]
	buffer_load_dword v5, off, s[0:3], s33 offset:524 ; 4-byte Folded Reload
	buffer_load_dword v6, off, s[0:3], s33 offset:528 ; 4-byte Folded Reload
	v_lshlrev_b64 v[3:4], 1, v[3:4]
	s_waitcnt vmcnt(0)
	v_add_co_u32_e32 v3, vcc, v5, v3
	v_addc_co_u32_e32 v4, vcc, v6, v4, vcc
	ds_write_b64 v0, v[3:4] offset:720
	buffer_load_dword v0, off, s[0:3], s33 offset:156 ; 4-byte Folded Reload
	s_waitcnt vmcnt(0)
	v_and_b32_e32 v0, 0x2000, v0
	v_cmp_ne_u32_e32 vcc, 0, v0
	s_and_saveexec_b64 s[26:27], vcc
	s_cbranch_execz .LBB12_6585
; %bb.6584:                             ;   in Loop: Header=BB12_6564 Depth=2
	ds_read_b64 v[3:4], v0 offset:872
	s_waitcnt lgkmcnt(0)
	v_add_co_u32_e32 v3, vcc, 1, v3
	v_addc_co_u32_e32 v4, vcc, 0, v4, vcc
	ds_write_b64 v0, v[3:4] offset:872
.LBB12_6585:                            ;   in Loop: Header=BB12_6564 Depth=2
	s_or_b64 exec, exec, s[26:27]
	buffer_store_dword v1, off, s[0:3], s33 offset:256 ; 4-byte Folded Spill
	s_nop 0
	buffer_store_dword v2, off, s[0:3], s33 offset:260 ; 4-byte Folded Spill
.LBB12_6586:                            ;   in Loop: Header=BB12_6564 Depth=2
	s_or_b64 exec, exec, s[76:77]
	s_xor_b64 s[26:27], s[42:43], -1
	s_and_b64 s[26:27], exec, s[26:27]
	s_or_b64 s[40:41], s[26:27], s[40:41]
	s_and_saveexec_b64 s[26:27], s[10:11]
	s_cbranch_execz .LBB12_6605
; %bb.6587:                             ;   in Loop: Header=BB12_6564 Depth=2
	s_and_saveexec_b64 s[42:43], s[56:57]
	s_xor_b64 s[42:43], exec, s[42:43]
	s_cbranch_execz .LBB12_6602
; %bb.6588:                             ;   in Loop: Header=BB12_6564 Depth=2
	s_and_saveexec_b64 s[76:77], s[16:17]
	s_cbranch_execz .LBB12_6601
; %bb.6589:                             ;   in Loop: Header=BB12_6564 Depth=2
	s_mov_b64 s[88:89], exec
	v_mbcnt_lo_u32_b32 v0, s88, 0
	v_mbcnt_hi_u32_b32 v0, s89, v0
	v_cmp_eq_u32_e32 vcc, 0, v0
	s_waitcnt vmcnt(0) lgkmcnt(0)
	buffer_wbinvl1_vol
	s_and_saveexec_b64 s[78:79], vcc
	s_cbranch_execz .LBB12_6591
; %bb.6590:                             ;   in Loop: Header=BB12_6564 Depth=2
	buffer_load_dword v1, off, s[0:3], s33 offset:128 ; 4-byte Folded Reload
	buffer_load_dword v2, off, s[0:3], s33 offset:132 ; 4-byte Folded Reload
	s_bcnt1_i32_b64 s9, s[88:89]
	v_mov_b32_e32 v0, s9
	s_waitcnt vmcnt(1)
	ds_add_u64 v0, v[0:1]
	s_trap 2
.LBB12_6591:                            ;   in Loop: Header=BB12_6564 Depth=2
	s_or_b64 exec, exec, s[78:79]
	s_trap 2
	ds_read_b64 v[0:1], v0
	s_waitcnt lgkmcnt(0)
	buffer_load_dword v2, off, s[0:3], s33 offset:152 ; 4-byte Folded Reload
	buffer_load_dword v3, off, s[0:3], s33 offset:160 ; 4-byte Folded Reload
	;; [unrolled: 1-line block ×3, first 2 shown]
	s_waitcnt vmcnt(1)
	v_add_co_u32_e32 v3, vcc, v3, v2
	s_waitcnt vmcnt(0)
	v_addc_co_u32_e32 v4, vcc, 0, v4, vcc
	buffer_store_dword v3, off, s[0:3], s33 offset:160 ; 4-byte Folded Spill
	s_nop 0
	buffer_store_dword v4, off, s[0:3], s33 offset:164 ; 4-byte Folded Spill
	v_cmp_lt_u64_e32 vcc, v[0:1], v[3:4]
	s_and_saveexec_b64 s[78:79], vcc
	s_cbranch_execz .LBB12_6600
; %bb.6592:                             ;   in Loop: Header=BB12_6564 Depth=2
	s_mov_b32 s9, 0
	s_mov_b64 s[88:89], 0
                                        ; implicit-def: $sgpr90_sgpr91
                                        ; implicit-def: $sgpr92_sgpr93
	s_branch .LBB12_6594
.LBB12_6593:                            ;   in Loop: Header=BB12_6594 Depth=3
	s_or_b64 exec, exec, s[30:31]
	s_and_b64 s[94:95], exec, vcc
	s_or_b64 s[88:89], s[94:95], s[88:89]
	s_andn2_b64 s[90:91], s[90:91], exec
	s_and_b64 s[94:95], s[92:93], exec
	s_or_b64 s[90:91], s[90:91], s[94:95]
	s_andn2_b64 exec, exec, s[88:89]
	s_cbranch_execz .LBB12_6598
.LBB12_6594:                            ;   Parent Loop BB12_47 Depth=1
                                        ;     Parent Loop BB12_6564 Depth=2
                                        ; =>    This Inner Loop Header: Depth=3
	s_add_i32 s9, s9, 1
	s_cmpk_lg_i32 s9, 0x2710
	s_cselect_b64 s[94:95], -1, 0
	s_and_b64 vcc, exec, s[94:95]
	s_cbranch_vccz .LBB12_6596
; %bb.6595:                             ;   in Loop: Header=BB12_6594 Depth=3
	s_mov_b64 vcc, -1
	s_or_b64 s[92:93], s[92:93], exec
	s_and_saveexec_b64 s[30:31], s[94:95]
	s_cbranch_execz .LBB12_6593
	s_branch .LBB12_6597
.LBB12_6596:                            ;   in Loop: Header=BB12_6594 Depth=3
	s_trap 2
	ds_read_b64 v[0:1], v0
	s_andn2_b64 s[94:95], s[94:95], exec
	s_mov_b32 s9, 0
	s_waitcnt vmcnt(0) lgkmcnt(0)
	flat_load_dword v0, v[0:1] glc
	s_waitcnt vmcnt(0) lgkmcnt(0)
	buffer_wbinvl1_vol
	v_cmp_eq_u32_e32 vcc, 0, v0
	s_and_b64 vcc, vcc, exec
	s_or_b64 s[94:95], s[94:95], vcc
	s_mov_b64 vcc, -1
	s_or_b64 s[92:93], s[92:93], exec
	s_and_saveexec_b64 s[30:31], s[94:95]
	s_cbranch_execz .LBB12_6593
.LBB12_6597:                            ;   in Loop: Header=BB12_6594 Depth=3
	s_sleep 1
	s_trap 2
	ds_read_b64 v[0:1], v0
	s_waitcnt lgkmcnt(0)
	buffer_load_dword v2, off, s[0:3], s33 offset:160 ; 4-byte Folded Reload
	buffer_load_dword v3, off, s[0:3], s33 offset:164 ; 4-byte Folded Reload
	s_andn2_b64 s[92:93], s[92:93], exec
	s_waitcnt vmcnt(0)
	v_cmp_ge_u64_e32 vcc, v[0:1], v[2:3]
	s_orn2_b64 vcc, vcc, exec
	s_branch .LBB12_6593
.LBB12_6598:                            ;   in Loop: Header=BB12_6564 Depth=2
	s_or_b64 exec, exec, s[88:89]
	s_and_saveexec_b64 s[88:89], s[90:91]
	s_xor_b64 s[88:89], exec, s[88:89]
	s_cbranch_execz .LBB12_6600
; %bb.6599:                             ;   in Loop: Header=BB12_6564 Depth=2
	v_mov_b32_e32 v0, 1
	ds_write_b32 v0, v0
	s_trap 2
.LBB12_6600:                            ;   in Loop: Header=BB12_6564 Depth=2
	s_or_b64 exec, exec, s[78:79]
	;;#ASMSTART
	s_wakeup
	;;#ASMEND
.LBB12_6601:                            ;   in Loop: Header=BB12_6564 Depth=2
	s_or_b64 exec, exec, s[76:77]
.LBB12_6602:                            ;   in Loop: Header=BB12_6564 Depth=2
	s_andn2_saveexec_b64 s[42:43], s[42:43]
	s_cbranch_execz .LBB12_6604
; %bb.6603:                             ;   in Loop: Header=BB12_6564 Depth=2
	s_waitcnt vmcnt(0) lgkmcnt(0)
	buffer_wbinvl1_vol
	s_barrier
.LBB12_6604:                            ;   in Loop: Header=BB12_6564 Depth=2
	s_or_b64 exec, exec, s[42:43]
.LBB12_6605:                            ;   in Loop: Header=BB12_6564 Depth=2
	s_or_b64 exec, exec, s[26:27]
	v_sub_u32_e32 v0, v52, v53
	v_min_i32_e32 v61, v61, v0
	s_and_saveexec_b64 s[26:27], s[24:25]
	s_xor_b64 s[26:27], exec, s[26:27]
	s_cbranch_execz .LBB12_6609
; %bb.6606:                             ;   in Loop: Header=BB12_6564 Depth=2
	s_trap 2
	ds_read_b32 v0, v0
	v_cmp_lt_i32_e32 vcc, 0, v61
	s_waitcnt lgkmcnt(0)
	v_readfirstlane_b32 s9, v0
	buffer_load_dword v0, off, s[0:3], s33 offset:156 ; 4-byte Folded Reload
	s_cmp_eq_u32 s9, 0
	s_cselect_b64 s[42:43], -1, 0
	s_and_b64 s[42:43], vcc, s[42:43]
	s_waitcnt vmcnt(0)
	v_and_b32_e32 v0, 16, v0
	v_cmp_ne_u32_e32 vcc, 0, v0
	s_and_b64 s[76:77], vcc, s[42:43]
	s_and_saveexec_b64 s[42:43], s[76:77]
	s_cbranch_execz .LBB12_6608
; %bb.6607:                             ;   in Loop: Header=BB12_6564 Depth=2
	buffer_wbinvl1_vol
.LBB12_6608:                            ;   in Loop: Header=BB12_6564 Depth=2
	s_or_b64 exec, exec, s[42:43]
.LBB12_6609:                            ;   in Loop: Header=BB12_6564 Depth=2
	s_andn2_saveexec_b64 s[26:27], s[26:27]
	s_cbranch_execz .LBB12_6628
; %bb.6610:                             ;   in Loop: Header=BB12_6564 Depth=2
	s_and_saveexec_b64 s[42:43], s[56:57]
	s_xor_b64 s[42:43], exec, s[42:43]
	s_cbranch_execz .LBB12_6625
; %bb.6611:                             ;   in Loop: Header=BB12_6564 Depth=2
	s_and_saveexec_b64 s[76:77], s[16:17]
	s_cbranch_execz .LBB12_6624
; %bb.6612:                             ;   in Loop: Header=BB12_6564 Depth=2
	s_mov_b64 s[88:89], exec
	v_mbcnt_lo_u32_b32 v0, s88, 0
	v_mbcnt_hi_u32_b32 v0, s89, v0
	v_cmp_eq_u32_e32 vcc, 0, v0
	;;#ASMSTART
	s_waitcnt lgkmcnt(0) vmcnt(0)
	;;#ASMEND
	s_and_saveexec_b64 s[78:79], vcc
	s_cbranch_execz .LBB12_6614
; %bb.6613:                             ;   in Loop: Header=BB12_6564 Depth=2
	buffer_load_dword v1, off, s[0:3], s33 offset:128 ; 4-byte Folded Reload
	buffer_load_dword v2, off, s[0:3], s33 offset:132 ; 4-byte Folded Reload
	s_bcnt1_i32_b64 s9, s[88:89]
	v_mov_b32_e32 v0, s9
	s_waitcnt vmcnt(0) lgkmcnt(0)
	ds_add_u64 v0, v[0:1]
	s_trap 2
.LBB12_6614:                            ;   in Loop: Header=BB12_6564 Depth=2
	s_or_b64 exec, exec, s[78:79]
	s_trap 2
	ds_read_b64 v[0:1], v0
	s_waitcnt lgkmcnt(0)
	buffer_load_dword v2, off, s[0:3], s33 offset:152 ; 4-byte Folded Reload
	buffer_load_dword v3, off, s[0:3], s33 offset:160 ; 4-byte Folded Reload
	;; [unrolled: 1-line block ×3, first 2 shown]
	s_waitcnt vmcnt(1)
	v_add_co_u32_e32 v3, vcc, v3, v2
	s_waitcnt vmcnt(0)
	v_addc_co_u32_e32 v4, vcc, 0, v4, vcc
	buffer_store_dword v3, off, s[0:3], s33 offset:160 ; 4-byte Folded Spill
	s_nop 0
	buffer_store_dword v4, off, s[0:3], s33 offset:164 ; 4-byte Folded Spill
	v_cmp_lt_u64_e32 vcc, v[0:1], v[3:4]
	s_and_saveexec_b64 s[78:79], vcc
	s_cbranch_execz .LBB12_6623
; %bb.6615:                             ;   in Loop: Header=BB12_6564 Depth=2
	s_mov_b32 s9, 0
	s_mov_b64 s[88:89], 0
                                        ; implicit-def: $sgpr90_sgpr91
                                        ; implicit-def: $sgpr92_sgpr93
	s_branch .LBB12_6617
.LBB12_6616:                            ;   in Loop: Header=BB12_6617 Depth=3
	s_or_b64 exec, exec, s[30:31]
	s_and_b64 s[94:95], exec, vcc
	s_or_b64 s[88:89], s[94:95], s[88:89]
	s_andn2_b64 s[90:91], s[90:91], exec
	s_and_b64 s[94:95], s[92:93], exec
	s_or_b64 s[90:91], s[90:91], s[94:95]
	s_andn2_b64 exec, exec, s[88:89]
	s_cbranch_execz .LBB12_6621
.LBB12_6617:                            ;   Parent Loop BB12_47 Depth=1
                                        ;     Parent Loop BB12_6564 Depth=2
                                        ; =>    This Inner Loop Header: Depth=3
	s_add_i32 s9, s9, 1
	s_cmpk_lg_i32 s9, 0x2710
	s_cselect_b64 s[94:95], -1, 0
	s_and_b64 vcc, exec, s[94:95]
	s_cbranch_vccz .LBB12_6619
; %bb.6618:                             ;   in Loop: Header=BB12_6617 Depth=3
	s_mov_b64 vcc, -1
	s_or_b64 s[92:93], s[92:93], exec
	s_and_saveexec_b64 s[30:31], s[94:95]
	s_cbranch_execz .LBB12_6616
	s_branch .LBB12_6620
.LBB12_6619:                            ;   in Loop: Header=BB12_6617 Depth=3
	s_trap 2
	ds_read_b64 v[0:1], v0
	s_andn2_b64 s[94:95], s[94:95], exec
	s_mov_b32 s9, 0
	s_waitcnt vmcnt(0) lgkmcnt(0)
	flat_load_dword v0, v[0:1] glc
	s_waitcnt vmcnt(0) lgkmcnt(0)
	buffer_wbinvl1_vol
	v_cmp_eq_u32_e32 vcc, 0, v0
	s_and_b64 vcc, vcc, exec
	s_or_b64 s[94:95], s[94:95], vcc
	s_mov_b64 vcc, -1
	s_or_b64 s[92:93], s[92:93], exec
	s_and_saveexec_b64 s[30:31], s[94:95]
	s_cbranch_execz .LBB12_6616
.LBB12_6620:                            ;   in Loop: Header=BB12_6617 Depth=3
	s_sleep 1
	s_trap 2
	ds_read_b64 v[0:1], v0
	s_waitcnt lgkmcnt(0)
	buffer_load_dword v2, off, s[0:3], s33 offset:160 ; 4-byte Folded Reload
	buffer_load_dword v3, off, s[0:3], s33 offset:164 ; 4-byte Folded Reload
	s_andn2_b64 s[92:93], s[92:93], exec
	s_waitcnt vmcnt(0)
	v_cmp_ge_u64_e32 vcc, v[0:1], v[2:3]
	s_orn2_b64 vcc, vcc, exec
	s_branch .LBB12_6616
.LBB12_6621:                            ;   in Loop: Header=BB12_6564 Depth=2
	s_or_b64 exec, exec, s[88:89]
	s_and_saveexec_b64 s[88:89], s[90:91]
	s_xor_b64 s[88:89], exec, s[88:89]
	s_cbranch_execz .LBB12_6623
; %bb.6622:                             ;   in Loop: Header=BB12_6564 Depth=2
	v_mov_b32_e32 v0, 1
	ds_write_b32 v0, v0
	s_trap 2
.LBB12_6623:                            ;   in Loop: Header=BB12_6564 Depth=2
	s_or_b64 exec, exec, s[78:79]
	;;#ASMSTART
	s_wakeup
	;;#ASMEND
.LBB12_6624:                            ;   in Loop: Header=BB12_6564 Depth=2
	s_or_b64 exec, exec, s[76:77]
.LBB12_6625:                            ;   in Loop: Header=BB12_6564 Depth=2
	s_andn2_saveexec_b64 s[42:43], s[42:43]
	s_cbranch_execz .LBB12_6627
; %bb.6626:                             ;   in Loop: Header=BB12_6564 Depth=2
	;;#ASMSTART
	s_waitcnt lgkmcnt(0) vmcnt(0)
	;;#ASMEND
	s_waitcnt vmcnt(0) lgkmcnt(0)
	s_barrier
.LBB12_6627:                            ;   in Loop: Header=BB12_6564 Depth=2
	s_or_b64 exec, exec, s[42:43]
.LBB12_6628:                            ;   in Loop: Header=BB12_6564 Depth=2
	s_or_b64 exec, exec, s[26:27]
	buffer_load_dword v0, off, s[0:3], s33 offset:156 ; 4-byte Folded Reload
	s_waitcnt vmcnt(0)
	v_and_b32_e32 v0, 32, v0
	v_cmp_ne_u32_e32 vcc, 0, v0
	s_and_saveexec_b64 s[26:27], vcc
	s_cbranch_execz .LBB12_6563
; %bb.6629:                             ;   in Loop: Header=BB12_6564 Depth=2
	buffer_load_dword v2, off, s[0:3], s33 offset:256 ; 4-byte Folded Reload
	buffer_load_dword v3, off, s[0:3], s33 offset:260 ; 4-byte Folded Reload
	;; [unrolled: 1-line block ×4, first 2 shown]
	s_waitcnt vmcnt(0)
	v_add_co_u32_e32 v2, vcc, 2, v2
	v_addc_co_u32_e32 v3, vcc, 0, v3, vcc
	buffer_store_dword v2, off, s[0:3], s33 offset:256 ; 4-byte Folded Spill
	s_nop 0
	buffer_store_dword v3, off, s[0:3], s33 offset:260 ; 4-byte Folded Spill
	flat_store_dwordx2 v[0:1], v[2:3]
	s_branch .LBB12_6563
.LBB12_6630:
	s_or_b64 exec, exec, s[58:59]
	v_readlane_b32 s28, v62, 4
	v_readlane_b32 s29, v62, 5
.LBB12_6631:
	v_readlane_b32 s4, v62, 2
	v_readlane_b32 s5, v62, 3
	s_or_b64 exec, exec, s[4:5]
	buffer_load_dword v1, off, s[0:3], s33 offset:156 ; 4-byte Folded Reload
	s_waitcnt vmcnt(0)
	v_and_b32_e32 v0, 0x800, v1
	v_cmp_eq_u32_e32 vcc, 0, v0
	s_and_saveexec_b64 s[6:7], vcc
	s_cbranch_execz .LBB12_6664
; %bb.6632:
	v_and_b32_e32 v0, 48, v1
	v_cmp_ne_u32_e32 vcc, 0, v0
	s_and_saveexec_b64 s[4:5], vcc
	s_cbranch_execz .LBB12_6634
; %bb.6633:
	buffer_load_dword v0, off, s[0:3], s33 offset:768 ; 4-byte Folded Reload
	buffer_load_dword v1, off, s[0:3], s33 offset:772 ; 4-byte Folded Reload
	;; [unrolled: 1-line block ×4, first 2 shown]
	s_waitcnt vmcnt(0)
	flat_store_dwordx2 v[0:1], v[2:3] offset:104
.LBB12_6634:
	s_or_b64 exec, exec, s[4:5]
	buffer_load_dword v5, off, s[0:3], s33 offset:156 ; 4-byte Folded Reload
	s_movk_i32 s4, 0x88
	s_waitcnt vmcnt(0)
	v_and_b32_e32 v0, 0x88, v5
	v_cmp_eq_u32_e32 vcc, s4, v0
	s_and_saveexec_b64 s[10:11], vcc
	s_cbranch_execz .LBB12_6644
; %bb.6635:
	buffer_load_dword v0, off, s[0:3], s33 offset:256 ; 4-byte Folded Reload
	buffer_load_dword v1, off, s[0:3], s33 offset:260 ; 4-byte Folded Reload
	;; [unrolled: 1-line block ×6, first 2 shown]
	s_waitcnt vmcnt(0)
	v_and_b32_e32 v4, 64, v5
	s_mov_b32 s8, 0
	v_add_u32_e32 v0, 6, v0
	v_and_b32_e32 v0, 7, v0
	v_mad_u64_u32 v[0:1], s[4:5], v0, 24, v[1:2]
	v_cmp_eq_u32_e64 s[4:5], 0, v4
	flat_load_dwordx2 v[2:3], v[0:1] offset:8 glc
	s_waitcnt vmcnt(0) lgkmcnt(0)
	v_cmp_ne_u64_e32 vcc, -1, v[2:3]
	s_and_b64 s[4:5], vcc, s[4:5]
	s_and_b64 exec, exec, s[4:5]
	s_cbranch_execz .LBB12_6644
; %bb.6636:
	s_mov_b64 s[4:5], 0
                                        ; implicit-def: $sgpr12_sgpr13
                                        ; implicit-def: $sgpr14_sgpr15
	s_branch .LBB12_6639
.LBB12_6637:                            ;   in Loop: Header=BB12_6639 Depth=1
	flat_load_dwordx2 v[3:4], v[0:1] offset:8 glc
	s_waitcnt vmcnt(0)
	s_andn2_b64 s[14:15], s[14:15], exec
	s_waitcnt lgkmcnt(0)
	v_cmp_eq_u64_e32 vcc, -1, v[3:4]
	s_orn2_b64 s[18:19], vcc, exec
.LBB12_6638:                            ;   in Loop: Header=BB12_6639 Depth=1
	s_or_b64 exec, exec, s[20:21]
	s_and_b64 s[16:17], exec, s[18:19]
	s_or_b64 s[4:5], s[16:17], s[4:5]
	s_andn2_b64 s[12:13], s[12:13], exec
	s_and_b64 s[16:17], s[14:15], exec
	s_or_b64 s[12:13], s[12:13], s[16:17]
	s_andn2_b64 exec, exec, s[4:5]
	s_cbranch_execz .LBB12_6642
.LBB12_6639:                            ; =>This Inner Loop Header: Depth=1
	s_cmpk_lt_i32 s8, 0x270f
	s_cselect_b64 s[16:17], -1, 0
	s_and_b64 vcc, exec, s[16:17]
	s_cbranch_vccnz .LBB12_6641
; %bb.6640:                             ;   in Loop: Header=BB12_6639 Depth=1
	s_trap 2
	ds_read_b64 v[2:3], v0
	s_andn2_b64 s[16:17], s[16:17], exec
	s_mov_b32 s8, 0
	s_waitcnt lgkmcnt(0)
	flat_load_dword v2, v[2:3] glc
	s_waitcnt vmcnt(0) lgkmcnt(0)
	buffer_wbinvl1_vol
	v_cmp_eq_u32_e32 vcc, 0, v2
	s_and_b64 s[18:19], vcc, exec
	s_or_b64 s[16:17], s[16:17], s[18:19]
	s_mov_b64 s[18:19], -1
	s_or_b64 s[14:15], s[14:15], exec
	s_and_saveexec_b64 s[20:21], s[16:17]
	s_cbranch_execz .LBB12_6638
	s_branch .LBB12_6637
.LBB12_6641:                            ;   in Loop: Header=BB12_6639 Depth=1
	s_add_i32 s8, s8, 1
                                        ; implicit-def: $vgpr2
	s_mov_b64 s[18:19], -1
	s_or_b64 s[14:15], s[14:15], exec
	s_and_saveexec_b64 s[20:21], s[16:17]
	s_cbranch_execz .LBB12_6638
	s_branch .LBB12_6637
.LBB12_6642:
	s_or_b64 exec, exec, s[4:5]
	s_mov_b64 s[4:5], exec
	buffer_load_dword v5, off, s[0:3], s33 offset:156 ; 4-byte Folded Reload
	s_and_b64 s[8:9], s[4:5], s[12:13]
	s_xor_b64 s[4:5], s[8:9], s[4:5]
	s_mov_b64 exec, s[8:9]
	s_cbranch_execz .LBB12_6644
; %bb.6643:
	ds_write_b32 v0, v2
	s_trap 2
.LBB12_6644:
	s_or_b64 exec, exec, s[10:11]
	s_waitcnt vmcnt(0)
	v_and_b32_e32 v0, 0x2000, v5
	v_cmp_ne_u32_e32 vcc, 0, v0
	s_and_saveexec_b64 s[4:5], vcc
	s_cbranch_execz .LBB12_6646
; %bb.6645:
	s_trap 2
	ds_read_b64 v[0:1], v0
	buffer_load_dword v2, off, s[0:3], s33 offset:784 ; 4-byte Folded Reload
	buffer_load_dword v3, off, s[0:3], s33 offset:788 ; 4-byte Folded Reload
	s_waitcnt vmcnt(0) lgkmcnt(0)
	flat_store_dwordx2 v[2:3], v[0:1] offset:16
.LBB12_6646:
	s_or_b64 exec, exec, s[4:5]
	buffer_load_dword v0, off, s[0:3], s33 offset:764 ; 4-byte Folded Reload
	s_waitcnt vmcnt(0)
	v_cmp_ne_u32_e32 vcc, 64, v0
	s_and_b64 exec, exec, vcc
	s_cbranch_execz .LBB12_6664
; %bb.6647:
	buffer_load_dword v0, off, s[0:3], s33 offset:764 ; 4-byte Folded Reload
	buffer_load_dword v1, off, s[0:3], s33 offset:780 ; 4-byte Folded Reload
	s_waitcnt vmcnt(0)
	v_cmp_ne_u32_sdwa s[4:5], v0, v1 src0_sel:DWORD src1_sel:WORD_0
	s_and_saveexec_b64 s[8:9], s[4:5]
	s_xor_b64 s[4:5], exec, s[8:9]
	s_cbranch_execz .LBB12_6662
; %bb.6648:
	buffer_load_dword v0, off, s[0:3], s33 offset:776 ; 4-byte Folded Reload
	s_waitcnt vmcnt(0)
	v_and_b32_e32 v0, 63, v0
	v_cmp_eq_u32_e32 vcc, 0, v0
	s_and_saveexec_b64 s[10:11], vcc
	s_cbranch_execz .LBB12_6661
; %bb.6649:
	s_mov_b64 s[14:15], exec
	v_mbcnt_lo_u32_b32 v0, s14, 0
	v_mbcnt_hi_u32_b32 v0, s15, v0
	v_cmp_eq_u32_e32 vcc, 0, v0
	s_waitcnt lgkmcnt(0)
	buffer_wbinvl1_vol
	s_and_saveexec_b64 s[12:13], vcc
	s_cbranch_execz .LBB12_6651
; %bb.6650:
	s_bcnt1_i32_b64 s8, s[14:15]
	v_mov_b32_e32 v0, s8
	v_mov_b32_e32 v1, 0
	ds_add_u64 v0, v[0:1]
	s_trap 2
.LBB12_6651:
	s_or_b64 exec, exec, s[12:13]
	buffer_load_dword v0, off, s[0:3], s33 offset:764 ; 4-byte Folded Reload
	s_trap 2
	s_waitcnt vmcnt(0)
	v_lshrrev_b32_e32 v0, 6, v0
	ds_read_b64 v[2:3], v0
	s_waitcnt lgkmcnt(0)
	buffer_load_dword v4, off, s[0:3], s33 offset:160 ; 4-byte Folded Reload
	buffer_load_dword v5, off, s[0:3], s33 offset:164 ; 4-byte Folded Reload
	s_waitcnt vmcnt(1)
	v_add_co_u32_e32 v0, vcc, v4, v0
	s_waitcnt vmcnt(0)
	v_addc_co_u32_e32 v1, vcc, 0, v5, vcc
	v_cmp_lt_u64_e32 vcc, v[2:3], v[0:1]
	s_and_saveexec_b64 s[12:13], vcc
	s_cbranch_execz .LBB12_6660
; %bb.6652:
	s_mov_b32 s8, 0
	s_mov_b64 s[14:15], 0
                                        ; implicit-def: $sgpr16_sgpr17
                                        ; implicit-def: $sgpr18_sgpr19
	s_branch .LBB12_6654
.LBB12_6653:                            ;   in Loop: Header=BB12_6654 Depth=1
	s_or_b64 exec, exec, s[22:23]
	s_and_b64 s[20:21], exec, s[24:25]
	s_or_b64 s[14:15], s[20:21], s[14:15]
	s_andn2_b64 s[16:17], s[16:17], exec
	s_and_b64 s[20:21], s[18:19], exec
	s_or_b64 s[16:17], s[16:17], s[20:21]
	s_andn2_b64 exec, exec, s[14:15]
	s_cbranch_execz .LBB12_6658
.LBB12_6654:                            ; =>This Inner Loop Header: Depth=1
	s_add_i32 s8, s8, 1
	s_cmpk_lg_i32 s8, 0x2710
	s_cselect_b64 s[20:21], -1, 0
	s_and_b64 vcc, exec, s[20:21]
	s_cbranch_vccz .LBB12_6656
; %bb.6655:                             ;   in Loop: Header=BB12_6654 Depth=1
	s_mov_b64 s[24:25], -1
	s_or_b64 s[18:19], s[18:19], exec
	s_and_saveexec_b64 s[22:23], s[20:21]
	s_cbranch_execz .LBB12_6653
	s_branch .LBB12_6657
.LBB12_6656:                            ;   in Loop: Header=BB12_6654 Depth=1
	s_trap 2
	ds_read_b64 v[2:3], v0
	s_andn2_b64 s[20:21], s[20:21], exec
	s_mov_b32 s8, 0
	s_waitcnt lgkmcnt(0)
	flat_load_dword v2, v[2:3] glc
	s_waitcnt vmcnt(0) lgkmcnt(0)
	buffer_wbinvl1_vol
	v_cmp_eq_u32_e32 vcc, 0, v2
	s_and_b64 s[22:23], vcc, exec
	s_or_b64 s[20:21], s[20:21], s[22:23]
	s_mov_b64 s[24:25], -1
	s_or_b64 s[18:19], s[18:19], exec
	s_and_saveexec_b64 s[22:23], s[20:21]
	s_cbranch_execz .LBB12_6653
.LBB12_6657:                            ;   in Loop: Header=BB12_6654 Depth=1
	s_sleep 1
	s_trap 2
	ds_read_b64 v[2:3], v0
	s_waitcnt lgkmcnt(0)
	s_andn2_b64 s[18:19], s[18:19], exec
	v_cmp_ge_u64_e32 vcc, v[2:3], v[0:1]
	s_orn2_b64 s[24:25], vcc, exec
	s_branch .LBB12_6653
.LBB12_6658:
	s_or_b64 exec, exec, s[14:15]
	s_and_saveexec_b64 s[8:9], s[16:17]
	s_xor_b64 s[8:9], exec, s[8:9]
	s_cbranch_execz .LBB12_6660
; %bb.6659:
	v_mov_b32_e32 v0, 1
	ds_write_b32 v0, v0
	s_trap 2
.LBB12_6660:
	s_or_b64 exec, exec, s[12:13]
	;;#ASMSTART
	s_wakeup
	;;#ASMEND
.LBB12_6661:
	s_or_b64 exec, exec, s[10:11]
.LBB12_6662:
	s_andn2_saveexec_b64 s[4:5], s[4:5]
	s_cbranch_execz .LBB12_6664
; %bb.6663:
	s_waitcnt lgkmcnt(0)
	buffer_wbinvl1_vol
	s_barrier
.LBB12_6664:
	s_or_b64 exec, exec, s[6:7]
.LBB12_6665:
	v_readlane_b32 s4, v62, 0
	v_readlane_b32 s5, v62, 1
	s_andn2_saveexec_b64 s[26:27], s[4:5]
	s_cbranch_execz .LBB12_6667
; %bb.6666:
	s_getpc_b64 s[4:5]
	s_add_u32 s4, s4, __PRETTY_FUNCTION__._ZN10PrimitivesI12hip_bfloat1613FuncPreMulSumIS0_E12FanSymmetricILi1EELi0E11ProtoSimpleILi2ELi2ELi0ELi4ELi0ELi0EELi0ELb0ELi0ELi1ELi0EEC2EiiPKiS9_PKvPvmhhhP15ncclDevWorkCollP14ncclDevWorkP2pii@rel32@lo+4
	s_addc_u32 s5, s5, __PRETTY_FUNCTION__._ZN10PrimitivesI12hip_bfloat1613FuncPreMulSumIS0_E12FanSymmetricILi1EELi0E11ProtoSimpleILi2ELi2ELi0ELi4ELi0ELi0EELi0ELb0ELi0ELi1ELi0EEC2EiiPKiS9_PKvPvmhhhP15ncclDevWorkCollP14ncclDevWorkP2pii@rel32@hi+12
	s_getpc_b64 s[6:7]
	s_add_u32 s6, s6, __assert_fail@rel32@lo+4
	s_addc_u32 s7, s7, __assert_fail@rel32@hi+12
	s_mov_b64 s[8:9], s[28:29]
	v_mov_b32_e32 v0, s4
	v_mov_b32_e32 v1, s5
	s_swappc_b64 s[30:31], s[6:7]
	; divergent unreachable
.LBB12_6667:
	s_or_b64 exec, exec, s[26:27]
	buffer_load_dword v61, off, s[0:3], s33 ; 4-byte Folded Reload
	buffer_load_dword v60, off, s[0:3], s33 offset:4 ; 4-byte Folded Reload
	buffer_load_dword v59, off, s[0:3], s33 offset:8 ; 4-byte Folded Reload
	;; [unrolled: 1-line block ×13, first 2 shown]
	v_readlane_b32 s30, v63, 32
	v_readlane_b32 s31, v63, 33
	;; [unrolled: 1-line block ×34, first 2 shown]
	s_mov_b32 s32, s33
	v_readlane_b32 s4, v63, 34
	s_or_saveexec_b64 s[6:7], -1
	buffer_load_dword v63, off, s[0:3], s33 offset:792 ; 4-byte Folded Reload
	buffer_load_dword v62, off, s[0:3], s33 offset:796 ; 4-byte Folded Reload
	s_mov_b64 exec, s[6:7]
	s_mov_b32 s33, s4
	s_waitcnt vmcnt(0) lgkmcnt(0)
	s_setpc_b64 s[30:31]
.Lfunc_end12:
	.size	_ZN12_GLOBAL__N_17runRingI12hip_bfloat1613FuncPreMulSumIS1_E11ProtoSimpleILi2ELi2ELi0ELi4ELi0ELi0EELi0ELi0ELi4ELi1EEEviiP15ncclDevWorkColl, .Lfunc_end12-_ZN12_GLOBAL__N_17runRingI12hip_bfloat1613FuncPreMulSumIS1_E11ProtoSimpleILi2ELi2ELi0ELi4ELi0ELi0EELi0ELi0ELi4ELi1EEEviiP15ncclDevWorkColl
                                        ; -- End function
	.set .L_ZN12_GLOBAL__N_17runRingI12hip_bfloat1613FuncPreMulSumIS1_E11ProtoSimpleILi2ELi2ELi0ELi4ELi0ELi0EELi0ELi0ELi4ELi1EEEviiP15ncclDevWorkColl.num_vgpr, max(64, .L__assert_fail.num_vgpr)
	.set .L_ZN12_GLOBAL__N_17runRingI12hip_bfloat1613FuncPreMulSumIS1_E11ProtoSimpleILi2ELi2ELi0ELi4ELi0ELi0EELi0ELi0ELi4ELi1EEEviiP15ncclDevWorkColl.num_agpr, max(0, .L__assert_fail.num_agpr)
	.set .L_ZN12_GLOBAL__N_17runRingI12hip_bfloat1613FuncPreMulSumIS1_E11ProtoSimpleILi2ELi2ELi0ELi4ELi0ELi0EELi0ELi0ELi4ELi1EEEviiP15ncclDevWorkColl.numbered_sgpr, max(100, .L__assert_fail.numbered_sgpr)
	.set .L_ZN12_GLOBAL__N_17runRingI12hip_bfloat1613FuncPreMulSumIS1_E11ProtoSimpleILi2ELi2ELi0ELi4ELi0ELi0EELi0ELi0ELi4ELi1EEEviiP15ncclDevWorkColl.num_named_barrier, max(0, .L__assert_fail.num_named_barrier)
	.set .L_ZN12_GLOBAL__N_17runRingI12hip_bfloat1613FuncPreMulSumIS1_E11ProtoSimpleILi2ELi2ELi0ELi4ELi0ELi0EELi0ELi0ELi4ELi1EEEviiP15ncclDevWorkColl.private_seg_size, 816+max(.L__assert_fail.private_seg_size)
	.set .L_ZN12_GLOBAL__N_17runRingI12hip_bfloat1613FuncPreMulSumIS1_E11ProtoSimpleILi2ELi2ELi0ELi4ELi0ELi0EELi0ELi0ELi4ELi1EEEviiP15ncclDevWorkColl.uses_vcc, or(1, .L__assert_fail.uses_vcc)
	.set .L_ZN12_GLOBAL__N_17runRingI12hip_bfloat1613FuncPreMulSumIS1_E11ProtoSimpleILi2ELi2ELi0ELi4ELi0ELi0EELi0ELi0ELi4ELi1EEEviiP15ncclDevWorkColl.uses_flat_scratch, or(0, .L__assert_fail.uses_flat_scratch)
	.set .L_ZN12_GLOBAL__N_17runRingI12hip_bfloat1613FuncPreMulSumIS1_E11ProtoSimpleILi2ELi2ELi0ELi4ELi0ELi0EELi0ELi0ELi4ELi1EEEviiP15ncclDevWorkColl.has_dyn_sized_stack, or(0, .L__assert_fail.has_dyn_sized_stack)
	.set .L_ZN12_GLOBAL__N_17runRingI12hip_bfloat1613FuncPreMulSumIS1_E11ProtoSimpleILi2ELi2ELi0ELi4ELi0ELi0EELi0ELi0ELi4ELi1EEEviiP15ncclDevWorkColl.has_recursion, or(1, .L__assert_fail.has_recursion)
	.set .L_ZN12_GLOBAL__N_17runRingI12hip_bfloat1613FuncPreMulSumIS1_E11ProtoSimpleILi2ELi2ELi0ELi4ELi0ELi0EELi0ELi0ELi4ELi1EEEviiP15ncclDevWorkColl.has_indirect_call, or(0, .L__assert_fail.has_indirect_call)
	.section	.AMDGPU.csdata,"",@progbits
; Function info:
; codeLenInByte = 227752
; TotalNumSgprs: 104
; NumVgprs: 64
; ScratchSize: 880
; MemoryBound: 1
	.text
	.p2align	2                               ; -- Begin function _Z54ncclDevFunc_AllReduce_RING_SIMPLE_PreMulSum_bf16_0_1_4v
	.type	_Z54ncclDevFunc_AllReduce_RING_SIMPLE_PreMulSum_bf16_0_1_4v,@function
_Z54ncclDevFunc_AllReduce_RING_SIMPLE_PreMulSum_bf16_0_1_4v: ; @_Z54ncclDevFunc_AllReduce_RING_SIMPLE_PreMulSum_bf16_0_1_4v
; %bb.0:
	s_waitcnt vmcnt(0) expcnt(0) lgkmcnt(0)
	s_mov_b32 s4, s33
	s_mov_b32 s33, s32
	s_or_saveexec_b64 s[6:7], -1
	buffer_store_dword v43, off, s[0:3], s33 offset:20 ; 4-byte Folded Spill
	buffer_store_dword v44, off, s[0:3], s33 offset:24 ; 4-byte Folded Spill
	s_mov_b64 exec, s[6:7]
	v_writelane_b32 v44, s4, 38
	v_writelane_b32 v44, s100, 36
	v_writelane_b32 v44, s101, 37
	s_addk_i32 s32, 0x800
	buffer_store_dword v40, off, s[0:3], s33 offset:12 ; 4-byte Folded Spill
	buffer_store_dword v41, off, s[0:3], s33 offset:8 ; 4-byte Folded Spill
	;; [unrolled: 1-line block ×3, first 2 shown]
	buffer_store_dword v62, off, s[0:3], s33 ; 4-byte Folded Spill
	v_writelane_b32 v44, s34, 0
	v_writelane_b32 v44, s35, 1
	v_writelane_b32 v44, s36, 2
	v_writelane_b32 v44, s37, 3
	v_writelane_b32 v44, s38, 4
	v_writelane_b32 v44, s39, 5
	v_writelane_b32 v44, s48, 6
	v_writelane_b32 v44, s49, 7
	v_writelane_b32 v44, s50, 8
	v_writelane_b32 v44, s51, 9
	v_writelane_b32 v44, s52, 10
	v_writelane_b32 v44, s53, 11
	v_writelane_b32 v44, s54, 12
	v_writelane_b32 v44, s55, 13
	v_writelane_b32 v44, s64, 14
	v_writelane_b32 v44, s65, 15
	v_writelane_b32 v44, s66, 16
	v_writelane_b32 v44, s67, 17
	v_writelane_b32 v44, s68, 18
	v_writelane_b32 v44, s69, 19
	v_writelane_b32 v44, s70, 20
	v_writelane_b32 v44, s71, 21
	v_writelane_b32 v44, s80, 22
	v_writelane_b32 v44, s81, 23
	v_writelane_b32 v44, s82, 24
	v_writelane_b32 v44, s83, 25
	v_writelane_b32 v44, s84, 26
	v_writelane_b32 v44, s85, 27
	v_writelane_b32 v44, s86, 28
	v_writelane_b32 v44, s87, 29
	v_writelane_b32 v44, s96, 30
	v_writelane_b32 v44, s97, 31
	v_writelane_b32 v44, s98, 32
	v_writelane_b32 v44, s99, 33
	v_writelane_b32 v44, s30, 34
	v_writelane_b32 v44, s31, 35
	s_trap 2
	ds_read_b32 v0, v0
	v_mov_b32_e32 v40, v31
                                        ; implicit-def: $vgpr43 : SGPR spill to VGPR lane
	v_and_b32_e32 v41, 0x3ff, v40
	v_writelane_b32 v43, s12, 0
	v_writelane_b32 v43, s8, 1
	s_waitcnt lgkmcnt(0)
	v_cmp_lt_i32_e32 vcc, v41, v0
	v_writelane_b32 v43, s9, 2
	s_and_saveexec_b64 s[4:5], vcc
	s_cbranch_execz .LBB13_5
; %bb.1:
	v_readlane_b32 s8, v43, 1
	v_readlane_b32 s9, v43, 2
	s_load_dword s6, s[8:9], 0x0
	v_readlane_b32 s7, v43, 0
	v_mov_b32_e32 v1, 0
	s_mov_b32 s10, 0
	v_mov_b32_e32 v4, v41
	s_waitcnt lgkmcnt(0)
	s_cmp_lt_u32 s7, s6
	s_cselect_b32 s6, 12, 18
	s_add_u32 s6, s8, s6
	s_addc_u32 s7, s9, 0
	global_load_ushort v1, v1, s[6:7]
	s_trap 2
	ds_read_b32 v2, v0
	s_mov_b64 s[6:7], 0
                                        ; implicit-def: $vgpr3
	s_waitcnt vmcnt(0) lgkmcnt(0)
	v_mul_lo_u32 v2, v2, v1
	s_branch .LBB13_3
.LBB13_2:                               ;   in Loop: Header=BB13_3 Depth=1
	s_or_b64 exec, exec, s[8:9]
	v_add_u32_e32 v4, v4, v1
	v_cmp_ge_i32_e32 vcc, v4, v0
	s_or_b64 s[6:7], vcc, s[6:7]
	v_add_u32_e32 v3, v3, v2
	s_andn2_b64 exec, exec, s[6:7]
	s_cbranch_execz .LBB13_5
.LBB13_3:                               ; =>This Inner Loop Header: Depth=1
	ds_read_b32 v5, v3
	s_waitcnt lgkmcnt(0)
	v_and_b32_e32 v5, 0x1000000, v5
	v_cmp_ne_u32_e32 vcc, 0, v5
	s_and_saveexec_b64 s[8:9], vcc
	s_cbranch_execz .LBB13_2
; %bb.4:                                ;   in Loop: Header=BB13_3 Depth=1
	ds_read_b64 v[5:6], v3 offset:104
	s_waitcnt lgkmcnt(0)
	flat_load_ushort v5, v[5:6]
	v_mov_b32_e32 v6, s10
	s_waitcnt vmcnt(0) lgkmcnt(0)
	v_and_b32_e32 v5, 0xffff, v5
	ds_write_b64 v3, v[5:6] offset:104
	s_branch .LBB13_2
.LBB13_5:
	s_or_b64 exec, exec, s[4:5]
	s_waitcnt vmcnt(0) lgkmcnt(0)
	s_barrier
	s_trap 2
	ds_read_b32 v0, v0
	s_waitcnt lgkmcnt(0)
	v_cmp_gt_i32_e32 vcc, 1, v0
	s_cbranch_vccnz .LBB13_13
; %bb.6:
	s_mov_b32 s6, 0
	v_mov_b32_e32 v42, 6
	s_branch .LBB13_8
.LBB13_7:                               ;   in Loop: Header=BB13_8 Depth=1
	s_or_b64 exec, exec, s[8:9]
	s_trap 2
	ds_read_b32 v0, v0
	s_add_i32 s6, s6, 1
	s_waitcnt lgkmcnt(0)
	v_cmp_lt_i32_e32 vcc, s6, v0
	s_cbranch_vccz .LBB13_13
.LBB13_8:                               ; =>This Inner Loop Header: Depth=1
	s_trap 2
	ds_read_b32 v0, v0
	s_cmp_eq_u32 s6, 0
	s_cbranch_scc1 .LBB13_11
; %bb.9:                                ;   in Loop: Header=BB13_8 Depth=1
	s_trap 2
	s_waitcnt lgkmcnt(0)
	ds_read_b32 v1, v0
	s_waitcnt lgkmcnt(0)
	v_xor_b32_e32 v1, v1, v0
	v_and_b32_e32 v1, 0xff0000, v1
	v_cmp_eq_u32_e32 vcc, 0, v1
	s_cbranch_vccnz .LBB13_11
; %bb.10:                               ;   in Loop: Header=BB13_8 Depth=1
	s_barrier
	ds_read_b32 v0, v0
.LBB13_11:                              ;   in Loop: Header=BB13_8 Depth=1
	s_waitcnt lgkmcnt(0)
	v_lshlrev_b32_sdwa v1, v42, v0 dst_sel:DWORD dst_unused:UNUSED_PAD src0_sel:DWORD src1_sel:BYTE_2
	v_cmp_lt_u32_e32 vcc, v41, v1
	s_and_saveexec_b64 s[8:9], vcc
	s_cbranch_execz .LBB13_7
; %bb.12:                               ;   in Loop: Header=BB13_8 Depth=1
	v_writelane_b32 v43, s6, 3
	v_writelane_b32 v43, s8, 4
	s_mov_b64 s[4:5], src_shared_base
	s_getpc_b64 s[6:7]
	s_add_u32 s6, s6, _ZN12_GLOBAL__N_17runRingI12hip_bfloat1613FuncPreMulSumIS1_E11ProtoSimpleILi2ELi2ELi0ELi4ELi0ELi0EELi0ELi0ELi4ELi1EEEviiP15ncclDevWorkColl@rel32@lo+4
	s_addc_u32 s7, s7, _ZN12_GLOBAL__N_17runRingI12hip_bfloat1613FuncPreMulSumIS1_E11ProtoSimpleILi2ELi2ELi0ELi4ELi0ELi0EELi0ELi0ELi4ELi1EEEviiP15ncclDevWorkColl@rel32@hi+12
	v_writelane_b32 v43, s9, 5
	s_or_saveexec_b64 s[100:101], -1
	buffer_store_dword v43, off, s[0:3], s33 offset:16 ; 4-byte Folded Spill
	s_mov_b64 exec, s[100:101]
	v_readlane_b32 s8, v43, 1
	v_readlane_b32 s9, v43, 2
	;; [unrolled: 1-line block ×3, first 2 shown]
	v_mov_b32_e32 v31, v40
	v_mov_b32_e32 v0, v41
	;; [unrolled: 1-line block ×3, first 2 shown]
	s_swappc_b64 s[30:31], s[6:7]
	s_or_saveexec_b64 s[100:101], -1
	buffer_load_dword v43, off, s[0:3], s33 offset:16 ; 4-byte Folded Reload
	s_mov_b64 exec, s[100:101]
	s_waitcnt vmcnt(0)
	v_readlane_b32 s8, v43, 4
	v_readlane_b32 s9, v43, 5
	;; [unrolled: 1-line block ×3, first 2 shown]
	s_branch .LBB13_7
.LBB13_13:
	buffer_load_dword v62, off, s[0:3], s33 ; 4-byte Folded Reload
	buffer_load_dword v42, off, s[0:3], s33 offset:4 ; 4-byte Folded Reload
	buffer_load_dword v41, off, s[0:3], s33 offset:8 ; 4-byte Folded Reload
	;; [unrolled: 1-line block ×3, first 2 shown]
	v_readlane_b32 s30, v44, 34
	v_readlane_b32 s31, v44, 35
	;; [unrolled: 1-line block ×36, first 2 shown]
	s_mov_b32 s32, s33
	v_readlane_b32 s4, v44, 38
	v_readlane_b32 s100, v44, 36
	v_readlane_b32 s101, v44, 37
	s_or_saveexec_b64 s[6:7], -1
	buffer_load_dword v43, off, s[0:3], s33 offset:20 ; 4-byte Folded Reload
	buffer_load_dword v44, off, s[0:3], s33 offset:24 ; 4-byte Folded Reload
	s_mov_b64 exec, s[6:7]
	s_mov_b32 s33, s4
	s_waitcnt vmcnt(0)
	s_setpc_b64 s[30:31]
.Lfunc_end13:
	.size	_Z54ncclDevFunc_AllReduce_RING_SIMPLE_PreMulSum_bf16_0_1_4v, .Lfunc_end13-_Z54ncclDevFunc_AllReduce_RING_SIMPLE_PreMulSum_bf16_0_1_4v
                                        ; -- End function
	.set .L_Z54ncclDevFunc_AllReduce_RING_SIMPLE_PreMulSum_bf16_0_1_4v.num_vgpr, max(63, .L_ZN12_GLOBAL__N_17runRingI12hip_bfloat1613FuncPreMulSumIS1_E11ProtoSimpleILi2ELi2ELi0ELi4ELi0ELi0EELi0ELi0ELi4ELi1EEEviiP15ncclDevWorkColl.num_vgpr)
	.set .L_Z54ncclDevFunc_AllReduce_RING_SIMPLE_PreMulSum_bf16_0_1_4v.num_agpr, max(0, .L_ZN12_GLOBAL__N_17runRingI12hip_bfloat1613FuncPreMulSumIS1_E11ProtoSimpleILi2ELi2ELi0ELi4ELi0ELi0EELi0ELi0ELi4ELi1EEEviiP15ncclDevWorkColl.num_agpr)
	.set .L_Z54ncclDevFunc_AllReduce_RING_SIMPLE_PreMulSum_bf16_0_1_4v.numbered_sgpr, max(102, .L_ZN12_GLOBAL__N_17runRingI12hip_bfloat1613FuncPreMulSumIS1_E11ProtoSimpleILi2ELi2ELi0ELi4ELi0ELi0EELi0ELi0ELi4ELi1EEEviiP15ncclDevWorkColl.numbered_sgpr)
	.set .L_Z54ncclDevFunc_AllReduce_RING_SIMPLE_PreMulSum_bf16_0_1_4v.num_named_barrier, max(0, .L_ZN12_GLOBAL__N_17runRingI12hip_bfloat1613FuncPreMulSumIS1_E11ProtoSimpleILi2ELi2ELi0ELi4ELi0ELi0EELi0ELi0ELi4ELi1EEEviiP15ncclDevWorkColl.num_named_barrier)
	.set .L_Z54ncclDevFunc_AllReduce_RING_SIMPLE_PreMulSum_bf16_0_1_4v.private_seg_size, 32+max(.L_ZN12_GLOBAL__N_17runRingI12hip_bfloat1613FuncPreMulSumIS1_E11ProtoSimpleILi2ELi2ELi0ELi4ELi0ELi0EELi0ELi0ELi4ELi1EEEviiP15ncclDevWorkColl.private_seg_size)
	.set .L_Z54ncclDevFunc_AllReduce_RING_SIMPLE_PreMulSum_bf16_0_1_4v.uses_vcc, or(1, .L_ZN12_GLOBAL__N_17runRingI12hip_bfloat1613FuncPreMulSumIS1_E11ProtoSimpleILi2ELi2ELi0ELi4ELi0ELi0EELi0ELi0ELi4ELi1EEEviiP15ncclDevWorkColl.uses_vcc)
	.set .L_Z54ncclDevFunc_AllReduce_RING_SIMPLE_PreMulSum_bf16_0_1_4v.uses_flat_scratch, or(0, .L_ZN12_GLOBAL__N_17runRingI12hip_bfloat1613FuncPreMulSumIS1_E11ProtoSimpleILi2ELi2ELi0ELi4ELi0ELi0EELi0ELi0ELi4ELi1EEEviiP15ncclDevWorkColl.uses_flat_scratch)
	.set .L_Z54ncclDevFunc_AllReduce_RING_SIMPLE_PreMulSum_bf16_0_1_4v.has_dyn_sized_stack, or(0, .L_ZN12_GLOBAL__N_17runRingI12hip_bfloat1613FuncPreMulSumIS1_E11ProtoSimpleILi2ELi2ELi0ELi4ELi0ELi0EELi0ELi0ELi4ELi1EEEviiP15ncclDevWorkColl.has_dyn_sized_stack)
	.set .L_Z54ncclDevFunc_AllReduce_RING_SIMPLE_PreMulSum_bf16_0_1_4v.has_recursion, or(1, .L_ZN12_GLOBAL__N_17runRingI12hip_bfloat1613FuncPreMulSumIS1_E11ProtoSimpleILi2ELi2ELi0ELi4ELi0ELi0EELi0ELi0ELi4ELi1EEEviiP15ncclDevWorkColl.has_recursion)
	.set .L_Z54ncclDevFunc_AllReduce_RING_SIMPLE_PreMulSum_bf16_0_1_4v.has_indirect_call, or(0, .L_ZN12_GLOBAL__N_17runRingI12hip_bfloat1613FuncPreMulSumIS1_E11ProtoSimpleILi2ELi2ELi0ELi4ELi0ELi0EELi0ELi0ELi4ELi1EEEviiP15ncclDevWorkColl.has_indirect_call)
	.section	.AMDGPU.csdata,"",@progbits
; Function info:
; codeLenInByte = 1372
; TotalNumSgprs: 106
; NumVgprs: 64
; ScratchSize: 912
; MemoryBound: 0
	.section	.AMDGPU.gpr_maximums,"",@progbits
	.set amdgpu.max_num_vgpr, 64
	.set amdgpu.max_num_agpr, 0
	.set amdgpu.max_num_sgpr, 102
	.section	.AMDGPU.csdata,"",@progbits
	.type	__const.__assert_fail.fmt,@object ; @__const.__assert_fail.fmt
	.section	.rodata.str1.16,"aMS",@progbits,1
	.p2align	4, 0x0
__const.__assert_fail.fmt:
	.asciz	"%s:%u: %s: Device-side assertion `%s' failed.\n"
	.size	__const.__assert_fail.fmt, 47

	.type	.str.3,@object                  ; @.str.3
	.section	.rodata.str1.1,"aMS",@progbits,1
.str.3:
	.asciz	"2*(nrecv+nsend) <= nthreads"
	.size	.str.3, 28

	.type	.str.4,@object                  ; @.str.4
.str.4:
	.asciz	"/root/src/amdgpu-assembly/repos/ROCm__rccl/hipify/src/device/prims_simple.h"
	.size	.str.4, 76

	.type	__PRETTY_FUNCTION__._ZN10PrimitivesI12hip_bfloat1613FuncPreMulSumIS0_E12FanSymmetricILi1EELi0E11ProtoSimpleILi2ELi2ELi0ELi1ELi0ELi0EELi0ELb0ELi0ELi0ELi0EEC2EiiPKiS9_PKvPvmhhhP15ncclDevWorkCollP14ncclDevWorkP2pii,@object ; @__PRETTY_FUNCTION__._ZN10PrimitivesI12hip_bfloat1613FuncPreMulSumIS0_E12FanSymmetricILi1EELi0E11ProtoSimpleILi2ELi2ELi0ELi1ELi0ELi0EELi0ELb0ELi0ELi0ELi0EEC2EiiPKiS9_PKvPvmhhhP15ncclDevWorkCollP14ncclDevWorkP2pii
__PRETTY_FUNCTION__._ZN10PrimitivesI12hip_bfloat1613FuncPreMulSumIS0_E12FanSymmetricILi1EELi0E11ProtoSimpleILi2ELi2ELi0ELi1ELi0ELi0EELi0ELb0ELi0ELi0ELi0EEC2EiiPKiS9_PKvPvmhhhP15ncclDevWorkCollP14ncclDevWorkP2pii:
	.asciz	"Primitives<hip_bfloat16, FuncPreMulSum<hip_bfloat16>, FanSymmetric<1>, 0, ProtoSimple<2, 2, 0, 1>, 0>::Primitives(int, int, const int *, const int *, const void *, void *, uint64_t, uint8_t, uint8_t, uint8_t, struct ncclDevWorkColl *, struct ncclDevWorkP2p *, int, int) [T = hip_bfloat16, RedOp = FuncPreMulSum<hip_bfloat16>, Fan = FanSymmetric<1>, Direct = 0, Proto = ProtoSimple<2, 2, 0, 1>, P2p = 0, isNetOffload = false, Metadata = 0, Pipeline = 0, useAcc = 0]"
	.size	__PRETTY_FUNCTION__._ZN10PrimitivesI12hip_bfloat1613FuncPreMulSumIS0_E12FanSymmetricILi1EELi0E11ProtoSimpleILi2ELi2ELi0ELi1ELi0ELi0EELi0ELb0ELi0ELi0ELi0EEC2EiiPKiS9_PKvPvmhhhP15ncclDevWorkCollP14ncclDevWorkP2pii, 465

	.type	__PRETTY_FUNCTION__._ZN10PrimitivesI12hip_bfloat1613FuncPreMulSumIS0_E12FanSymmetricILi1EELi0E11ProtoSimpleILi2ELi2ELi0ELi1ELi0ELi0EELi0ELb0ELi0ELi1ELi0EEC2EiiPKiS9_PKvPvmhhhP15ncclDevWorkCollP14ncclDevWorkP2pii,@object ; @__PRETTY_FUNCTION__._ZN10PrimitivesI12hip_bfloat1613FuncPreMulSumIS0_E12FanSymmetricILi1EELi0E11ProtoSimpleILi2ELi2ELi0ELi1ELi0ELi0EELi0ELb0ELi0ELi1ELi0EEC2EiiPKiS9_PKvPvmhhhP15ncclDevWorkCollP14ncclDevWorkP2pii
__PRETTY_FUNCTION__._ZN10PrimitivesI12hip_bfloat1613FuncPreMulSumIS0_E12FanSymmetricILi1EELi0E11ProtoSimpleILi2ELi2ELi0ELi1ELi0ELi0EELi0ELb0ELi0ELi1ELi0EEC2EiiPKiS9_PKvPvmhhhP15ncclDevWorkCollP14ncclDevWorkP2pii:
	.asciz	"Primitives<hip_bfloat16, FuncPreMulSum<hip_bfloat16>, FanSymmetric<1>, 0, ProtoSimple<2, 2, 0, 1>, 0, false, 0, 1>::Primitives(int, int, const int *, const int *, const void *, void *, uint64_t, uint8_t, uint8_t, uint8_t, struct ncclDevWorkColl *, struct ncclDevWorkP2p *, int, int) [T = hip_bfloat16, RedOp = FuncPreMulSum<hip_bfloat16>, Fan = FanSymmetric<1>, Direct = 0, Proto = ProtoSimple<2, 2, 0, 1>, P2p = 0, isNetOffload = false, Metadata = 0, Pipeline = 1, useAcc = 0]"
	.size	__PRETTY_FUNCTION__._ZN10PrimitivesI12hip_bfloat1613FuncPreMulSumIS0_E12FanSymmetricILi1EELi0E11ProtoSimpleILi2ELi2ELi0ELi1ELi0ELi0EELi0ELb0ELi0ELi1ELi0EEC2EiiPKiS9_PKvPvmhhhP15ncclDevWorkCollP14ncclDevWorkP2pii, 478

	.type	__PRETTY_FUNCTION__._ZN10PrimitivesI12hip_bfloat1613FuncPreMulSumIS0_E12FanSymmetricILi1EELi0E11ProtoSimpleILi2ELi2ELi0ELi2ELi0ELi0EELi0ELb0ELi0ELi0ELi0EEC2EiiPKiS9_PKvPvmhhhP15ncclDevWorkCollP14ncclDevWorkP2pii,@object ; @__PRETTY_FUNCTION__._ZN10PrimitivesI12hip_bfloat1613FuncPreMulSumIS0_E12FanSymmetricILi1EELi0E11ProtoSimpleILi2ELi2ELi0ELi2ELi0ELi0EELi0ELb0ELi0ELi0ELi0EEC2EiiPKiS9_PKvPvmhhhP15ncclDevWorkCollP14ncclDevWorkP2pii
__PRETTY_FUNCTION__._ZN10PrimitivesI12hip_bfloat1613FuncPreMulSumIS0_E12FanSymmetricILi1EELi0E11ProtoSimpleILi2ELi2ELi0ELi2ELi0ELi0EELi0ELb0ELi0ELi0ELi0EEC2EiiPKiS9_PKvPvmhhhP15ncclDevWorkCollP14ncclDevWorkP2pii:
	.asciz	"Primitives<hip_bfloat16, FuncPreMulSum<hip_bfloat16>, FanSymmetric<1>, 0, ProtoSimple<2, 2, 0, 2>, 0>::Primitives(int, int, const int *, const int *, const void *, void *, uint64_t, uint8_t, uint8_t, uint8_t, struct ncclDevWorkColl *, struct ncclDevWorkP2p *, int, int) [T = hip_bfloat16, RedOp = FuncPreMulSum<hip_bfloat16>, Fan = FanSymmetric<1>, Direct = 0, Proto = ProtoSimple<2, 2, 0, 2>, P2p = 0, isNetOffload = false, Metadata = 0, Pipeline = 0, useAcc = 0]"
	.size	__PRETTY_FUNCTION__._ZN10PrimitivesI12hip_bfloat1613FuncPreMulSumIS0_E12FanSymmetricILi1EELi0E11ProtoSimpleILi2ELi2ELi0ELi2ELi0ELi0EELi0ELb0ELi0ELi0ELi0EEC2EiiPKiS9_PKvPvmhhhP15ncclDevWorkCollP14ncclDevWorkP2pii, 465

	.type	__PRETTY_FUNCTION__._ZN10PrimitivesI12hip_bfloat1613FuncPreMulSumIS0_E12FanSymmetricILi1EELi0E11ProtoSimpleILi2ELi2ELi0ELi2ELi0ELi0EELi0ELb0ELi0ELi1ELi0EEC2EiiPKiS9_PKvPvmhhhP15ncclDevWorkCollP14ncclDevWorkP2pii,@object ; @__PRETTY_FUNCTION__._ZN10PrimitivesI12hip_bfloat1613FuncPreMulSumIS0_E12FanSymmetricILi1EELi0E11ProtoSimpleILi2ELi2ELi0ELi2ELi0ELi0EELi0ELb0ELi0ELi1ELi0EEC2EiiPKiS9_PKvPvmhhhP15ncclDevWorkCollP14ncclDevWorkP2pii
__PRETTY_FUNCTION__._ZN10PrimitivesI12hip_bfloat1613FuncPreMulSumIS0_E12FanSymmetricILi1EELi0E11ProtoSimpleILi2ELi2ELi0ELi2ELi0ELi0EELi0ELb0ELi0ELi1ELi0EEC2EiiPKiS9_PKvPvmhhhP15ncclDevWorkCollP14ncclDevWorkP2pii:
	.asciz	"Primitives<hip_bfloat16, FuncPreMulSum<hip_bfloat16>, FanSymmetric<1>, 0, ProtoSimple<2, 2, 0, 2>, 0, false, 0, 1>::Primitives(int, int, const int *, const int *, const void *, void *, uint64_t, uint8_t, uint8_t, uint8_t, struct ncclDevWorkColl *, struct ncclDevWorkP2p *, int, int) [T = hip_bfloat16, RedOp = FuncPreMulSum<hip_bfloat16>, Fan = FanSymmetric<1>, Direct = 0, Proto = ProtoSimple<2, 2, 0, 2>, P2p = 0, isNetOffload = false, Metadata = 0, Pipeline = 1, useAcc = 0]"
	.size	__PRETTY_FUNCTION__._ZN10PrimitivesI12hip_bfloat1613FuncPreMulSumIS0_E12FanSymmetricILi1EELi0E11ProtoSimpleILi2ELi2ELi0ELi2ELi0ELi0EELi0ELb0ELi0ELi1ELi0EEC2EiiPKiS9_PKvPvmhhhP15ncclDevWorkCollP14ncclDevWorkP2pii, 478

	.type	__PRETTY_FUNCTION__._ZN10PrimitivesI12hip_bfloat1613FuncPreMulSumIS0_E12FanSymmetricILi1EELi0E11ProtoSimpleILi2ELi2ELi0ELi4ELi0ELi0EELi0ELb0ELi0ELi0ELi0EEC2EiiPKiS9_PKvPvmhhhP15ncclDevWorkCollP14ncclDevWorkP2pii,@object ; @__PRETTY_FUNCTION__._ZN10PrimitivesI12hip_bfloat1613FuncPreMulSumIS0_E12FanSymmetricILi1EELi0E11ProtoSimpleILi2ELi2ELi0ELi4ELi0ELi0EELi0ELb0ELi0ELi0ELi0EEC2EiiPKiS9_PKvPvmhhhP15ncclDevWorkCollP14ncclDevWorkP2pii
__PRETTY_FUNCTION__._ZN10PrimitivesI12hip_bfloat1613FuncPreMulSumIS0_E12FanSymmetricILi1EELi0E11ProtoSimpleILi2ELi2ELi0ELi4ELi0ELi0EELi0ELb0ELi0ELi0ELi0EEC2EiiPKiS9_PKvPvmhhhP15ncclDevWorkCollP14ncclDevWorkP2pii:
	.asciz	"Primitives<hip_bfloat16, FuncPreMulSum<hip_bfloat16>, FanSymmetric<1>, 0, ProtoSimple<2, 2, 0, 4>, 0>::Primitives(int, int, const int *, const int *, const void *, void *, uint64_t, uint8_t, uint8_t, uint8_t, struct ncclDevWorkColl *, struct ncclDevWorkP2p *, int, int) [T = hip_bfloat16, RedOp = FuncPreMulSum<hip_bfloat16>, Fan = FanSymmetric<1>, Direct = 0, Proto = ProtoSimple<2, 2, 0, 4>, P2p = 0, isNetOffload = false, Metadata = 0, Pipeline = 0, useAcc = 0]"
	.size	__PRETTY_FUNCTION__._ZN10PrimitivesI12hip_bfloat1613FuncPreMulSumIS0_E12FanSymmetricILi1EELi0E11ProtoSimpleILi2ELi2ELi0ELi4ELi0ELi0EELi0ELb0ELi0ELi0ELi0EEC2EiiPKiS9_PKvPvmhhhP15ncclDevWorkCollP14ncclDevWorkP2pii, 465

	.type	__PRETTY_FUNCTION__._ZN10PrimitivesI12hip_bfloat1613FuncPreMulSumIS0_E12FanSymmetricILi1EELi0E11ProtoSimpleILi2ELi2ELi0ELi4ELi0ELi0EELi0ELb0ELi0ELi1ELi0EEC2EiiPKiS9_PKvPvmhhhP15ncclDevWorkCollP14ncclDevWorkP2pii,@object ; @__PRETTY_FUNCTION__._ZN10PrimitivesI12hip_bfloat1613FuncPreMulSumIS0_E12FanSymmetricILi1EELi0E11ProtoSimpleILi2ELi2ELi0ELi4ELi0ELi0EELi0ELb0ELi0ELi1ELi0EEC2EiiPKiS9_PKvPvmhhhP15ncclDevWorkCollP14ncclDevWorkP2pii
__PRETTY_FUNCTION__._ZN10PrimitivesI12hip_bfloat1613FuncPreMulSumIS0_E12FanSymmetricILi1EELi0E11ProtoSimpleILi2ELi2ELi0ELi4ELi0ELi0EELi0ELb0ELi0ELi1ELi0EEC2EiiPKiS9_PKvPvmhhhP15ncclDevWorkCollP14ncclDevWorkP2pii:
	.asciz	"Primitives<hip_bfloat16, FuncPreMulSum<hip_bfloat16>, FanSymmetric<1>, 0, ProtoSimple<2, 2, 0, 4>, 0, false, 0, 1>::Primitives(int, int, const int *, const int *, const void *, void *, uint64_t, uint8_t, uint8_t, uint8_t, struct ncclDevWorkColl *, struct ncclDevWorkP2p *, int, int) [T = hip_bfloat16, RedOp = FuncPreMulSum<hip_bfloat16>, Fan = FanSymmetric<1>, Direct = 0, Proto = ProtoSimple<2, 2, 0, 4>, P2p = 0, isNetOffload = false, Metadata = 0, Pipeline = 1, useAcc = 0]"
	.size	__PRETTY_FUNCTION__._ZN10PrimitivesI12hip_bfloat1613FuncPreMulSumIS0_E12FanSymmetricILi1EELi0E11ProtoSimpleILi2ELi2ELi0ELi4ELi0ELi0EELi0ELb0ELi0ELi1ELi0EEC2EiiPKiS9_PKvPvmhhhP15ncclDevWorkCollP14ncclDevWorkP2pii, 478

	.type	__hip_cuid_2408350d26e67f9a,@object ; @__hip_cuid_2408350d26e67f9a
	.section	.bss,"aw",@nobits
	.globl	__hip_cuid_2408350d26e67f9a
__hip_cuid_2408350d26e67f9a:
	.byte	0                               ; 0x0
	.size	__hip_cuid_2408350d26e67f9a, 1

	.ident	"AMD clang version 22.0.0git (https://github.com/RadeonOpenCompute/llvm-project roc-7.2.4 26084 f58b06dce1f9c15707c5f808fd002e18c2accf7e)"
	.section	".note.GNU-stack","",@progbits
	.addrsig
	.addrsig_sym _Z54ncclDevFunc_AllReduce_RING_SIMPLE_PreMulSum_bf16_0_0_1v
	.addrsig_sym _Z54ncclDevFunc_AllReduce_RING_SIMPLE_PreMulSum_bf16_0_1_1v
	.addrsig_sym _Z54ncclDevFunc_AllReduce_RING_SIMPLE_PreMulSum_bf16_0_0_2v
	.addrsig_sym _Z54ncclDevFunc_AllReduce_RING_SIMPLE_PreMulSum_bf16_0_1_2v
	.addrsig_sym _Z54ncclDevFunc_AllReduce_RING_SIMPLE_PreMulSum_bf16_0_0_4v
	.addrsig_sym _Z54ncclDevFunc_AllReduce_RING_SIMPLE_PreMulSum_bf16_0_1_4v
	.addrsig_sym ncclShmem
	.addrsig_sym __hip_cuid_2408350d26e67f9a
	.amdgpu_metadata
---
amdhsa.kernels:  []
amdhsa.target:   amdgcn-amd-amdhsa--gfx906
amdhsa.version:
  - 1
  - 2
...

	.end_amdgpu_metadata
